;; amdgpu-corpus repo=ggml-org/llama.cpp kind=compiled arch=gfx1250 opt=O3
	.amdgcn_target "amdgcn-amd-amdhsa--gfx1250"
	.amdhsa_code_object_version 6
	.section	.text._ZL15flash_attn_tileILi576ELi512ELi2ELi16ELb0EEvPKcS1_S1_S1_S1_PKiPfP15HIP_vector_typeIfLj2EEffffjfiS5_IjLj3EEiiiiiiiiiiiliiliiiiil,"axG",@progbits,_ZL15flash_attn_tileILi576ELi512ELi2ELi16ELb0EEvPKcS1_S1_S1_S1_PKiPfP15HIP_vector_typeIfLj2EEffffjfiS5_IjLj3EEiiiiiiiiiiiliiliiiiil,comdat
	.globl	_ZL15flash_attn_tileILi576ELi512ELi2ELi16ELb0EEvPKcS1_S1_S1_S1_PKiPfP15HIP_vector_typeIfLj2EEffffjfiS5_IjLj3EEiiiiiiiiiiiliiliiiiil ; -- Begin function _ZL15flash_attn_tileILi576ELi512ELi2ELi16ELb0EEvPKcS1_S1_S1_S1_PKiPfP15HIP_vector_typeIfLj2EEffffjfiS5_IjLj3EEiiiiiiiiiiiliiliiiiil
	.p2align	8
	.type	_ZL15flash_attn_tileILi576ELi512ELi2ELi16ELb0EEvPKcS1_S1_S1_S1_PKiPfP15HIP_vector_typeIfLj2EEffffjfiS5_IjLj3EEiiiiiiiiiiiliiliiiiil,@function
_ZL15flash_attn_tileILi576ELi512ELi2ELi16ELb0EEvPKcS1_S1_S1_S1_PKiPfP15HIP_vector_typeIfLj2EEffffjfiS5_IjLj3EEiiiiiiiiiiiliiliiiiil: ; @_ZL15flash_attn_tileILi576ELi512ELi2ELi16ELb0EEvPKcS1_S1_S1_S1_PKiPfP15HIP_vector_typeIfLj2EEffffjfiS5_IjLj3EEiiiiiiiiiiiliiliiiiil
; %bb.0:
	s_clause 0x1
	s_load_b128 s[20:23], s[0:1], 0x5c
	s_load_b64 s[28:29], s[0:1], 0x80
	s_bfe_u32 s5, ttmp6, 0x40014
	s_lshr_b32 s4, ttmp7, 16
	s_add_co_i32 s5, s5, 1
	s_bfe_u32 s6, ttmp6, 0x40008
	s_mul_i32 s5, s4, s5
	s_getreg_b32 s24, hwreg(HW_REG_IB_STS2, 6, 4)
	s_add_co_i32 s6, s6, s5
	s_load_b64 s[36:37], s[0:1], 0xb8
	s_mov_b32 s35, 0
	s_mov_b64 s[30:31], 0
	s_wait_kmcnt 0x0
	s_ashr_i32 s2, s23, 31
	s_delay_alu instid0(SALU_CYCLE_1) | instskip(NEXT) | instid1(SALU_CYCLE_1)
	s_lshr_b32 s2, s2, 28
	s_add_co_i32 s2, s23, s2
	s_delay_alu instid0(SALU_CYCLE_1) | instskip(NEXT) | instid1(SALU_CYCLE_1)
	s_ashr_i32 s2, s2, 4
	s_cvt_f32_u32 s3, s2
	s_sub_co_i32 s7, 0, s2
	s_delay_alu instid0(SALU_CYCLE_2) | instskip(SKIP_1) | instid1(TRANS32_DEP_1)
	v_rcp_iflag_f32_e32 v1, s3
	v_nop
	v_readfirstlane_b32 s3, v1
	s_mul_f32 s3, s3, 0x4f7ffffe
	s_delay_alu instid0(SALU_CYCLE_3) | instskip(NEXT) | instid1(SALU_CYCLE_3)
	s_cvt_u32_f32 s3, s3
	s_mul_i32 s7, s7, s3
	s_delay_alu instid0(SALU_CYCLE_1) | instskip(NEXT) | instid1(SALU_CYCLE_1)
	s_mul_hi_u32 s7, s3, s7
	s_add_co_i32 s3, s3, s7
	s_cmp_eq_u32 s24, 0
	s_cselect_b32 s4, s4, s6
	s_delay_alu instid0(SALU_CYCLE_1) | instskip(NEXT) | instid1(SALU_CYCLE_1)
	s_mul_hi_u32 s3, s4, s3
	s_mul_i32 s5, s3, s2
	s_add_co_i32 s6, s3, 1
	s_sub_co_i32 s5, s4, s5
	s_delay_alu instid0(SALU_CYCLE_1)
	s_sub_co_i32 s7, s5, s2
	s_cmp_ge_u32 s5, s2
	s_cselect_b32 s3, s6, s3
	s_cselect_b32 s5, s7, s5
	s_add_co_i32 s6, s3, 1
	s_cmp_ge_u32 s5, s2
	s_cselect_b32 s2, s6, s3
	s_abs_i32 s3, s29
	s_lshl_b32 s4, s4, 4
	s_cvt_f32_u32 s5, s3
	s_sub_co_i32 s6, 0, s3
	s_mul_i32 s7, s2, s23
	s_abs_i32 s8, s23
	v_rcp_iflag_f32_e32 v1, s5
	s_sub_co_i32 s33, s4, s7
	v_nop
	s_delay_alu instid0(TRANS32_DEP_1) | instskip(SKIP_1) | instid1(SALU_CYCLE_3)
	v_readfirstlane_b32 s5, v1
	s_mul_f32 s5, s5, 0x4f7ffffe
	s_cvt_u32_f32 s5, s5
	s_delay_alu instid0(SALU_CYCLE_3) | instskip(NEXT) | instid1(SALU_CYCLE_1)
	s_mul_i32 s6, s6, s5
	s_mul_hi_u32 s6, s5, s6
	s_delay_alu instid0(SALU_CYCLE_1) | instskip(NEXT) | instid1(SALU_CYCLE_1)
	s_add_co_i32 s5, s5, s6
	s_mul_hi_u32 s4, s8, s5
	s_xor_b32 s5, s23, s29
	s_mul_i32 s6, s4, s3
	s_ashr_i32 s25, s5, 31
	s_sub_co_i32 s5, s8, s6
	s_add_co_i32 s6, s4, 1
	s_sub_co_i32 s7, s5, s3
	s_cmp_ge_u32 s5, s3
	s_cselect_b32 s4, s6, s4
	s_cselect_b32 s5, s7, s5
	s_add_co_i32 s6, s4, 1
	s_cmp_ge_u32 s5, s3
	s_cselect_b32 s3, s6, s4
	s_load_b512 s[4:19], s[0:1], 0x0
	s_xor_b32 s3, s3, s25
	s_delay_alu instid0(SALU_CYCLE_1) | instskip(NEXT) | instid1(SALU_CYCLE_1)
	s_sub_co_i32 s3, s3, s25
	s_abs_i32 s38, s3
	s_delay_alu instid0(SALU_CYCLE_1) | instskip(NEXT) | instid1(SALU_CYCLE_3)
	s_cvt_f32_u32 s25, s38
	v_rcp_iflag_f32_e32 v1, s25
	v_nop
	s_delay_alu instid0(TRANS32_DEP_1)
	v_readfirstlane_b32 s34, v1
	s_wait_kmcnt 0x0
	s_cmp_eq_u64 s[10:11], 0
	s_cbranch_scc1 .LBB0_2
; %bb.1:
	s_abs_i32 s25, s36
	s_abs_i32 s29, s2
	s_cvt_f32_u32 s26, s25
	s_sub_co_i32 s27, 0, s25
	s_delay_alu instid0(SALU_CYCLE_2) | instskip(SKIP_1) | instid1(TRANS32_DEP_1)
	v_rcp_iflag_f32_e32 v1, s26
	v_nop
	v_readfirstlane_b32 s26, v1
	s_mul_f32 s26, s26, 0x4f7ffffe
	s_delay_alu instid0(SALU_CYCLE_3) | instskip(NEXT) | instid1(SALU_CYCLE_3)
	s_cvt_u32_f32 s26, s26
	s_mul_i32 s27, s27, s26
	s_delay_alu instid0(SALU_CYCLE_1) | instskip(NEXT) | instid1(SALU_CYCLE_1)
	s_mul_hi_u32 s27, s26, s27
	s_add_co_i32 s26, s26, s27
	s_delay_alu instid0(SALU_CYCLE_1) | instskip(SKIP_2) | instid1(SALU_CYCLE_1)
	s_mul_hi_u32 s30, s29, s26
	s_load_b64 s[26:27], s[0:1], 0xc8
	s_mul_i32 s30, s30, s25
	s_sub_co_i32 s29, s29, s30
	s_ashr_i32 s30, s2, 31
	s_sub_co_i32 s31, s29, s25
	s_cmp_ge_u32 s29, s25
	s_cselect_b32 s29, s31, s29
	s_delay_alu instid0(SALU_CYCLE_1) | instskip(SKIP_2) | instid1(SALU_CYCLE_1)
	s_sub_co_i32 s31, s29, s25
	s_cmp_ge_u32 s29, s25
	s_cselect_b32 s25, s31, s29
	s_xor_b32 s25, s25, s30
	s_delay_alu instid0(SALU_CYCLE_1) | instskip(NEXT) | instid1(SALU_CYCLE_1)
	s_sub_co_i32 s30, s25, s30
	s_ashr_i32 s31, s30, 31
	s_wait_kmcnt 0x0
	s_mul_u64 s[26:27], s[26:27], s[30:31]
	s_delay_alu instid0(SALU_CYCLE_1)
	s_add_nc_u64 s[30:31], s[10:11], s[26:27]
.LBB0_2:
	s_bfe_u32 s10, ttmp6, 0x4000c
	v_dual_lshrrev_b32 v1, 10, v0 :: v_dual_mov_b32 v3, 0
	s_add_co_i32 s10, s10, 1
	s_and_b32 s11, ttmp6, 15
	s_mul_i32 s10, ttmp9, s10
	s_delay_alu instid0(VALU_DEP_1)
	v_bfe_u32 v1, v1, 2, 8
	s_add_co_i32 s11, s11, s10
	s_cmp_eq_u32 s24, 0
	v_bfe_u32 v8, v0, 10, 10
	s_cselect_b32 s25, ttmp9, s11
	s_load_b96 s[40:42], s[0:1], 0x70
	v_lshl_add_u32 v58, s25, 1, v1
	s_delay_alu instid0(VALU_DEP_2) | instskip(SKIP_1) | instid1(VALU_DEP_3)
	v_dual_mov_b32 v25, v3 :: v_dual_lshlrev_b32 v9, 2, v8
	v_mul_u32_u24_e32 v61, 0x1200, v8
	v_mul_hi_u32 v1, s20, v58
	s_delay_alu instid0(VALU_DEP_3) | instskip(NEXT) | instid1(VALU_DEP_2)
	v_and_b32_e32 v24, 12, v9
	v_add_nc_u32_e32 v1, v58, v1
	s_wait_kmcnt 0x0
	s_mul_i32 s20, s33, s41
	s_ashr_i32 s11, s41, 31
	s_delay_alu instid0(VALU_DEP_1)
	v_lshrrev_b32_e32 v1, s21, v1
	s_mov_b32 s10, s41
	s_ashr_i32 s41, s40, 31
	s_lshr_b64 s[10:11], s[10:11], 2
	s_lshr_b64 s[26:27], s[40:41], 2
	v_mul_lo_u32 v1, v1, s22
	v_mul_u64_e32 v[6:7], s[10:11], v[24:25]
	v_and_b32_e32 v25, 0x3ff, v0
	s_ashr_i32 s21, s20, 31
	s_delay_alu instid0(VALU_DEP_1) | instskip(SKIP_2) | instid1(VALU_DEP_3)
	v_dual_lshlrev_b32 v0, 4, v25 :: v_dual_lshlrev_b32 v60, 3, v25
	v_cmp_gt_u32_e32 vcc_lo, 16, v25
	v_dual_mov_b32 v1, v3 :: v_dual_sub_nc_u32 v2, v58, v1
	v_mad_u32_u24 v22, 0x1200, v8, v60
	s_delay_alu instid0(VALU_DEP_2) | instskip(SKIP_1) | instid1(SALU_CYCLE_1)
	v_mul_u64_e32 v[4:5], s[26:27], v[2:3]
	s_mul_i32 s26, s2, s42
	s_ashr_i32 s27, s26, 31
	s_delay_alu instid0(SALU_CYCLE_1) | instskip(NEXT) | instid1(SALU_CYCLE_1)
	s_add_nc_u64 s[4:5], s[4:5], s[26:27]
	s_add_nc_u64 s[4:5], s[4:5], s[20:21]
	s_delay_alu instid0(VALU_DEP_1) | instid1(SALU_CYCLE_1)
	v_lshl_add_u64 v[4:5], v[4:5], 2, s[4:5]
	s_load_b32 s4, s[0:1], 0x40
	s_delay_alu instid0(VALU_DEP_1) | instskip(NEXT) | instid1(VALU_DEP_1)
	v_add_nc_u64_e32 v[0:1], v[4:5], v[0:1]
	v_lshl_add_u64 v[4:5], v[6:7], 2, v[0:1]
	s_clause 0x3
	global_load_b128 v[10:13], v[4:5], off
	global_load_b128 v[14:17], v[4:5], off offset:512
	global_load_b128 v[18:21], v[4:5], off offset:1024
	global_load_b128 v[26:29], v[4:5], off offset:1536
	s_wait_loadcnt 0x3
	s_wait_kmcnt 0x0
	v_fma_mixlo_f16 v6, s4, v10, 0
	v_fma_mixlo_f16 v7, s4, v11, 0
	v_fma_mixlo_f16 v10, s4, v12, 0
	v_fma_mixlo_f16 v11, s4, v13, 0
	s_wait_loadcnt 0x2
	v_fma_mixlo_f16 v12, s4, v14, 0
	v_fma_mixlo_f16 v13, s4, v15, 0
	v_fma_mixlo_f16 v14, s4, v16, 0
	v_fma_mixlo_f16 v15, s4, v17, 0
	s_wait_loadcnt 0x1
	;; [unrolled: 5-line block ×3, first 2 shown]
	v_fma_mixlo_f16 v20, s4, v26, 0
	v_fma_mixlo_f16 v21, s4, v27, 0
	;; [unrolled: 1-line block ×3, first 2 shown]
	v_lshlrev_b32_e32 v7, 16, v7
	v_and_b32_e32 v6, 0xffff, v6
	v_dual_lshlrev_b32 v11, 16, v11 :: v_dual_lshlrev_b32 v13, 16, v13
	v_and_b32_e32 v10, 0xffff, v10
	v_and_b32_e32 v12, 0xffff, v12
	v_fma_mixlo_f16 v23, s4, v28, 0
	v_dual_lshlrev_b32 v15, 16, v15 :: v_dual_lshlrev_b32 v17, 16, v17
	v_and_b32_e32 v14, 0xffff, v14
	v_and_b32_e32 v16, 0xffff, v16
	v_dual_lshlrev_b32 v19, 16, v19 :: v_dual_lshlrev_b32 v21, 16, v21
	v_and_b32_e32 v20, 0xffff, v20
	v_lshlrev_b32_e32 v26, 16, v26
	v_or_b32_e32 v6, v7, v6
	v_or3_b32 v7, v11, v10, 0
	v_or_b32_e32 v10, v13, v12
	v_and_b32_e32 v18, 0xffff, v18
	v_and_b32_e32 v23, 0xffff, v23
	v_or3_b32 v11, v15, v14, 0
	v_or_b32_e32 v12, v17, v16
	v_or_b32_e32 v14, v21, v20
	v_or3_b32 v6, 0, 0, v6
	v_or3_b32 v10, 0, 0, v10
	;; [unrolled: 1-line block ×6, first 2 shown]
	ds_store_2addr_b64 v22, v[6:7], v[10:11] offset1:32
	ds_store_2addr_b64 v22, v[12:13], v[14:15] offset0:64 offset1:96
	s_and_saveexec_b32 s5, vcc_lo
	s_cbranch_execz .LBB0_4
; %bb.3:
	global_load_b128 v[4:7], v[4:5], off offset:2048
	s_wait_loadcnt 0x0
	v_fma_mixlo_f16 v10, s4, v4, 0
	v_mov_b32_e32 v4, v7
	s_delay_alu instid0(VALU_DEP_1) | instskip(NEXT) | instid1(VALU_DEP_1)
	v_pk_mul_f32 v[4:5], s[4:5], v[4:5] op_sel_hi:[0,1]
	v_cvt_pk_f16_f32 v4, v4, v5
	v_fma_mixlo_f16 v5, s4, v6, 0
	v_and_b32_e32 v6, 0xffff, v10
	s_delay_alu instid0(VALU_DEP_3) | instskip(NEXT) | instid1(VALU_DEP_3)
	v_and_b32_e32 v7, 0xffff0000, v4
	v_and_b32_e32 v5, 0xffff, v5
	s_delay_alu instid0(VALU_DEP_2) | instskip(NEXT) | instid1(VALU_DEP_1)
	v_dual_lshlrev_b32 v4, 16, v4 :: v_dual_bitop2_b32 v6, v7, v6 bitop3:0x54
	v_or3_b32 v5, v4, v5, 0
	s_delay_alu instid0(VALU_DEP_2)
	v_or3_b32 v4, 0, 0, v6
	v_add_nc_u32_e32 v6, v60, v61
	ds_store_b64 v6, v[4:5] offset:1024
.LBB0_4:
	s_or_b32 exec_lo, exec_lo, s5
	v_bitop3_b32 v4, v9, 13, 1 bitop3:0xc8
	v_dual_mov_b32 v5, v3 :: v_dual_bitop2_b32 v3, 1, v9 bitop3:0x54
	s_delay_alu instid0(VALU_DEP_1) | instskip(NEXT) | instid1(VALU_DEP_2)
	v_mul_u64_e32 v[4:5], s[10:11], v[4:5]
	v_mul_u32_u24_e32 v22, 0x480, v3
	v_mad_u32_u24 v23, 0x480, v3, v60
	s_delay_alu instid0(VALU_DEP_3)
	v_lshl_add_u64 v[4:5], v[4:5], 2, v[0:1]
	s_clause 0x3
	global_load_b128 v[10:13], v[4:5], off
	global_load_b128 v[14:17], v[4:5], off offset:512
	global_load_b128 v[18:21], v[4:5], off offset:1024
	;; [unrolled: 1-line block ×3, first 2 shown]
	s_wait_loadcnt 0x3
	v_fma_mixlo_f16 v3, s4, v10, 0
	v_fma_mixlo_f16 v6, s4, v11, 0
	;; [unrolled: 1-line block ×4, first 2 shown]
	s_wait_loadcnt 0x2
	v_fma_mixlo_f16 v11, s4, v14, 0
	v_fma_mixlo_f16 v12, s4, v15, 0
	;; [unrolled: 1-line block ×4, first 2 shown]
	s_wait_loadcnt 0x1
	v_fma_mixlo_f16 v15, s4, v18, 0
	v_fma_mixlo_f16 v16, s4, v19, 0
	;; [unrolled: 1-line block ×3, first 2 shown]
	s_wait_loadcnt 0x0
	v_fma_mixlo_f16 v19, s4, v26, 0
	v_fma_mixlo_f16 v20, s4, v27, 0
	;; [unrolled: 1-line block ×4, first 2 shown]
	v_dual_lshlrev_b32 v6, 16, v6 :: v_dual_lshlrev_b32 v12, 16, v12
	v_and_b32_e32 v3, 0xffff, v3
	v_dual_lshlrev_b32 v10, 16, v10 :: v_dual_lshlrev_b32 v16, 16, v16
	v_and_b32_e32 v7, 0xffff, v7
	v_and_b32_e32 v11, 0xffff, v11
	v_fma_mixlo_f16 v21, s4, v28, 0
	v_dual_lshlrev_b32 v14, 16, v14 :: v_dual_lshlrev_b32 v20, 16, v20
	v_and_b32_e32 v13, 0xffff, v13
	v_and_b32_e32 v15, 0xffff, v15
	v_and_b32_e32 v19, 0xffff, v19
	v_dual_lshlrev_b32 v18, 16, v18 :: v_dual_bitop2_b32 v3, v6, v3 bitop3:0x54
	v_lshlrev_b32_e32 v26, 16, v26
	v_or3_b32 v7, v10, v7, 0
	v_or_b32_e32 v10, v12, v11
	v_and_b32_e32 v17, 0xffff, v17
	v_and_b32_e32 v21, 0xffff, v21
	v_or3_b32 v11, v14, v13, 0
	v_or_b32_e32 v12, v16, v15
	v_or_b32_e32 v14, v20, v19
	v_or3_b32 v6, 0, 0, v3
	v_or3_b32 v10, 0, 0, v10
	v_add_nc_u32_e32 v3, v60, v22
	v_or3_b32 v13, v18, v17, 0
	v_or3_b32 v15, v26, v21, 0
	;; [unrolled: 1-line block ×4, first 2 shown]
	ds_store_2addr_b64 v23, v[6:7], v[10:11] offset1:32
	ds_store_2addr_b64 v23, v[12:13], v[14:15] offset0:64 offset1:96
	s_and_saveexec_b32 s5, vcc_lo
	s_cbranch_execz .LBB0_6
; %bb.5:
	global_load_b128 v[4:7], v[4:5], off offset:2048
	s_wait_loadcnt 0x0
	v_fma_mixlo_f16 v10, s4, v4, 0
	v_mov_b32_e32 v4, v7
	s_delay_alu instid0(VALU_DEP_1) | instskip(NEXT) | instid1(VALU_DEP_1)
	v_pk_mul_f32 v[4:5], s[4:5], v[4:5] op_sel_hi:[0,1]
	v_cvt_pk_f16_f32 v4, v4, v5
	v_fma_mixlo_f16 v5, s4, v6, 0
	v_and_b32_e32 v6, 0xffff, v10
	s_delay_alu instid0(VALU_DEP_3) | instskip(NEXT) | instid1(VALU_DEP_3)
	v_and_b32_e32 v7, 0xffff0000, v4
	v_and_b32_e32 v5, 0xffff, v5
	s_delay_alu instid0(VALU_DEP_2) | instskip(NEXT) | instid1(VALU_DEP_1)
	v_dual_lshlrev_b32 v4, 16, v4 :: v_dual_bitop2_b32 v6, v7, v6 bitop3:0x54
	v_or3_b32 v5, v4, v5, 0
	s_delay_alu instid0(VALU_DEP_2)
	v_or3_b32 v4, 0, 0, v6
	ds_store_b64 v3, v[4:5] offset:1024
.LBB0_6:
	s_or_b32 exec_lo, exec_lo, s5
	v_bitop3_b32 v4, v9, 14, 2 bitop3:0xc8
	v_mov_b32_e32 v5, 0
	s_delay_alu instid0(VALU_DEP_1) | instskip(NEXT) | instid1(VALU_DEP_1)
	v_mul_u64_e32 v[6:7], s[10:11], v[4:5]
	v_lshl_add_u64 v[6:7], v[6:7], 2, v[0:1]
	s_clause 0x3
	global_load_b128 v[10:13], v[6:7], off
	global_load_b128 v[14:17], v[6:7], off offset:512
	global_load_b128 v[18:21], v[6:7], off offset:1024
	;; [unrolled: 1-line block ×3, first 2 shown]
	s_wait_loadcnt 0x3
	v_fma_mixlo_f16 v4, s4, v10, 0
	v_fma_mixlo_f16 v10, s4, v11, 0
	v_fma_mixlo_f16 v11, s4, v12, 0
	v_fma_mixlo_f16 v12, s4, v13, 0
	s_wait_loadcnt 0x2
	v_fma_mixlo_f16 v13, s4, v14, 0
	v_fma_mixlo_f16 v14, s4, v15, 0
	v_fma_mixlo_f16 v15, s4, v16, 0
	v_fma_mixlo_f16 v16, s4, v17, 0
	;; [unrolled: 5-line block ×3, first 2 shown]
	s_wait_loadcnt 0x0
	v_fma_mixlo_f16 v21, s4, v26, 0
	v_fma_mixlo_f16 v22, s4, v27, 0
	;; [unrolled: 1-line block ×3, first 2 shown]
	v_lshlrev_b32_e32 v10, 16, v10
	v_and_b32_e32 v4, 0xffff, v4
	v_dual_lshlrev_b32 v12, 16, v12 :: v_dual_lshlrev_b32 v14, 16, v14
	v_and_b32_e32 v11, 0xffff, v11
	v_and_b32_e32 v13, 0xffff, v13
	v_fma_mixlo_f16 v23, s4, v28, 0
	v_dual_lshlrev_b32 v16, 16, v16 :: v_dual_lshlrev_b32 v18, 16, v18
	v_and_b32_e32 v15, 0xffff, v15
	v_and_b32_e32 v17, 0xffff, v17
	v_dual_lshlrev_b32 v20, 16, v20 :: v_dual_lshlrev_b32 v22, 16, v22
	v_and_b32_e32 v21, 0xffff, v21
	v_dual_lshlrev_b32 v26, 16, v26 :: v_dual_bitop2_b32 v4, v10, v4 bitop3:0x54
	v_or3_b32 v11, v12, v11, 0
	v_or_b32_e32 v12, v14, v13
	v_and_b32_e32 v19, 0xffff, v19
	v_and_b32_e32 v23, 0xffff, v23
	v_or3_b32 v13, v16, v15, 0
	v_or_b32_e32 v14, v18, v17
	v_or_b32_e32 v16, v22, v21
	v_or3_b32 v10, 0, 0, v4
	v_or3_b32 v12, 0, 0, v12
	;; [unrolled: 1-line block ×6, first 2 shown]
	ds_store_2addr_b64 v3, v[10:11], v[12:13] offset0:144 offset1:176
	ds_store_2addr_b64 v3, v[14:15], v[16:17] offset0:208 offset1:240
	s_and_saveexec_b32 s5, vcc_lo
	s_cbranch_execz .LBB0_8
; %bb.7:
	global_load_b128 v[10:13], v[6:7], off offset:2048
	s_wait_loadcnt 0x0
	v_fma_mixlo_f16 v4, s4, v10, 0
	v_mov_b32_e32 v10, v13
	s_delay_alu instid0(VALU_DEP_2) | instskip(NEXT) | instid1(VALU_DEP_2)
	v_and_b32_e32 v4, 0xffff, v4
	v_pk_mul_f32 v[6:7], s[4:5], v[10:11] op_sel_hi:[0,1]
	s_delay_alu instid0(VALU_DEP_1) | instskip(SKIP_1) | instid1(VALU_DEP_2)
	v_cvt_pk_f16_f32 v6, v6, v7
	v_fma_mixlo_f16 v7, s4, v12, 0
	v_and_b32_e32 v10, 0xffff0000, v6
	s_delay_alu instid0(VALU_DEP_2) | instskip(NEXT) | instid1(VALU_DEP_2)
	v_and_b32_e32 v7, 0xffff, v7
	v_dual_lshlrev_b32 v6, 16, v6 :: v_dual_bitop2_b32 v4, v10, v4 bitop3:0x54
	s_delay_alu instid0(VALU_DEP_1) | instskip(NEXT) | instid1(VALU_DEP_2)
	v_or3_b32 v7, v6, v7, 0
	v_or3_b32 v6, 0, 0, v4
	ds_store_b64 v3, v[6:7] offset:2176
.LBB0_8:
	s_or_b32 exec_lo, exec_lo, s5
	v_bitop3_b32 v4, v9, 15, 3 bitop3:0xc8
	v_add_nc_u32_e32 v22, 0x800, v3
	s_delay_alu instid0(VALU_DEP_2) | instskip(NEXT) | instid1(VALU_DEP_1)
	v_mul_u64_e32 v[4:5], s[10:11], v[4:5]
	v_lshl_add_u64 v[0:1], v[4:5], 2, v[0:1]
	s_clause 0x3
	global_load_b128 v[4:7], v[0:1], off
	global_load_b128 v[10:13], v[0:1], off offset:512
	global_load_b128 v[14:17], v[0:1], off offset:1024
	;; [unrolled: 1-line block ×3, first 2 shown]
	s_wait_loadcnt 0x3
	v_fma_mixlo_f16 v4, s4, v4, 0
	v_fma_mixlo_f16 v5, s4, v5, 0
	;; [unrolled: 1-line block ×4, first 2 shown]
	s_wait_loadcnt 0x2
	v_fma_mixlo_f16 v10, s4, v10, 0
	v_fma_mixlo_f16 v11, s4, v11, 0
	;; [unrolled: 1-line block ×4, first 2 shown]
	s_wait_loadcnt 0x1
	v_fma_mixlo_f16 v14, s4, v14, 0
	v_fma_mixlo_f16 v15, s4, v15, 0
	s_wait_loadcnt 0x0
	v_fma_mixlo_f16 v18, s4, v18, 0
	v_fma_mixlo_f16 v19, s4, v19, 0
	v_dual_lshlrev_b32 v5, 16, v5 :: v_dual_lshlrev_b32 v7, 16, v7
	v_and_b32_e32 v4, 0xffff, v4
	v_and_b32_e32 v6, 0xffff, v6
	v_dual_lshlrev_b32 v11, 16, v11 :: v_dual_lshlrev_b32 v13, 16, v13
	v_and_b32_e32 v10, 0xffff, v10
	v_fma_mixlo_f16 v16, s4, v16, 0
	v_fma_mixlo_f16 v17, s4, v17, 0
	;; [unrolled: 1-line block ×4, first 2 shown]
	v_and_b32_e32 v12, 0xffff, v12
	s_delay_alu instid0(VALU_DEP_4) | instskip(SKIP_1) | instid1(VALU_DEP_4)
	v_dual_lshlrev_b32 v15, 16, v15 :: v_dual_lshlrev_b32 v17, 16, v17
	v_and_b32_e32 v14, 0xffff, v14
	v_dual_lshlrev_b32 v19, 16, v19 :: v_dual_lshlrev_b32 v21, 16, v21
	v_and_b32_e32 v18, 0xffff, v18
	v_or_b32_e32 v4, v5, v4
	v_or3_b32 v5, v7, v6, 0
	v_or_b32_e32 v6, v11, v10
	v_and_b32_e32 v16, 0xffff, v16
	v_and_b32_e32 v20, 0xffff, v20
	v_or3_b32 v7, v13, v12, 0
	v_or_b32_e32 v10, v15, v14
	v_or_b32_e32 v12, v19, v18
	v_or3_b32 v4, 0, 0, v4
	v_or3_b32 v6, 0, 0, v6
	;; [unrolled: 1-line block ×6, first 2 shown]
	ds_store_2addr_b64 v22, v[4:5], v[6:7] offset0:32 offset1:64
	ds_store_2addr_b64 v22, v[10:11], v[12:13] offset0:96 offset1:128
	s_and_saveexec_b32 s5, vcc_lo
	s_cbranch_execz .LBB0_10
; %bb.9:
	global_load_b128 v[4:7], v[0:1], off offset:2048
	s_wait_loadcnt 0x0
	v_fma_mixlo_f16 v10, s4, v4, 0
	v_mov_b32_e32 v4, v7
	s_delay_alu instid0(VALU_DEP_1) | instskip(NEXT) | instid1(VALU_DEP_3)
	v_pk_mul_f32 v[0:1], s[4:5], v[4:5] op_sel_hi:[0,1]
	v_and_b32_e32 v4, 0xffff, v10
	s_delay_alu instid0(VALU_DEP_2) | instskip(SKIP_1) | instid1(VALU_DEP_2)
	v_cvt_pk_f16_f32 v0, v0, v1
	v_fma_mixlo_f16 v1, s4, v6, 0
	v_and_b32_e32 v5, 0xffff0000, v0
	s_delay_alu instid0(VALU_DEP_2) | instskip(SKIP_1) | instid1(VALU_DEP_3)
	v_and_b32_e32 v1, 0xffff, v1
	v_lshlrev_b32_e32 v0, 16, v0
	v_or_b32_e32 v4, v5, v4
	s_delay_alu instid0(VALU_DEP_2) | instskip(NEXT) | instid1(VALU_DEP_2)
	v_or3_b32 v1, v0, v1, 0
	v_or3_b32 v0, 0, 0, v4
	ds_store_b64 v3, v[0:1] offset:3328
.LBB0_10:
	s_or_b32 exec_lo, exec_lo, s5
	s_cmp_eq_u64 s[14:15], 0
	s_wait_dscnt 0x0
	s_barrier_signal -1
	s_barrier_wait -1
	s_cbranch_scc1 .LBB0_12
; %bb.11:
	s_load_b32 s4, s[0:1], 0xd0
	s_wait_kmcnt 0x0
	s_mul_i32 s4, s4, s2
	s_delay_alu instid0(SALU_CYCLE_1)
	s_add_co_i32 s4, s4, s25
	s_load_b32 s28, s[14:15], s4 offset:0x0 scale_offset
.LBB0_12:
	s_wait_xcnt 0x0
	s_bfe_u32 s4, ttmp6, 0x40010
	s_and_b32 s5, ttmp7, 0xffff
	s_add_co_i32 s4, s4, 1
	s_bfe_u32 s10, ttmp6, 0x40004
	s_mul_i32 s4, s5, s4
	v_lshlrev_b32_e32 v59, 2, v25
	s_add_co_i32 s10, s10, s4
	s_cmp_eq_u32 s24, 0
	v_mbcnt_lo_u32_b32 v62, -1, 0
	s_cselect_b32 s29, s5, s10
	s_mov_b32 s5, 0
	s_lshl_b32 s4, s29, 7
	s_wait_kmcnt 0x0
	s_cmp_lt_i32 s4, s28
	s_cbranch_scc1 .LBB0_15
; %bb.13:
	v_mbcnt_lo_u32_b32 v5, -1, 0
	s_delay_alu instid0(VALU_DEP_1)
	v_dual_mov_b32 v4, 32 :: v_dual_bitop2_b32 v74, 16, v5 bitop3:0x14
	v_xor_b32_e32 v75, 8, v5
	v_xor_b32_e32 v76, 4, v5
	;; [unrolled: 1-line block ×4, first 2 shown]
	s_and_not1_b32 vcc_lo, exec_lo, s5
	s_mov_b32 s11, 0
	s_cbranch_vccz .LBB0_16
; %bb.14:
	v_dual_mov_b32 v105, 0 :: v_dual_mov_b32 v27, 0
	v_dual_mov_b32 v3, 0xfeffffff :: v_dual_mov_b32 v2, 0xfeffffff
	v_dual_mov_b32 v1, 0xfeffffff :: v_dual_mov_b32 v0, 0xfeffffff
	s_delay_alu instid0(VALU_DEP_3)
	v_dual_mov_b32 v26, v27 :: v_dual_mov_b32 v29, v27
	v_dual_mov_b32 v28, v27 :: v_dual_mov_b32 v109, 0
	;; [unrolled: 1-line block ×17, first 2 shown]
	s_branch .LBB0_24
.LBB0_15:
                                        ; implicit-def: $vgpr5
                                        ; implicit-def: $vgpr4
                                        ; implicit-def: $vgpr74
                                        ; implicit-def: $vgpr75
                                        ; implicit-def: $vgpr76
                                        ; implicit-def: $vgpr77
                                        ; implicit-def: $vgpr78
	s_mov_b32 s11, 0
.LBB0_16:
	s_clause 0x1
	s_load_b64 s[20:21], s[0:1], 0x8c
	s_load_b128 s[24:27], s[0:1], 0x98
	s_mul_f32 s5, s34, 0x4f7ffffe
	s_sub_co_i32 s10, 0, s38
	s_ashr_i32 s39, s3, 31
	s_abs_i32 s34, s33
	s_cvt_u32_f32 s5, s5
	s_mov_b32 s15, s35
	s_ashr_i32 s36, s33, 31
	s_load_b64 s[40:41], s[0:1], 0xa8
	s_mul_i32 s10, s10, s5
	v_dual_mov_b32 v95, 0 :: v_dual_mov_b32 v93, 0
	s_mul_hi_u32 s3, s5, s10
	v_dual_mov_b32 v92, 0 :: v_dual_mov_b32 v91, 0
	s_add_co_i32 s14, s5, s3
	s_ashr_i32 s5, s37, 1
	s_mul_u64 s[14:15], s[34:35], s[14:15]
	s_ashr_i32 s3, s2, 31
	s_mul_i32 s10, s15, s38
	s_xor_b32 s35, s36, s39
	s_sub_co_i32 s10, s34, s10
	s_wait_kmcnt 0x0
	s_ashr_i32 s14, s26, 2
	s_ashr_i32 s20, s20, 2
	s_add_co_i32 s26, s15, 1
	s_sub_co_i32 s34, s10, s38
	s_cmp_ge_u32 s10, s38
	s_mul_u64 s[24:25], s[24:25], s[2:3]
	s_cselect_b32 s15, s26, s15
	s_cselect_b32 s10, s34, s10
	s_add_co_i32 s26, s15, 1
	s_cmp_ge_u32 s10, s38
	s_add_nc_u64 s[6:7], s[6:7], s[24:25]
	s_cselect_b32 s10, s26, s15
	v_mul_lo_u32 v12, s14, v8
	s_xor_b32 s10, s10, s35
	v_mad_u32 v68, v2, s5, v25
	s_sub_co_i32 s10, s10, s35
	v_dual_mov_b32 v90, 0 :: v_dual_mov_b32 v96, 0
	s_mul_i32 s24, s10, s21
	s_mul_i32 s26, s10, s27
	s_ashr_i32 s25, s24, 31
	s_mov_b32 s10, 0x9000
	s_add_nc_u64 s[6:7], s[6:7], s[24:25]
	s_mul_u64 s[24:25], s[40:41], s[2:3]
	s_lshl_b32 s3, s20, 5
	v_dual_mov_b32 v31, 0 :: v_dual_lshrrev_b32 v0, 3, v25
	v_lshl_add_u32 v2, s14, 3, v12
	v_mad_u32_u24 v67, 0x90, v25, s10
	s_delay_alu instid0(VALU_DEP_3) | instskip(SKIP_3) | instid1(VALU_DEP_4)
	v_dual_mov_b32 v87, 0 :: v_dual_add_nc_u32 v1, v0, v9
	v_dual_mov_b32 v89, 0 :: v_dual_bitop2_b32 v0, 28, v59 bitop3:0x40
	v_dual_mov_b32 v103, 0 :: v_dual_mov_b32 v102, 0
	v_mov_b32_e32 v101, 0
	v_mul_lo_u32 v4, s20, v1
	s_delay_alu instid0(VALU_DEP_4) | instskip(SKIP_2) | instid1(VALU_DEP_3)
	v_dual_lshlrev_b32 v3, 2, v0 :: v_dual_lshlrev_b32 v34, 2, v0
	v_dual_mov_b32 v35, v31 :: v_dual_mov_b32 v86, 0
	v_mov_b32_e32 v85, 0
	v_mad_u32_u24 v1, 0x90, v1, v3
	v_dual_mov_b32 v84, 0 :: v_dual_lshlrev_b32 v3, 10, v8
	v_dual_mov_b32 v100, 0 :: v_dual_mov_b32 v99, 0
	v_dual_add_nc_u32 v6, s3, v4 :: v_dual_ashrrev_i32 v5, 31, v4
	s_delay_alu instid0(VALU_DEP_4) | instskip(SKIP_2) | instid1(VALU_DEP_4)
	v_add_nc_u32_e32 v63, 0x9000, v1
	v_add_nc_u32_e32 v64, 0xa200, v1
	;; [unrolled: 1-line block ×3, first 2 shown]
	v_dual_add_nc_u32 v10, s3, v6 :: v_dual_ashrrev_i32 v7, 31, v6
	v_add_nc_u32_e32 v66, 0xc600, v1
	v_lshl_add_u32 v1, v59, 2, v3
	v_dual_mov_b32 v82, 0 :: v_dual_add_nc_u32 v69, 0xd800, v3
	s_delay_alu instid0(VALU_DEP_4) | instskip(SKIP_1) | instid1(VALU_DEP_2)
	v_dual_add_nc_u32 v14, s3, v10 :: v_dual_ashrrev_i32 v11, 31, v10
	v_dual_ashrrev_i32 v13, 31, v12 :: v_dual_ashrrev_i32 v3, 31, v2
	v_dual_mov_b32 v46, 0xfeffffff :: v_dual_ashrrev_i32 v15, 31, v14
	v_lshlrev_b64_e32 v[32:33], 2, v[4:5]
	v_lshlrev_b64_e32 v[36:37], 2, v[6:7]
	;; [unrolled: 1-line block ×6, first 2 shown]
	v_dual_mov_b32 v81, 0 :: v_dual_add_nc_u32 v70, 0x9000, v1
	v_dual_mov_b32 v88, 0 :: v_dual_add_nc_u32 v71, 0x9200, v1
	;; [unrolled: 1-line block ×4, first 2 shown]
	v_dual_mov_b32 v98, 0 :: v_dual_mov_b32 v104, 0
	v_dual_mov_b32 v97, 0 :: v_dual_mov_b32 v110, 0
	;; [unrolled: 1-line block ×9, first 2 shown]
	s_add_nc_u64 s[8:9], s[8:9], s[24:25]
	s_ashr_i32 s27, s26, 31
	s_ashr_i32 s21, s20, 31
	s_add_nc_u64 s[8:9], s[8:9], s[26:27]
	s_ashr_i32 s15, s14, 31
	s_add_nc_u64 s[24:25], s[0:1], 0xd0
.LBB0_17:                               ; =>This Loop Header: Depth=1
                                        ;     Child Loop BB0_19 Depth 2
	s_ashr_i32 s5, s4, 31
	v_dual_mov_b32 v56, 0 :: v_dual_mov_b32 v53, 0
	s_mul_u64 s[26:27], s[4:5], s[20:21]
	v_dual_mov_b32 v51, 0 :: v_dual_mov_b32 v50, 0
	v_dual_mov_b32 v77, 0 :: v_dual_mov_b32 v57, 0
	;; [unrolled: 1-line block ×7, first 2 shown]
	s_lshl_b64 s[26:27], s[26:27], 2
	s_mov_b32 s3, 0
	s_add_nc_u64 s[26:27], s[6:7], s[26:27]
	s_branch .LBB0_19
.LBB0_18:                               ;   in Loop: Header=BB0_19 Depth=2
	s_and_not1_b32 vcc_lo, exec_lo, s10
	s_cbranch_vccz .LBB0_21
.LBB0_19:                               ;   Parent Loop BB0_17 Depth=1
                                        ; =>  This Inner Loop Header: Depth=2
	s_lshr_b32 s10, s3, 1
	s_add_co_i32 s36, s3, 64
	s_lshl_b64 s[34:35], s[10:11], 2
	s_lshr_b32 s10, s36, 1
	s_add_nc_u64 s[34:35], s[26:27], s[34:35]
	s_delay_alu instid0(SALU_CYCLE_1) | instskip(SKIP_4) | instid1(SALU_CYCLE_1)
	v_add_nc_u64_e32 v[0:1], s[34:35], v[32:33]
	v_add_nc_u64_e32 v[2:3], s[34:35], v[36:37]
	;; [unrolled: 1-line block ×4, first 2 shown]
	s_lshl_b64 s[34:35], s[10:11], 2
	s_add_nc_u64 s[34:35], s[26:27], s[34:35]
	s_delay_alu instid0(VALU_DEP_4) | instskip(NEXT) | instid1(VALU_DEP_4)
	v_add_nc_u64_e32 v[16:17], v[0:1], v[34:35]
	v_add_nc_u64_e32 v[18:19], v[2:3], v[34:35]
	s_delay_alu instid0(VALU_DEP_4) | instskip(NEXT) | instid1(VALU_DEP_4)
	v_add_nc_u64_e32 v[20:21], v[4:5], v[34:35]
	v_add_nc_u64_e32 v[22:23], v[6:7], v[34:35]
	s_clause 0x3
	global_load_b128 v[0:3], v[16:17], off
	global_load_b128 v[4:7], v[18:19], off
	;; [unrolled: 1-line block ×4, first 2 shown]
	s_wait_xcnt 0x1
	v_lshl_add_u32 v20, s3, 1, v61
	s_wait_xcnt 0x0
	v_add_nc_u64_e32 v[22:23], s[34:35], v[32:33]
	s_wait_loadcnt 0x3
	ds_store_b128 v63, v[0:3]
	s_wait_loadcnt 0x2
	ds_store_b128 v64, v[4:7]
	;; [unrolled: 2-line block ×4, first 2 shown]
	s_wait_dscnt 0x0
	s_barrier_signal -1
	s_barrier_wait -1
	ds_load_b128 v[0:3], v67
	ds_load_b128 v[4:7], v20
	ds_load_b128 v[8:11], v20 offset:1152
	ds_load_b128 v[12:15], v20 offset:2304
	;; [unrolled: 1-line block ×6, first 2 shown]
	s_wait_dscnt 0x6
	;;#ASMSTART
	v_dot2_f32_f16 v56, v0, v4, v56
	;;#ASMEND
	;;#ASMSTART
	v_dot2_f32_f16 v56, v1, v5, v56
	;;#ASMEND
	;;#ASMSTART
	v_dot2_f32_f16 v56, v2, v6, v56
	;;#ASMEND
	;;#ASMSTART
	v_dot2_f32_f16 v56, v3, v7, v56
	;;#ASMEND
	s_wait_dscnt 0x5
	;;#ASMSTART
	v_dot2_f32_f16 v53, v0, v8, v53
	;;#ASMEND
	;;#ASMSTART
	v_dot2_f32_f16 v53, v1, v9, v53
	;;#ASMEND
	;;#ASMSTART
	v_dot2_f32_f16 v53, v2, v10, v53
	;;#ASMEND
	;;#ASMSTART
	v_dot2_f32_f16 v53, v3, v11, v53
	;;#ASMEND
	;; [unrolled: 13-line block ×5, first 2 shown]
	;;#ASMSTART
	v_dot2_f32_f16 v57, v116, v8, v57
	;;#ASMEND
	;;#ASMSTART
	v_dot2_f32_f16 v57, v117, v9, v57
	;;#ASMEND
	;; [unrolled: 3-line block ×12, first 2 shown]
	s_wait_dscnt 0x1
	;;#ASMSTART
	v_dot2_f32_f16 v80, v120, v4, v80
	;;#ASMEND
	;;#ASMSTART
	v_dot2_f32_f16 v80, v121, v5, v80
	;;#ASMEND
	;;#ASMSTART
	v_dot2_f32_f16 v80, v122, v6, v80
	;;#ASMEND
	;;#ASMSTART
	v_dot2_f32_f16 v80, v123, v7, v80
	;;#ASMEND
	;;#ASMSTART
	v_dot2_f32_f16 v78, v120, v8, v78
	;;#ASMEND
	;;#ASMSTART
	v_dot2_f32_f16 v78, v121, v9, v78
	;;#ASMEND
	;;#ASMSTART
	v_dot2_f32_f16 v78, v122, v10, v78
	;;#ASMEND
	;;#ASMSTART
	v_dot2_f32_f16 v78, v123, v11, v78
	;;#ASMEND
	;;#ASMSTART
	v_dot2_f32_f16 v75, v120, v12, v75
	;;#ASMEND
	;;#ASMSTART
	v_dot2_f32_f16 v75, v121, v13, v75
	;;#ASMEND
	;;#ASMSTART
	v_dot2_f32_f16 v75, v122, v14, v75
	;;#ASMEND
	;;#ASMSTART
	v_dot2_f32_f16 v75, v123, v15, v75
	;;#ASMEND
	;;#ASMSTART
	v_dot2_f32_f16 v55, v120, v16, v55
	;;#ASMEND
	;;#ASMSTART
	v_dot2_f32_f16 v55, v121, v17, v55
	;;#ASMEND
	;;#ASMSTART
	v_dot2_f32_f16 v55, v122, v18, v55
	;;#ASMEND
	;;#ASMSTART
	v_dot2_f32_f16 v55, v123, v19, v55
	;;#ASMEND
	s_wait_dscnt 0x0
	;;#ASMSTART
	v_dot2_f32_f16 v114, v124, v4, v114
	;;#ASMEND
	;;#ASMSTART
	v_dot2_f32_f16 v114, v125, v5, v114
	;;#ASMEND
	;; [unrolled: 3-line block ×16, first 2 shown]
	ds_load_b128 v[0:3], v67 offset:16
	ds_load_b128 v[4:7], v20 offset:16
	;; [unrolled: 1-line block ×8, first 2 shown]
	s_wait_dscnt 0x6
	;;#ASMSTART
	v_dot2_f32_f16 v56, v0, v4, v56
	;;#ASMEND
	;;#ASMSTART
	v_dot2_f32_f16 v56, v1, v5, v56
	;;#ASMEND
	;;#ASMSTART
	v_dot2_f32_f16 v56, v2, v6, v56
	;;#ASMEND
	;;#ASMSTART
	v_dot2_f32_f16 v56, v3, v7, v56
	;;#ASMEND
	s_wait_dscnt 0x5
	;;#ASMSTART
	v_dot2_f32_f16 v53, v0, v8, v53
	;;#ASMEND
	;;#ASMSTART
	v_dot2_f32_f16 v53, v1, v9, v53
	;;#ASMEND
	;;#ASMSTART
	v_dot2_f32_f16 v53, v2, v10, v53
	;;#ASMEND
	;;#ASMSTART
	v_dot2_f32_f16 v53, v3, v11, v53
	;;#ASMEND
	;; [unrolled: 13-line block ×5, first 2 shown]
	;;#ASMSTART
	v_dot2_f32_f16 v57, v116, v8, v57
	;;#ASMEND
	;;#ASMSTART
	v_dot2_f32_f16 v57, v117, v9, v57
	;;#ASMEND
	;; [unrolled: 3-line block ×12, first 2 shown]
	s_wait_dscnt 0x1
	;;#ASMSTART
	v_dot2_f32_f16 v80, v120, v4, v80
	;;#ASMEND
	;;#ASMSTART
	v_dot2_f32_f16 v80, v121, v5, v80
	;;#ASMEND
	;; [unrolled: 3-line block ×16, first 2 shown]
	s_wait_dscnt 0x0
	;;#ASMSTART
	v_dot2_f32_f16 v114, v124, v4, v114
	;;#ASMEND
	;;#ASMSTART
	v_dot2_f32_f16 v114, v125, v5, v114
	;;#ASMEND
	;; [unrolled: 3-line block ×16, first 2 shown]
	ds_load_b128 v[0:3], v67 offset:32
	ds_load_b128 v[4:7], v20 offset:32
	;; [unrolled: 1-line block ×8, first 2 shown]
	s_wait_dscnt 0x6
	;;#ASMSTART
	v_dot2_f32_f16 v56, v0, v4, v56
	;;#ASMEND
	;;#ASMSTART
	v_dot2_f32_f16 v56, v1, v5, v56
	;;#ASMEND
	;;#ASMSTART
	v_dot2_f32_f16 v56, v2, v6, v56
	;;#ASMEND
	;;#ASMSTART
	v_dot2_f32_f16 v56, v3, v7, v56
	;;#ASMEND
	s_wait_dscnt 0x5
	;;#ASMSTART
	v_dot2_f32_f16 v53, v0, v8, v53
	;;#ASMEND
	;;#ASMSTART
	v_dot2_f32_f16 v53, v1, v9, v53
	;;#ASMEND
	;;#ASMSTART
	v_dot2_f32_f16 v53, v2, v10, v53
	;;#ASMEND
	;;#ASMSTART
	v_dot2_f32_f16 v53, v3, v11, v53
	;;#ASMEND
	;; [unrolled: 13-line block ×5, first 2 shown]
	;;#ASMSTART
	v_dot2_f32_f16 v57, v116, v8, v57
	;;#ASMEND
	;;#ASMSTART
	v_dot2_f32_f16 v57, v117, v9, v57
	;;#ASMEND
	;; [unrolled: 3-line block ×12, first 2 shown]
	s_wait_dscnt 0x1
	;;#ASMSTART
	v_dot2_f32_f16 v80, v120, v4, v80
	;;#ASMEND
	;;#ASMSTART
	v_dot2_f32_f16 v80, v121, v5, v80
	;;#ASMEND
	;; [unrolled: 3-line block ×16, first 2 shown]
	s_wait_dscnt 0x0
	;;#ASMSTART
	v_dot2_f32_f16 v114, v124, v4, v114
	;;#ASMEND
	;;#ASMSTART
	v_dot2_f32_f16 v114, v125, v5, v114
	;;#ASMEND
	;; [unrolled: 3-line block ×16, first 2 shown]
	ds_load_b128 v[0:3], v67 offset:48
	ds_load_b128 v[4:7], v20 offset:48
	;; [unrolled: 1-line block ×8, first 2 shown]
	s_wait_dscnt 0x6
	;;#ASMSTART
	v_dot2_f32_f16 v56, v0, v4, v56
	;;#ASMEND
	;;#ASMSTART
	v_dot2_f32_f16 v56, v1, v5, v56
	;;#ASMEND
	;;#ASMSTART
	v_dot2_f32_f16 v56, v2, v6, v56
	;;#ASMEND
	;;#ASMSTART
	v_dot2_f32_f16 v56, v3, v7, v56
	;;#ASMEND
	s_wait_dscnt 0x5
	;;#ASMSTART
	v_dot2_f32_f16 v53, v0, v8, v53
	;;#ASMEND
	;;#ASMSTART
	v_dot2_f32_f16 v53, v1, v9, v53
	;;#ASMEND
	;;#ASMSTART
	v_dot2_f32_f16 v53, v2, v10, v53
	;;#ASMEND
	;;#ASMSTART
	v_dot2_f32_f16 v53, v3, v11, v53
	;;#ASMEND
	s_wait_dscnt 0x4
	;;#ASMSTART
	v_dot2_f32_f16 v51, v0, v12, v51
	;;#ASMEND
	;;#ASMSTART
	v_dot2_f32_f16 v51, v1, v13, v51
	;;#ASMEND
	;;#ASMSTART
	v_dot2_f32_f16 v51, v2, v14, v51
	;;#ASMEND
	;;#ASMSTART
	v_dot2_f32_f16 v51, v3, v15, v51
	;;#ASMEND
	s_wait_dscnt 0x3
	;;#ASMSTART
	v_dot2_f32_f16 v50, v0, v16, v50
	;;#ASMEND
	;;#ASMSTART
	v_dot2_f32_f16 v50, v1, v17, v50
	;;#ASMEND
	;;#ASMSTART
	v_dot2_f32_f16 v50, v2, v18, v50
	;;#ASMEND
	;;#ASMSTART
	v_dot2_f32_f16 v50, v3, v19, v50
	;;#ASMEND
	s_wait_dscnt 0x2
	;;#ASMSTART
	v_dot2_f32_f16 v77, v116, v4, v77
	;;#ASMEND
	;;#ASMSTART
	v_dot2_f32_f16 v77, v117, v5, v77
	;;#ASMEND
	;;#ASMSTART
	v_dot2_f32_f16 v77, v118, v6, v77
	;;#ASMEND
	;;#ASMSTART
	v_dot2_f32_f16 v77, v119, v7, v77
	;;#ASMEND
	;;#ASMSTART
	v_dot2_f32_f16 v57, v116, v8, v57
	;;#ASMEND
	;;#ASMSTART
	v_dot2_f32_f16 v57, v117, v9, v57
	;;#ASMEND
	;; [unrolled: 3-line block ×12, first 2 shown]
	s_wait_dscnt 0x1
	;;#ASMSTART
	v_dot2_f32_f16 v80, v120, v4, v80
	;;#ASMEND
	;;#ASMSTART
	v_dot2_f32_f16 v80, v121, v5, v80
	;;#ASMEND
	;; [unrolled: 3-line block ×16, first 2 shown]
	s_wait_dscnt 0x0
	;;#ASMSTART
	v_dot2_f32_f16 v114, v124, v4, v114
	;;#ASMEND
	;;#ASMSTART
	v_dot2_f32_f16 v114, v125, v5, v114
	;;#ASMEND
	;; [unrolled: 3-line block ×16, first 2 shown]
	ds_load_b128 v[0:3], v67 offset:64
	ds_load_b128 v[4:7], v20 offset:64
	;; [unrolled: 1-line block ×8, first 2 shown]
	s_wait_dscnt 0x6
	;;#ASMSTART
	v_dot2_f32_f16 v56, v0, v4, v56
	;;#ASMEND
	;;#ASMSTART
	v_dot2_f32_f16 v56, v1, v5, v56
	;;#ASMEND
	;;#ASMSTART
	v_dot2_f32_f16 v56, v2, v6, v56
	;;#ASMEND
	;;#ASMSTART
	v_dot2_f32_f16 v56, v3, v7, v56
	;;#ASMEND
	s_wait_dscnt 0x5
	;;#ASMSTART
	v_dot2_f32_f16 v53, v0, v8, v53
	;;#ASMEND
	;;#ASMSTART
	v_dot2_f32_f16 v53, v1, v9, v53
	;;#ASMEND
	;;#ASMSTART
	v_dot2_f32_f16 v53, v2, v10, v53
	;;#ASMEND
	;;#ASMSTART
	v_dot2_f32_f16 v53, v3, v11, v53
	;;#ASMEND
	;; [unrolled: 13-line block ×5, first 2 shown]
	;;#ASMSTART
	v_dot2_f32_f16 v57, v116, v8, v57
	;;#ASMEND
	;;#ASMSTART
	v_dot2_f32_f16 v57, v117, v9, v57
	;;#ASMEND
	;; [unrolled: 3-line block ×12, first 2 shown]
	s_wait_dscnt 0x1
	;;#ASMSTART
	v_dot2_f32_f16 v80, v120, v4, v80
	;;#ASMEND
	;;#ASMSTART
	v_dot2_f32_f16 v80, v121, v5, v80
	;;#ASMEND
	;; [unrolled: 3-line block ×16, first 2 shown]
	s_wait_dscnt 0x0
	;;#ASMSTART
	v_dot2_f32_f16 v114, v124, v4, v114
	;;#ASMEND
	;;#ASMSTART
	v_dot2_f32_f16 v114, v125, v5, v114
	;;#ASMEND
	;; [unrolled: 3-line block ×16, first 2 shown]
	ds_load_b128 v[0:3], v67 offset:80
	ds_load_b128 v[4:7], v20 offset:80
	;; [unrolled: 1-line block ×8, first 2 shown]
	s_wait_dscnt 0x6
	;;#ASMSTART
	v_dot2_f32_f16 v56, v0, v4, v56
	;;#ASMEND
	;;#ASMSTART
	v_dot2_f32_f16 v56, v1, v5, v56
	;;#ASMEND
	;;#ASMSTART
	v_dot2_f32_f16 v56, v2, v6, v56
	;;#ASMEND
	;;#ASMSTART
	v_dot2_f32_f16 v56, v3, v7, v56
	;;#ASMEND
	s_wait_dscnt 0x5
	;;#ASMSTART
	v_dot2_f32_f16 v53, v0, v8, v53
	;;#ASMEND
	;;#ASMSTART
	v_dot2_f32_f16 v53, v1, v9, v53
	;;#ASMEND
	;;#ASMSTART
	v_dot2_f32_f16 v53, v2, v10, v53
	;;#ASMEND
	;;#ASMSTART
	v_dot2_f32_f16 v53, v3, v11, v53
	;;#ASMEND
	;; [unrolled: 13-line block ×5, first 2 shown]
	;;#ASMSTART
	v_dot2_f32_f16 v57, v116, v8, v57
	;;#ASMEND
	;;#ASMSTART
	v_dot2_f32_f16 v57, v117, v9, v57
	;;#ASMEND
	;; [unrolled: 3-line block ×12, first 2 shown]
	s_wait_dscnt 0x1
	;;#ASMSTART
	v_dot2_f32_f16 v80, v120, v4, v80
	;;#ASMEND
	;;#ASMSTART
	v_dot2_f32_f16 v80, v121, v5, v80
	;;#ASMEND
	;; [unrolled: 3-line block ×16, first 2 shown]
	s_wait_dscnt 0x0
	;;#ASMSTART
	v_dot2_f32_f16 v114, v124, v4, v114
	;;#ASMEND
	;;#ASMSTART
	v_dot2_f32_f16 v114, v125, v5, v114
	;;#ASMEND
	;; [unrolled: 3-line block ×16, first 2 shown]
	ds_load_b128 v[16:19], v67 offset:96
	ds_load_b128 v[0:3], v20 offset:96
	;; [unrolled: 1-line block ×8, first 2 shown]
	s_wait_dscnt 0x6
	;;#ASMSTART
	v_dot2_f32_f16 v56, v16, v0, v56
	;;#ASMEND
	;;#ASMSTART
	v_dot2_f32_f16 v56, v17, v1, v56
	;;#ASMEND
	;;#ASMSTART
	v_dot2_f32_f16 v56, v18, v2, v56
	;;#ASMEND
	;;#ASMSTART
	v_dot2_f32_f16 v56, v19, v3, v56
	;;#ASMEND
	s_wait_dscnt 0x5
	;;#ASMSTART
	v_dot2_f32_f16 v53, v16, v4, v53
	;;#ASMEND
	;;#ASMSTART
	v_dot2_f32_f16 v53, v17, v5, v53
	;;#ASMEND
	;;#ASMSTART
	v_dot2_f32_f16 v53, v18, v6, v53
	;;#ASMEND
	;;#ASMSTART
	v_dot2_f32_f16 v53, v19, v7, v53
	;;#ASMEND
	;; [unrolled: 13-line block ×5, first 2 shown]
	;;#ASMSTART
	v_dot2_f32_f16 v57, v116, v4, v57
	;;#ASMEND
	;;#ASMSTART
	v_dot2_f32_f16 v57, v117, v5, v57
	;;#ASMEND
	;; [unrolled: 3-line block ×12, first 2 shown]
	s_wait_dscnt 0x1
	;;#ASMSTART
	v_dot2_f32_f16 v80, v120, v0, v80
	;;#ASMEND
	;;#ASMSTART
	v_dot2_f32_f16 v80, v121, v1, v80
	;;#ASMEND
	;; [unrolled: 3-line block ×16, first 2 shown]
	s_wait_dscnt 0x0
	;;#ASMSTART
	v_dot2_f32_f16 v114, v124, v0, v114
	;;#ASMEND
	;;#ASMSTART
	v_dot2_f32_f16 v114, v125, v1, v114
	;;#ASMEND
	;; [unrolled: 3-line block ×16, first 2 shown]
	ds_load_b128 v[0:3], v67 offset:112
	ds_load_b128 v[4:7], v20 offset:112
	v_add_nc_u64_e32 v[116:117], s[34:35], v[36:37]
	v_add_nc_u64_e32 v[118:119], s[34:35], v[38:39]
	;; [unrolled: 1-line block ×3, first 2 shown]
	ds_load_b128 v[8:11], v20 offset:1264
	ds_load_b128 v[12:15], v20 offset:2416
	;; [unrolled: 1-line block ×3, first 2 shown]
	v_add_nc_u64_e32 v[124:125], v[22:23], v[34:35]
	v_add_nc_u64_e32 v[126:127], v[116:117], v[34:35]
	;; [unrolled: 1-line block ×3, first 2 shown]
	ds_load_b128 v[20:23], v67 offset:4720
	v_add_nc_u64_e32 v[130:131], v[120:121], v[34:35]
	ds_load_b128 v[116:119], v67 offset:9328
	ds_load_b128 v[120:123], v67 offset:13936
	s_wait_dscnt 0x6
	;;#ASMSTART
	v_dot2_f32_f16 v56, v0, v4, v56
	;;#ASMEND
	;;#ASMSTART
	v_dot2_f32_f16 v56, v1, v5, v56
	;;#ASMEND
	;;#ASMSTART
	v_dot2_f32_f16 v56, v2, v6, v56
	;;#ASMEND
	;;#ASMSTART
	v_dot2_f32_f16 v56, v3, v7, v56
	;;#ASMEND
	s_wait_dscnt 0x5
	;;#ASMSTART
	v_dot2_f32_f16 v53, v0, v8, v53
	;;#ASMEND
	;;#ASMSTART
	v_dot2_f32_f16 v53, v1, v9, v53
	;;#ASMEND
	;;#ASMSTART
	v_dot2_f32_f16 v53, v2, v10, v53
	;;#ASMEND
	;;#ASMSTART
	v_dot2_f32_f16 v53, v3, v11, v53
	;;#ASMEND
	;; [unrolled: 13-line block ×5, first 2 shown]
	;;#ASMSTART
	v_dot2_f32_f16 v57, v20, v8, v57
	;;#ASMEND
	;;#ASMSTART
	v_dot2_f32_f16 v57, v21, v9, v57
	;;#ASMEND
	;; [unrolled: 3-line block ×12, first 2 shown]
	s_wait_dscnt 0x1
	;;#ASMSTART
	v_dot2_f32_f16 v80, v116, v4, v80
	;;#ASMEND
	;;#ASMSTART
	v_dot2_f32_f16 v80, v117, v5, v80
	;;#ASMEND
	;; [unrolled: 3-line block ×16, first 2 shown]
	s_wait_dscnt 0x0
	;;#ASMSTART
	v_dot2_f32_f16 v114, v120, v4, v114
	;;#ASMEND
	;;#ASMSTART
	v_dot2_f32_f16 v114, v121, v5, v114
	;;#ASMEND
	;; [unrolled: 3-line block ×16, first 2 shown]
	s_barrier_signal -1
	s_barrier_wait -1
	s_clause 0x3
	global_load_b128 v[0:3], v[124:125], off
	global_load_b128 v[4:7], v[126:127], off
	;; [unrolled: 1-line block ×4, first 2 shown]
	v_lshl_add_u32 v20, s36, 1, v61
	s_add_co_i32 s36, s3, 0x80
	s_wait_loadcnt 0x3
	ds_store_b128 v63, v[0:3]
	s_wait_loadcnt 0x2
	ds_store_b128 v64, v[4:7]
	;; [unrolled: 2-line block ×4, first 2 shown]
	s_wait_dscnt 0x0
	s_barrier_signal -1
	s_barrier_wait -1
	ds_load_b128 v[0:3], v67
	ds_load_b128 v[4:7], v20
	ds_load_b128 v[8:11], v20 offset:1152
	ds_load_b128 v[12:15], v20 offset:2304
	;; [unrolled: 1-line block ×6, first 2 shown]
	s_wait_dscnt 0x6
	;;#ASMSTART
	v_dot2_f32_f16 v56, v0, v4, v56
	;;#ASMEND
	;;#ASMSTART
	v_dot2_f32_f16 v56, v1, v5, v56
	;;#ASMEND
	;;#ASMSTART
	v_dot2_f32_f16 v56, v2, v6, v56
	;;#ASMEND
	;;#ASMSTART
	v_dot2_f32_f16 v56, v3, v7, v56
	;;#ASMEND
	s_wait_dscnt 0x5
	;;#ASMSTART
	v_dot2_f32_f16 v53, v0, v8, v53
	;;#ASMEND
	;;#ASMSTART
	v_dot2_f32_f16 v53, v1, v9, v53
	;;#ASMEND
	;;#ASMSTART
	v_dot2_f32_f16 v53, v2, v10, v53
	;;#ASMEND
	;;#ASMSTART
	v_dot2_f32_f16 v53, v3, v11, v53
	;;#ASMEND
	;; [unrolled: 13-line block ×5, first 2 shown]
	;;#ASMSTART
	v_dot2_f32_f16 v57, v116, v8, v57
	;;#ASMEND
	;;#ASMSTART
	v_dot2_f32_f16 v57, v117, v9, v57
	;;#ASMEND
	;; [unrolled: 3-line block ×12, first 2 shown]
	s_wait_dscnt 0x1
	;;#ASMSTART
	v_dot2_f32_f16 v80, v120, v4, v80
	;;#ASMEND
	;;#ASMSTART
	v_dot2_f32_f16 v80, v121, v5, v80
	;;#ASMEND
	;; [unrolled: 3-line block ×16, first 2 shown]
	s_wait_dscnt 0x0
	;;#ASMSTART
	v_dot2_f32_f16 v114, v124, v4, v114
	;;#ASMEND
	;;#ASMSTART
	v_dot2_f32_f16 v114, v125, v5, v114
	;;#ASMEND
	;; [unrolled: 3-line block ×16, first 2 shown]
	ds_load_b128 v[0:3], v67 offset:16
	ds_load_b128 v[4:7], v20 offset:16
	;; [unrolled: 1-line block ×8, first 2 shown]
	s_wait_dscnt 0x6
	;;#ASMSTART
	v_dot2_f32_f16 v56, v0, v4, v56
	;;#ASMEND
	;;#ASMSTART
	v_dot2_f32_f16 v56, v1, v5, v56
	;;#ASMEND
	;;#ASMSTART
	v_dot2_f32_f16 v56, v2, v6, v56
	;;#ASMEND
	;;#ASMSTART
	v_dot2_f32_f16 v56, v3, v7, v56
	;;#ASMEND
	s_wait_dscnt 0x5
	;;#ASMSTART
	v_dot2_f32_f16 v53, v0, v8, v53
	;;#ASMEND
	;;#ASMSTART
	v_dot2_f32_f16 v53, v1, v9, v53
	;;#ASMEND
	;;#ASMSTART
	v_dot2_f32_f16 v53, v2, v10, v53
	;;#ASMEND
	;;#ASMSTART
	v_dot2_f32_f16 v53, v3, v11, v53
	;;#ASMEND
	s_wait_dscnt 0x4
	;;#ASMSTART
	v_dot2_f32_f16 v51, v0, v12, v51
	;;#ASMEND
	;;#ASMSTART
	v_dot2_f32_f16 v51, v1, v13, v51
	;;#ASMEND
	;;#ASMSTART
	v_dot2_f32_f16 v51, v2, v14, v51
	;;#ASMEND
	;;#ASMSTART
	v_dot2_f32_f16 v51, v3, v15, v51
	;;#ASMEND
	s_wait_dscnt 0x3
	;;#ASMSTART
	v_dot2_f32_f16 v50, v0, v16, v50
	;;#ASMEND
	;;#ASMSTART
	v_dot2_f32_f16 v50, v1, v17, v50
	;;#ASMEND
	;;#ASMSTART
	v_dot2_f32_f16 v50, v2, v18, v50
	;;#ASMEND
	;;#ASMSTART
	v_dot2_f32_f16 v50, v3, v19, v50
	;;#ASMEND
	s_wait_dscnt 0x2
	;;#ASMSTART
	v_dot2_f32_f16 v77, v116, v4, v77
	;;#ASMEND
	;;#ASMSTART
	v_dot2_f32_f16 v77, v117, v5, v77
	;;#ASMEND
	;;#ASMSTART
	v_dot2_f32_f16 v77, v118, v6, v77
	;;#ASMEND
	;;#ASMSTART
	v_dot2_f32_f16 v77, v119, v7, v77
	;;#ASMEND
	;;#ASMSTART
	v_dot2_f32_f16 v57, v116, v8, v57
	;;#ASMEND
	;;#ASMSTART
	v_dot2_f32_f16 v57, v117, v9, v57
	;;#ASMEND
	;;#ASMSTART
	v_dot2_f32_f16 v57, v118, v10, v57
	;;#ASMEND
	;;#ASMSTART
	v_dot2_f32_f16 v57, v119, v11, v57
	;;#ASMEND
	;;#ASMSTART
	v_dot2_f32_f16 v54, v116, v12, v54
	;;#ASMEND
	;;#ASMSTART
	v_dot2_f32_f16 v54, v117, v13, v54
	;;#ASMEND
	;;#ASMSTART
	v_dot2_f32_f16 v54, v118, v14, v54
	;;#ASMEND
	;;#ASMSTART
	v_dot2_f32_f16 v54, v119, v15, v54
	;;#ASMEND
	;;#ASMSTART
	v_dot2_f32_f16 v52, v116, v16, v52
	;;#ASMEND
	;;#ASMSTART
	v_dot2_f32_f16 v52, v117, v17, v52
	;;#ASMEND
	;;#ASMSTART
	v_dot2_f32_f16 v52, v118, v18, v52
	;;#ASMEND
	;;#ASMSTART
	v_dot2_f32_f16 v52, v119, v19, v52
	;;#ASMEND
	s_wait_dscnt 0x1
	;;#ASMSTART
	v_dot2_f32_f16 v80, v120, v4, v80
	;;#ASMEND
	;;#ASMSTART
	v_dot2_f32_f16 v80, v121, v5, v80
	;;#ASMEND
	;; [unrolled: 3-line block ×16, first 2 shown]
	s_wait_dscnt 0x0
	;;#ASMSTART
	v_dot2_f32_f16 v114, v124, v4, v114
	;;#ASMEND
	;;#ASMSTART
	v_dot2_f32_f16 v114, v125, v5, v114
	;;#ASMEND
	;; [unrolled: 3-line block ×16, first 2 shown]
	ds_load_b128 v[0:3], v67 offset:32
	ds_load_b128 v[4:7], v20 offset:32
	;; [unrolled: 1-line block ×8, first 2 shown]
	s_wait_dscnt 0x6
	;;#ASMSTART
	v_dot2_f32_f16 v56, v0, v4, v56
	;;#ASMEND
	;;#ASMSTART
	v_dot2_f32_f16 v56, v1, v5, v56
	;;#ASMEND
	;;#ASMSTART
	v_dot2_f32_f16 v56, v2, v6, v56
	;;#ASMEND
	;;#ASMSTART
	v_dot2_f32_f16 v56, v3, v7, v56
	;;#ASMEND
	s_wait_dscnt 0x5
	;;#ASMSTART
	v_dot2_f32_f16 v53, v0, v8, v53
	;;#ASMEND
	;;#ASMSTART
	v_dot2_f32_f16 v53, v1, v9, v53
	;;#ASMEND
	;;#ASMSTART
	v_dot2_f32_f16 v53, v2, v10, v53
	;;#ASMEND
	;;#ASMSTART
	v_dot2_f32_f16 v53, v3, v11, v53
	;;#ASMEND
	;; [unrolled: 13-line block ×5, first 2 shown]
	;;#ASMSTART
	v_dot2_f32_f16 v57, v116, v8, v57
	;;#ASMEND
	;;#ASMSTART
	v_dot2_f32_f16 v57, v117, v9, v57
	;;#ASMEND
	;; [unrolled: 3-line block ×12, first 2 shown]
	s_wait_dscnt 0x1
	;;#ASMSTART
	v_dot2_f32_f16 v80, v120, v4, v80
	;;#ASMEND
	;;#ASMSTART
	v_dot2_f32_f16 v80, v121, v5, v80
	;;#ASMEND
	;; [unrolled: 3-line block ×16, first 2 shown]
	s_wait_dscnt 0x0
	;;#ASMSTART
	v_dot2_f32_f16 v114, v124, v4, v114
	;;#ASMEND
	;;#ASMSTART
	v_dot2_f32_f16 v114, v125, v5, v114
	;;#ASMEND
	;; [unrolled: 3-line block ×16, first 2 shown]
	ds_load_b128 v[0:3], v67 offset:48
	ds_load_b128 v[4:7], v20 offset:48
	;; [unrolled: 1-line block ×8, first 2 shown]
	s_wait_dscnt 0x6
	;;#ASMSTART
	v_dot2_f32_f16 v56, v0, v4, v56
	;;#ASMEND
	;;#ASMSTART
	v_dot2_f32_f16 v56, v1, v5, v56
	;;#ASMEND
	;;#ASMSTART
	v_dot2_f32_f16 v56, v2, v6, v56
	;;#ASMEND
	;;#ASMSTART
	v_dot2_f32_f16 v56, v3, v7, v56
	;;#ASMEND
	s_wait_dscnt 0x5
	;;#ASMSTART
	v_dot2_f32_f16 v53, v0, v8, v53
	;;#ASMEND
	;;#ASMSTART
	v_dot2_f32_f16 v53, v1, v9, v53
	;;#ASMEND
	;;#ASMSTART
	v_dot2_f32_f16 v53, v2, v10, v53
	;;#ASMEND
	;;#ASMSTART
	v_dot2_f32_f16 v53, v3, v11, v53
	;;#ASMEND
	;; [unrolled: 13-line block ×5, first 2 shown]
	;;#ASMSTART
	v_dot2_f32_f16 v57, v116, v8, v57
	;;#ASMEND
	;;#ASMSTART
	v_dot2_f32_f16 v57, v117, v9, v57
	;;#ASMEND
	;; [unrolled: 3-line block ×12, first 2 shown]
	s_wait_dscnt 0x1
	;;#ASMSTART
	v_dot2_f32_f16 v80, v120, v4, v80
	;;#ASMEND
	;;#ASMSTART
	v_dot2_f32_f16 v80, v121, v5, v80
	;;#ASMEND
	;; [unrolled: 3-line block ×16, first 2 shown]
	s_wait_dscnt 0x0
	;;#ASMSTART
	v_dot2_f32_f16 v114, v124, v4, v114
	;;#ASMEND
	;;#ASMSTART
	v_dot2_f32_f16 v114, v125, v5, v114
	;;#ASMEND
	;; [unrolled: 3-line block ×16, first 2 shown]
	ds_load_b128 v[0:3], v67 offset:64
	ds_load_b128 v[4:7], v20 offset:64
	;; [unrolled: 1-line block ×8, first 2 shown]
	s_wait_dscnt 0x6
	;;#ASMSTART
	v_dot2_f32_f16 v56, v0, v4, v56
	;;#ASMEND
	;;#ASMSTART
	v_dot2_f32_f16 v56, v1, v5, v56
	;;#ASMEND
	;;#ASMSTART
	v_dot2_f32_f16 v56, v2, v6, v56
	;;#ASMEND
	;;#ASMSTART
	v_dot2_f32_f16 v56, v3, v7, v56
	;;#ASMEND
	s_wait_dscnt 0x5
	;;#ASMSTART
	v_dot2_f32_f16 v53, v0, v8, v53
	;;#ASMEND
	;;#ASMSTART
	v_dot2_f32_f16 v53, v1, v9, v53
	;;#ASMEND
	;;#ASMSTART
	v_dot2_f32_f16 v53, v2, v10, v53
	;;#ASMEND
	;;#ASMSTART
	v_dot2_f32_f16 v53, v3, v11, v53
	;;#ASMEND
	;; [unrolled: 13-line block ×5, first 2 shown]
	;;#ASMSTART
	v_dot2_f32_f16 v57, v116, v8, v57
	;;#ASMEND
	;;#ASMSTART
	v_dot2_f32_f16 v57, v117, v9, v57
	;;#ASMEND
	;; [unrolled: 3-line block ×12, first 2 shown]
	s_wait_dscnt 0x1
	;;#ASMSTART
	v_dot2_f32_f16 v80, v120, v4, v80
	;;#ASMEND
	;;#ASMSTART
	v_dot2_f32_f16 v80, v121, v5, v80
	;;#ASMEND
	;; [unrolled: 3-line block ×16, first 2 shown]
	s_wait_dscnt 0x0
	;;#ASMSTART
	v_dot2_f32_f16 v114, v124, v4, v114
	;;#ASMEND
	;;#ASMSTART
	v_dot2_f32_f16 v114, v125, v5, v114
	;;#ASMEND
	;; [unrolled: 3-line block ×16, first 2 shown]
	ds_load_b128 v[0:3], v67 offset:80
	ds_load_b128 v[4:7], v20 offset:80
	;; [unrolled: 1-line block ×8, first 2 shown]
	s_wait_dscnt 0x6
	;;#ASMSTART
	v_dot2_f32_f16 v56, v0, v4, v56
	;;#ASMEND
	;;#ASMSTART
	v_dot2_f32_f16 v56, v1, v5, v56
	;;#ASMEND
	;;#ASMSTART
	v_dot2_f32_f16 v56, v2, v6, v56
	;;#ASMEND
	;;#ASMSTART
	v_dot2_f32_f16 v56, v3, v7, v56
	;;#ASMEND
	s_wait_dscnt 0x5
	;;#ASMSTART
	v_dot2_f32_f16 v53, v0, v8, v53
	;;#ASMEND
	;;#ASMSTART
	v_dot2_f32_f16 v53, v1, v9, v53
	;;#ASMEND
	;;#ASMSTART
	v_dot2_f32_f16 v53, v2, v10, v53
	;;#ASMEND
	;;#ASMSTART
	v_dot2_f32_f16 v53, v3, v11, v53
	;;#ASMEND
	;; [unrolled: 13-line block ×5, first 2 shown]
	;;#ASMSTART
	v_dot2_f32_f16 v57, v116, v8, v57
	;;#ASMEND
	;;#ASMSTART
	v_dot2_f32_f16 v57, v117, v9, v57
	;;#ASMEND
	;; [unrolled: 3-line block ×12, first 2 shown]
	s_wait_dscnt 0x1
	;;#ASMSTART
	v_dot2_f32_f16 v80, v120, v4, v80
	;;#ASMEND
	;;#ASMSTART
	v_dot2_f32_f16 v80, v121, v5, v80
	;;#ASMEND
	;;#ASMSTART
	v_dot2_f32_f16 v80, v122, v6, v80
	;;#ASMEND
	;;#ASMSTART
	v_dot2_f32_f16 v80, v123, v7, v80
	;;#ASMEND
	;;#ASMSTART
	v_dot2_f32_f16 v78, v120, v8, v78
	;;#ASMEND
	;;#ASMSTART
	v_dot2_f32_f16 v78, v121, v9, v78
	;;#ASMEND
	;;#ASMSTART
	v_dot2_f32_f16 v78, v122, v10, v78
	;;#ASMEND
	;;#ASMSTART
	v_dot2_f32_f16 v78, v123, v11, v78
	;;#ASMEND
	;;#ASMSTART
	v_dot2_f32_f16 v75, v120, v12, v75
	;;#ASMEND
	;;#ASMSTART
	v_dot2_f32_f16 v75, v121, v13, v75
	;;#ASMEND
	;;#ASMSTART
	v_dot2_f32_f16 v75, v122, v14, v75
	;;#ASMEND
	;;#ASMSTART
	v_dot2_f32_f16 v75, v123, v15, v75
	;;#ASMEND
	;;#ASMSTART
	v_dot2_f32_f16 v55, v120, v16, v55
	;;#ASMEND
	;;#ASMSTART
	v_dot2_f32_f16 v55, v121, v17, v55
	;;#ASMEND
	;;#ASMSTART
	v_dot2_f32_f16 v55, v122, v18, v55
	;;#ASMEND
	;;#ASMSTART
	v_dot2_f32_f16 v55, v123, v19, v55
	;;#ASMEND
	s_wait_dscnt 0x0
	;;#ASMSTART
	v_dot2_f32_f16 v114, v124, v4, v114
	;;#ASMEND
	;;#ASMSTART
	v_dot2_f32_f16 v114, v125, v5, v114
	;;#ASMEND
	;; [unrolled: 3-line block ×16, first 2 shown]
	ds_load_b128 v[16:19], v67 offset:96
	ds_load_b128 v[0:3], v20 offset:96
	;; [unrolled: 1-line block ×8, first 2 shown]
	s_wait_dscnt 0x6
	;;#ASMSTART
	v_dot2_f32_f16 v56, v16, v0, v56
	;;#ASMEND
	;;#ASMSTART
	v_dot2_f32_f16 v56, v17, v1, v56
	;;#ASMEND
	;;#ASMSTART
	v_dot2_f32_f16 v56, v18, v2, v56
	;;#ASMEND
	;;#ASMSTART
	v_dot2_f32_f16 v56, v19, v3, v56
	;;#ASMEND
	s_wait_dscnt 0x5
	;;#ASMSTART
	v_dot2_f32_f16 v53, v16, v4, v53
	;;#ASMEND
	;;#ASMSTART
	v_dot2_f32_f16 v53, v17, v5, v53
	;;#ASMEND
	;;#ASMSTART
	v_dot2_f32_f16 v53, v18, v6, v53
	;;#ASMEND
	;;#ASMSTART
	v_dot2_f32_f16 v53, v19, v7, v53
	;;#ASMEND
	;; [unrolled: 13-line block ×5, first 2 shown]
	;;#ASMSTART
	v_dot2_f32_f16 v57, v116, v4, v57
	;;#ASMEND
	;;#ASMSTART
	v_dot2_f32_f16 v57, v117, v5, v57
	;;#ASMEND
	;; [unrolled: 3-line block ×12, first 2 shown]
	s_wait_dscnt 0x1
	;;#ASMSTART
	v_dot2_f32_f16 v80, v120, v0, v80
	;;#ASMEND
	;;#ASMSTART
	v_dot2_f32_f16 v80, v121, v1, v80
	;;#ASMEND
	;; [unrolled: 3-line block ×16, first 2 shown]
	s_wait_dscnt 0x0
	;;#ASMSTART
	v_dot2_f32_f16 v114, v124, v0, v114
	;;#ASMEND
	;;#ASMSTART
	v_dot2_f32_f16 v114, v125, v1, v114
	;;#ASMEND
	;; [unrolled: 3-line block ×16, first 2 shown]
	ds_load_b128 v[0:3], v67 offset:112
	ds_load_b128 v[4:7], v20 offset:112
	s_lshr_b32 s10, s36, 1
	ds_load_b128 v[8:11], v20 offset:1264
	ds_load_b128 v[12:15], v20 offset:2416
	s_lshl_b64 s[34:35], s[10:11], 2
	ds_load_b128 v[16:19], v20 offset:3568
	s_add_nc_u64 s[34:35], s[26:27], s[34:35]
	s_cmp_gt_u32 s3, 0x17f
	v_add_nc_u64_e32 v[22:23], s[34:35], v[32:33]
	v_add_nc_u64_e32 v[116:117], s[34:35], v[36:37]
	v_add_nc_u64_e32 v[118:119], s[34:35], v[38:39]
	v_add_nc_u64_e32 v[120:121], s[34:35], v[40:41]
	s_mov_b32 s10, -1
	s_delay_alu instid0(VALU_DEP_4) | instskip(NEXT) | instid1(VALU_DEP_4)
	v_add_nc_u64_e32 v[124:125], v[22:23], v[34:35]
	v_add_nc_u64_e32 v[126:127], v[116:117], v[34:35]
	s_delay_alu instid0(VALU_DEP_4)
	v_add_nc_u64_e32 v[128:129], v[118:119], v[34:35]
	ds_load_b128 v[20:23], v67 offset:4720
	v_add_nc_u64_e32 v[130:131], v[120:121], v[34:35]
	ds_load_b128 v[116:119], v67 offset:9328
	ds_load_b128 v[120:123], v67 offset:13936
	s_wait_dscnt 0x6
	;;#ASMSTART
	v_dot2_f32_f16 v56, v0, v4, v56
	;;#ASMEND
	;;#ASMSTART
	v_dot2_f32_f16 v56, v1, v5, v56
	;;#ASMEND
	;;#ASMSTART
	v_dot2_f32_f16 v56, v2, v6, v56
	;;#ASMEND
	;;#ASMSTART
	v_dot2_f32_f16 v56, v3, v7, v56
	;;#ASMEND
	s_wait_dscnt 0x5
	;;#ASMSTART
	v_dot2_f32_f16 v53, v0, v8, v53
	;;#ASMEND
	;;#ASMSTART
	v_dot2_f32_f16 v53, v1, v9, v53
	;;#ASMEND
	;;#ASMSTART
	v_dot2_f32_f16 v53, v2, v10, v53
	;;#ASMEND
	;;#ASMSTART
	v_dot2_f32_f16 v53, v3, v11, v53
	;;#ASMEND
	;; [unrolled: 13-line block ×5, first 2 shown]
	;;#ASMSTART
	v_dot2_f32_f16 v57, v20, v8, v57
	;;#ASMEND
	;;#ASMSTART
	v_dot2_f32_f16 v57, v21, v9, v57
	;;#ASMEND
	;; [unrolled: 3-line block ×12, first 2 shown]
	s_wait_dscnt 0x1
	;;#ASMSTART
	v_dot2_f32_f16 v80, v116, v4, v80
	;;#ASMEND
	;;#ASMSTART
	v_dot2_f32_f16 v80, v117, v5, v80
	;;#ASMEND
	;; [unrolled: 3-line block ×16, first 2 shown]
	s_wait_dscnt 0x0
	;;#ASMSTART
	v_dot2_f32_f16 v114, v120, v4, v114
	;;#ASMEND
	;;#ASMSTART
	v_dot2_f32_f16 v114, v121, v5, v114
	;;#ASMEND
	;; [unrolled: 3-line block ×16, first 2 shown]
	s_barrier_signal -1
	s_barrier_wait -1
	s_clause 0x3
	global_load_b128 v[0:3], v[124:125], off
	global_load_b128 v[4:7], v[126:127], off
	;; [unrolled: 1-line block ×4, first 2 shown]
	v_lshl_add_u32 v12, s36, 1, v61
	s_wait_loadcnt 0x3
	ds_store_b128 v63, v[0:3]
	s_wait_loadcnt 0x2
	ds_store_b128 v64, v[4:7]
	;; [unrolled: 2-line block ×4, first 2 shown]
	s_wait_dscnt 0x0
	s_barrier_signal -1
	s_barrier_wait -1
	ds_load_b128 v[0:3], v67
	ds_load_b128 v[4:7], v12
	ds_load_b128 v[8:11], v12 offset:1152
	ds_load_b128 v[14:17], v12 offset:2304
	;; [unrolled: 1-line block ×6, first 2 shown]
	s_wait_dscnt 0x6
	;;#ASMSTART
	v_dot2_f32_f16 v56, v0, v4, v56
	;;#ASMEND
	;;#ASMSTART
	v_dot2_f32_f16 v56, v1, v5, v56
	;;#ASMEND
	;;#ASMSTART
	v_dot2_f32_f16 v56, v2, v6, v56
	;;#ASMEND
	;;#ASMSTART
	v_dot2_f32_f16 v56, v3, v7, v56
	;;#ASMEND
	s_wait_dscnt 0x5
	;;#ASMSTART
	v_dot2_f32_f16 v53, v0, v8, v53
	;;#ASMEND
	;;#ASMSTART
	v_dot2_f32_f16 v53, v1, v9, v53
	;;#ASMEND
	;;#ASMSTART
	v_dot2_f32_f16 v53, v2, v10, v53
	;;#ASMEND
	;;#ASMSTART
	v_dot2_f32_f16 v53, v3, v11, v53
	;;#ASMEND
	;; [unrolled: 13-line block ×5, first 2 shown]
	;;#ASMSTART
	v_dot2_f32_f16 v57, v116, v8, v57
	;;#ASMEND
	;;#ASMSTART
	v_dot2_f32_f16 v57, v117, v9, v57
	;;#ASMEND
	;; [unrolled: 3-line block ×12, first 2 shown]
	s_wait_dscnt 0x1
	;;#ASMSTART
	v_dot2_f32_f16 v80, v120, v4, v80
	;;#ASMEND
	;;#ASMSTART
	v_dot2_f32_f16 v80, v121, v5, v80
	;;#ASMEND
	;; [unrolled: 3-line block ×16, first 2 shown]
	s_wait_dscnt 0x0
	;;#ASMSTART
	v_dot2_f32_f16 v114, v124, v4, v114
	;;#ASMEND
	;;#ASMSTART
	v_dot2_f32_f16 v114, v125, v5, v114
	;;#ASMEND
	;; [unrolled: 3-line block ×16, first 2 shown]
	ds_load_b128 v[0:3], v67 offset:16
	ds_load_b128 v[4:7], v12 offset:16
	;; [unrolled: 1-line block ×8, first 2 shown]
	s_wait_dscnt 0x6
	;;#ASMSTART
	v_dot2_f32_f16 v56, v0, v4, v56
	;;#ASMEND
	;;#ASMSTART
	v_dot2_f32_f16 v56, v1, v5, v56
	;;#ASMEND
	;;#ASMSTART
	v_dot2_f32_f16 v56, v2, v6, v56
	;;#ASMEND
	;;#ASMSTART
	v_dot2_f32_f16 v56, v3, v7, v56
	;;#ASMEND
	s_wait_dscnt 0x5
	;;#ASMSTART
	v_dot2_f32_f16 v53, v0, v8, v53
	;;#ASMEND
	;;#ASMSTART
	v_dot2_f32_f16 v53, v1, v9, v53
	;;#ASMEND
	;;#ASMSTART
	v_dot2_f32_f16 v53, v2, v10, v53
	;;#ASMEND
	;;#ASMSTART
	v_dot2_f32_f16 v53, v3, v11, v53
	;;#ASMEND
	;; [unrolled: 13-line block ×5, first 2 shown]
	;;#ASMSTART
	v_dot2_f32_f16 v57, v116, v8, v57
	;;#ASMEND
	;;#ASMSTART
	v_dot2_f32_f16 v57, v117, v9, v57
	;;#ASMEND
	;; [unrolled: 3-line block ×12, first 2 shown]
	s_wait_dscnt 0x1
	;;#ASMSTART
	v_dot2_f32_f16 v80, v120, v4, v80
	;;#ASMEND
	;;#ASMSTART
	v_dot2_f32_f16 v80, v121, v5, v80
	;;#ASMEND
	;; [unrolled: 3-line block ×16, first 2 shown]
	s_wait_dscnt 0x0
	;;#ASMSTART
	v_dot2_f32_f16 v114, v124, v4, v114
	;;#ASMEND
	;;#ASMSTART
	v_dot2_f32_f16 v114, v125, v5, v114
	;;#ASMEND
	;; [unrolled: 3-line block ×16, first 2 shown]
	ds_load_b128 v[0:3], v67 offset:32
	ds_load_b128 v[4:7], v12 offset:32
	;; [unrolled: 1-line block ×8, first 2 shown]
	s_wait_dscnt 0x6
	;;#ASMSTART
	v_dot2_f32_f16 v56, v0, v4, v56
	;;#ASMEND
	;;#ASMSTART
	v_dot2_f32_f16 v56, v1, v5, v56
	;;#ASMEND
	;;#ASMSTART
	v_dot2_f32_f16 v56, v2, v6, v56
	;;#ASMEND
	;;#ASMSTART
	v_dot2_f32_f16 v56, v3, v7, v56
	;;#ASMEND
	s_wait_dscnt 0x5
	;;#ASMSTART
	v_dot2_f32_f16 v53, v0, v8, v53
	;;#ASMEND
	;;#ASMSTART
	v_dot2_f32_f16 v53, v1, v9, v53
	;;#ASMEND
	;;#ASMSTART
	v_dot2_f32_f16 v53, v2, v10, v53
	;;#ASMEND
	;;#ASMSTART
	v_dot2_f32_f16 v53, v3, v11, v53
	;;#ASMEND
	;; [unrolled: 13-line block ×5, first 2 shown]
	;;#ASMSTART
	v_dot2_f32_f16 v57, v116, v8, v57
	;;#ASMEND
	;;#ASMSTART
	v_dot2_f32_f16 v57, v117, v9, v57
	;;#ASMEND
	;; [unrolled: 3-line block ×12, first 2 shown]
	s_wait_dscnt 0x1
	;;#ASMSTART
	v_dot2_f32_f16 v80, v120, v4, v80
	;;#ASMEND
	;;#ASMSTART
	v_dot2_f32_f16 v80, v121, v5, v80
	;;#ASMEND
	;; [unrolled: 3-line block ×16, first 2 shown]
	s_wait_dscnt 0x0
	;;#ASMSTART
	v_dot2_f32_f16 v114, v124, v4, v114
	;;#ASMEND
	;;#ASMSTART
	v_dot2_f32_f16 v114, v125, v5, v114
	;;#ASMEND
	;; [unrolled: 3-line block ×16, first 2 shown]
	ds_load_b128 v[0:3], v67 offset:48
	ds_load_b128 v[4:7], v12 offset:48
	;; [unrolled: 1-line block ×8, first 2 shown]
	s_wait_dscnt 0x6
	;;#ASMSTART
	v_dot2_f32_f16 v56, v0, v4, v56
	;;#ASMEND
	;;#ASMSTART
	v_dot2_f32_f16 v56, v1, v5, v56
	;;#ASMEND
	;;#ASMSTART
	v_dot2_f32_f16 v56, v2, v6, v56
	;;#ASMEND
	;;#ASMSTART
	v_dot2_f32_f16 v56, v3, v7, v56
	;;#ASMEND
	s_wait_dscnt 0x5
	;;#ASMSTART
	v_dot2_f32_f16 v53, v0, v8, v53
	;;#ASMEND
	;;#ASMSTART
	v_dot2_f32_f16 v53, v1, v9, v53
	;;#ASMEND
	;;#ASMSTART
	v_dot2_f32_f16 v53, v2, v10, v53
	;;#ASMEND
	;;#ASMSTART
	v_dot2_f32_f16 v53, v3, v11, v53
	;;#ASMEND
	;; [unrolled: 13-line block ×5, first 2 shown]
	;;#ASMSTART
	v_dot2_f32_f16 v57, v116, v8, v57
	;;#ASMEND
	;;#ASMSTART
	v_dot2_f32_f16 v57, v117, v9, v57
	;;#ASMEND
	;;#ASMSTART
	v_dot2_f32_f16 v57, v118, v10, v57
	;;#ASMEND
	;;#ASMSTART
	v_dot2_f32_f16 v57, v119, v11, v57
	;;#ASMEND
	;;#ASMSTART
	v_dot2_f32_f16 v54, v116, v14, v54
	;;#ASMEND
	;;#ASMSTART
	v_dot2_f32_f16 v54, v117, v15, v54
	;;#ASMEND
	;;#ASMSTART
	v_dot2_f32_f16 v54, v118, v16, v54
	;;#ASMEND
	;;#ASMSTART
	v_dot2_f32_f16 v54, v119, v17, v54
	;;#ASMEND
	;;#ASMSTART
	v_dot2_f32_f16 v52, v116, v18, v52
	;;#ASMEND
	;;#ASMSTART
	v_dot2_f32_f16 v52, v117, v19, v52
	;;#ASMEND
	;;#ASMSTART
	v_dot2_f32_f16 v52, v118, v20, v52
	;;#ASMEND
	;;#ASMSTART
	v_dot2_f32_f16 v52, v119, v21, v52
	;;#ASMEND
	s_wait_dscnt 0x1
	;;#ASMSTART
	v_dot2_f32_f16 v80, v120, v4, v80
	;;#ASMEND
	;;#ASMSTART
	v_dot2_f32_f16 v80, v121, v5, v80
	;;#ASMEND
	;; [unrolled: 3-line block ×16, first 2 shown]
	s_wait_dscnt 0x0
	;;#ASMSTART
	v_dot2_f32_f16 v114, v124, v4, v114
	;;#ASMEND
	;;#ASMSTART
	v_dot2_f32_f16 v114, v125, v5, v114
	;;#ASMEND
	;; [unrolled: 3-line block ×16, first 2 shown]
	ds_load_b128 v[0:3], v67 offset:64
	ds_load_b128 v[4:7], v12 offset:64
	;; [unrolled: 1-line block ×8, first 2 shown]
	s_wait_dscnt 0x6
	;;#ASMSTART
	v_dot2_f32_f16 v56, v0, v4, v56
	;;#ASMEND
	;;#ASMSTART
	v_dot2_f32_f16 v56, v1, v5, v56
	;;#ASMEND
	;;#ASMSTART
	v_dot2_f32_f16 v56, v2, v6, v56
	;;#ASMEND
	;;#ASMSTART
	v_dot2_f32_f16 v56, v3, v7, v56
	;;#ASMEND
	s_wait_dscnt 0x5
	;;#ASMSTART
	v_dot2_f32_f16 v53, v0, v8, v53
	;;#ASMEND
	;;#ASMSTART
	v_dot2_f32_f16 v53, v1, v9, v53
	;;#ASMEND
	;;#ASMSTART
	v_dot2_f32_f16 v53, v2, v10, v53
	;;#ASMEND
	;;#ASMSTART
	v_dot2_f32_f16 v53, v3, v11, v53
	;;#ASMEND
	;; [unrolled: 13-line block ×5, first 2 shown]
	;;#ASMSTART
	v_dot2_f32_f16 v57, v116, v8, v57
	;;#ASMEND
	;;#ASMSTART
	v_dot2_f32_f16 v57, v117, v9, v57
	;;#ASMEND
	;; [unrolled: 3-line block ×12, first 2 shown]
	s_wait_dscnt 0x1
	;;#ASMSTART
	v_dot2_f32_f16 v80, v120, v4, v80
	;;#ASMEND
	;;#ASMSTART
	v_dot2_f32_f16 v80, v121, v5, v80
	;;#ASMEND
	;; [unrolled: 3-line block ×16, first 2 shown]
	s_wait_dscnt 0x0
	;;#ASMSTART
	v_dot2_f32_f16 v114, v124, v4, v114
	;;#ASMEND
	;;#ASMSTART
	v_dot2_f32_f16 v114, v125, v5, v114
	;;#ASMEND
	;; [unrolled: 3-line block ×16, first 2 shown]
	ds_load_b128 v[0:3], v67 offset:80
	ds_load_b128 v[4:7], v12 offset:80
	;; [unrolled: 1-line block ×8, first 2 shown]
	s_wait_dscnt 0x6
	;;#ASMSTART
	v_dot2_f32_f16 v56, v0, v4, v56
	;;#ASMEND
	;;#ASMSTART
	v_dot2_f32_f16 v56, v1, v5, v56
	;;#ASMEND
	;;#ASMSTART
	v_dot2_f32_f16 v56, v2, v6, v56
	;;#ASMEND
	;;#ASMSTART
	v_dot2_f32_f16 v56, v3, v7, v56
	;;#ASMEND
	s_wait_dscnt 0x5
	;;#ASMSTART
	v_dot2_f32_f16 v53, v0, v8, v53
	;;#ASMEND
	;;#ASMSTART
	v_dot2_f32_f16 v53, v1, v9, v53
	;;#ASMEND
	;;#ASMSTART
	v_dot2_f32_f16 v53, v2, v10, v53
	;;#ASMEND
	;;#ASMSTART
	v_dot2_f32_f16 v53, v3, v11, v53
	;;#ASMEND
	s_wait_dscnt 0x4
	;;#ASMSTART
	v_dot2_f32_f16 v51, v0, v14, v51
	;;#ASMEND
	;;#ASMSTART
	v_dot2_f32_f16 v51, v1, v15, v51
	;;#ASMEND
	;;#ASMSTART
	v_dot2_f32_f16 v51, v2, v16, v51
	;;#ASMEND
	;;#ASMSTART
	v_dot2_f32_f16 v51, v3, v17, v51
	;;#ASMEND
	s_wait_dscnt 0x3
	;;#ASMSTART
	v_dot2_f32_f16 v50, v0, v18, v50
	;;#ASMEND
	;;#ASMSTART
	v_dot2_f32_f16 v50, v1, v19, v50
	;;#ASMEND
	;;#ASMSTART
	v_dot2_f32_f16 v50, v2, v20, v50
	;;#ASMEND
	;;#ASMSTART
	v_dot2_f32_f16 v50, v3, v21, v50
	;;#ASMEND
	s_wait_dscnt 0x2
	;;#ASMSTART
	v_dot2_f32_f16 v77, v116, v4, v77
	;;#ASMEND
	;;#ASMSTART
	v_dot2_f32_f16 v77, v117, v5, v77
	;;#ASMEND
	;;#ASMSTART
	v_dot2_f32_f16 v77, v118, v6, v77
	;;#ASMEND
	;;#ASMSTART
	v_dot2_f32_f16 v77, v119, v7, v77
	;;#ASMEND
	;;#ASMSTART
	v_dot2_f32_f16 v57, v116, v8, v57
	;;#ASMEND
	;;#ASMSTART
	v_dot2_f32_f16 v57, v117, v9, v57
	;;#ASMEND
	;;#ASMSTART
	v_dot2_f32_f16 v57, v118, v10, v57
	;;#ASMEND
	;;#ASMSTART
	v_dot2_f32_f16 v57, v119, v11, v57
	;;#ASMEND
	;;#ASMSTART
	v_dot2_f32_f16 v54, v116, v14, v54
	;;#ASMEND
	;;#ASMSTART
	v_dot2_f32_f16 v54, v117, v15, v54
	;;#ASMEND
	;;#ASMSTART
	v_dot2_f32_f16 v54, v118, v16, v54
	;;#ASMEND
	;;#ASMSTART
	v_dot2_f32_f16 v54, v119, v17, v54
	;;#ASMEND
	;;#ASMSTART
	v_dot2_f32_f16 v52, v116, v18, v52
	;;#ASMEND
	;;#ASMSTART
	v_dot2_f32_f16 v52, v117, v19, v52
	;;#ASMEND
	;;#ASMSTART
	v_dot2_f32_f16 v52, v118, v20, v52
	;;#ASMEND
	;;#ASMSTART
	v_dot2_f32_f16 v52, v119, v21, v52
	;;#ASMEND
	s_wait_dscnt 0x1
	;;#ASMSTART
	v_dot2_f32_f16 v80, v120, v4, v80
	;;#ASMEND
	;;#ASMSTART
	v_dot2_f32_f16 v80, v121, v5, v80
	;;#ASMEND
	;; [unrolled: 3-line block ×16, first 2 shown]
	s_wait_dscnt 0x0
	;;#ASMSTART
	v_dot2_f32_f16 v114, v124, v4, v114
	;;#ASMEND
	;;#ASMSTART
	v_dot2_f32_f16 v114, v125, v5, v114
	;;#ASMEND
	;; [unrolled: 3-line block ×16, first 2 shown]
	ds_load_b128 v[0:3], v67 offset:96
	ds_load_b128 v[4:7], v12 offset:96
	;; [unrolled: 1-line block ×8, first 2 shown]
	s_wait_dscnt 0x6
	;;#ASMSTART
	v_dot2_f32_f16 v56, v0, v4, v56
	;;#ASMEND
	;;#ASMSTART
	v_dot2_f32_f16 v56, v1, v5, v56
	;;#ASMEND
	;;#ASMSTART
	v_dot2_f32_f16 v56, v2, v6, v56
	;;#ASMEND
	;;#ASMSTART
	v_dot2_f32_f16 v56, v3, v7, v56
	;;#ASMEND
	s_wait_dscnt 0x5
	;;#ASMSTART
	v_dot2_f32_f16 v53, v0, v8, v53
	;;#ASMEND
	;;#ASMSTART
	v_dot2_f32_f16 v53, v1, v9, v53
	;;#ASMEND
	;;#ASMSTART
	v_dot2_f32_f16 v53, v2, v10, v53
	;;#ASMEND
	;;#ASMSTART
	v_dot2_f32_f16 v53, v3, v11, v53
	;;#ASMEND
	;; [unrolled: 13-line block ×5, first 2 shown]
	;;#ASMSTART
	v_dot2_f32_f16 v57, v116, v8, v57
	;;#ASMEND
	;;#ASMSTART
	v_dot2_f32_f16 v57, v117, v9, v57
	;;#ASMEND
	;; [unrolled: 3-line block ×12, first 2 shown]
	s_wait_dscnt 0x1
	;;#ASMSTART
	v_dot2_f32_f16 v80, v120, v4, v80
	;;#ASMEND
	;;#ASMSTART
	v_dot2_f32_f16 v80, v121, v5, v80
	;;#ASMEND
	;; [unrolled: 3-line block ×16, first 2 shown]
	s_wait_dscnt 0x0
	;;#ASMSTART
	v_dot2_f32_f16 v114, v124, v4, v114
	;;#ASMEND
	;;#ASMSTART
	v_dot2_f32_f16 v114, v125, v5, v114
	;;#ASMEND
	;; [unrolled: 3-line block ×16, first 2 shown]
	ds_load_b128 v[16:19], v67 offset:112
	ds_load_b128 v[0:3], v12 offset:112
	;; [unrolled: 1-line block ×8, first 2 shown]
	s_wait_dscnt 0x6
	;;#ASMSTART
	v_dot2_f32_f16 v56, v16, v0, v56
	;;#ASMEND
	;;#ASMSTART
	v_dot2_f32_f16 v56, v17, v1, v56
	;;#ASMEND
	;;#ASMSTART
	v_dot2_f32_f16 v56, v18, v2, v56
	;;#ASMEND
	;;#ASMSTART
	v_dot2_f32_f16 v56, v19, v3, v56
	;;#ASMEND
	s_wait_dscnt 0x5
	;;#ASMSTART
	v_dot2_f32_f16 v53, v16, v4, v53
	;;#ASMEND
	;;#ASMSTART
	v_dot2_f32_f16 v53, v17, v5, v53
	;;#ASMEND
	;;#ASMSTART
	v_dot2_f32_f16 v53, v18, v6, v53
	;;#ASMEND
	;;#ASMSTART
	v_dot2_f32_f16 v53, v19, v7, v53
	;;#ASMEND
	;; [unrolled: 13-line block ×5, first 2 shown]
	;;#ASMSTART
	v_dot2_f32_f16 v57, v20, v4, v57
	;;#ASMEND
	;;#ASMSTART
	v_dot2_f32_f16 v57, v21, v5, v57
	;;#ASMEND
	;; [unrolled: 3-line block ×12, first 2 shown]
	s_wait_dscnt 0x1
	;;#ASMSTART
	v_dot2_f32_f16 v80, v116, v0, v80
	;;#ASMEND
	;;#ASMSTART
	v_dot2_f32_f16 v80, v117, v1, v80
	;;#ASMEND
	;;#ASMSTART
	v_dot2_f32_f16 v80, v118, v2, v80
	;;#ASMEND
	;;#ASMSTART
	v_dot2_f32_f16 v80, v119, v3, v80
	;;#ASMEND
	;;#ASMSTART
	v_dot2_f32_f16 v78, v116, v4, v78
	;;#ASMEND
	;;#ASMSTART
	v_dot2_f32_f16 v78, v117, v5, v78
	;;#ASMEND
	;;#ASMSTART
	v_dot2_f32_f16 v78, v118, v6, v78
	;;#ASMEND
	;;#ASMSTART
	v_dot2_f32_f16 v78, v119, v7, v78
	;;#ASMEND
	;;#ASMSTART
	v_dot2_f32_f16 v75, v116, v8, v75
	;;#ASMEND
	;;#ASMSTART
	v_dot2_f32_f16 v75, v117, v9, v75
	;;#ASMEND
	;;#ASMSTART
	v_dot2_f32_f16 v75, v118, v10, v75
	;;#ASMEND
	;;#ASMSTART
	v_dot2_f32_f16 v75, v119, v11, v75
	;;#ASMEND
	;;#ASMSTART
	v_dot2_f32_f16 v55, v116, v12, v55
	;;#ASMEND
	;;#ASMSTART
	v_dot2_f32_f16 v55, v117, v13, v55
	;;#ASMEND
	;;#ASMSTART
	v_dot2_f32_f16 v55, v118, v14, v55
	;;#ASMEND
	;;#ASMSTART
	v_dot2_f32_f16 v55, v119, v15, v55
	;;#ASMEND
	s_wait_dscnt 0x0
	;;#ASMSTART
	v_dot2_f32_f16 v114, v120, v0, v114
	;;#ASMEND
	;;#ASMSTART
	v_dot2_f32_f16 v114, v121, v1, v114
	;;#ASMEND
	;; [unrolled: 3-line block ×16, first 2 shown]
	s_cbranch_scc1 .LBB0_18
; %bb.20:                               ;   in Loop: Header=BB0_19 Depth=2
	s_barrier_signal -1
	s_barrier_wait -1
	s_addk_co_i32 s3, 0xc0
	s_mov_b32 s10, 0
	s_branch .LBB0_18
.LBB0_21:                               ;   in Loop: Header=BB0_17 Depth=1
	v_dual_add_nc_u32 v0, s4, v68 :: v_dual_lshlrev_b32 v30, 2, v59
	s_mul_u64 s[26:27], s[4:5], s[14:15]
	v_xor_b32_e32 v74, 16, v62
	s_lshl_b64 s[26:27], s[26:27], 2
	s_clause 0x3
	global_load_u16 v10, v0, s[30:31] scale_offset
	global_load_u16 v11, v0, s[30:31] offset:64 scale_offset
	global_load_u16 v12, v0, s[30:31] offset:128 scale_offset
	;; [unrolled: 1-line block ×3, first 2 shown]
	s_add_nc_u64 s[26:27], s[8:9], s[26:27]
	s_wait_loadcnt 0x0
	s_wait_xcnt 0x0
	v_add_nc_u64_e32 v[0:1], s[26:27], v[42:43]
	s_barrier_signal -1
	s_barrier_wait -1
	v_cmp_gt_i32_e32 vcc_lo, 32, v74
	s_delay_alu instid0(VALU_DEP_2)
	v_add_nc_u64_e32 v[0:1], v[0:1], v[30:31]
	s_clause 0x1
	global_load_b128 v[2:5], v[0:1], off
	global_load_b128 v[6:9], v[0:1], off offset:512
	s_wait_xcnt 0x0
	v_cvt_f32_f16_e32 v1, v10
	v_cvt_f32_f16_e32 v10, v11
	v_cndmask_b32_e32 v0, v62, v74, vcc_lo
	v_cvt_f32_f16_e32 v11, v12
	v_cvt_f32_f16_e32 v12, v13
	s_delay_alu instid0(VALU_DEP_4) | instskip(NEXT) | instid1(VALU_DEP_3)
	v_dual_add_f32 v18, v56, v1 :: v_dual_add_f32 v19, v77, v10
	v_dual_add_f32 v23, v57, v10 :: v_dual_add_f32 v20, v80, v11
	s_delay_alu instid0(VALU_DEP_3)
	v_dual_add_f32 v21, v114, v12 :: v_dual_add_f32 v22, v53, v1
	v_dual_add_f32 v56, v113, v12 :: v_dual_add_f32 v51, v51, v1
	v_dual_add_f32 v54, v54, v10 :: v_dual_add_f32 v57, v75, v11
	v_dual_add_f32 v113, v79, v12 :: v_dual_add_f32 v50, v50, v1
	v_dual_add_f32 v52, v52, v10 :: v_dual_add_f32 v55, v55, v11
	v_dual_add_f32 v114, v76, v12 :: v_dual_add_f32 v1, 0x40051340, v18
	v_add_f32_e32 v10, 0x40051340, v19
	v_add_f32_e32 v53, v78, v11
	v_dual_add_f32 v11, 0x40051340, v20 :: v_dual_add_f32 v12, 0x40051340, v21
	v_dual_add_f32 v13, 0x40051340, v22 :: v_dual_add_f32 v14, 0x40051340, v23
	s_delay_alu instid0(VALU_DEP_3) | instskip(SKIP_4) | instid1(VALU_DEP_4)
	v_add_f32_e32 v15, 0x40051340, v53
	v_max3_num_f32 v1, v46, v1, v10
	v_lshlrev_b32_e32 v0, 2, v0
	v_dual_add_f32 v16, 0x40051340, v56 :: v_dual_add_f32 v17, 0x40051340, v51
	v_max3_num_f32 v13, v49, v13, v14
	v_max3_num_f32 v1, v1, v11, v12
	v_dual_add_f32 v75, 0x40051340, v54 :: v_dual_add_f32 v76, 0x40051340, v57
	v_dual_add_f32 v77, 0x40051340, v113 :: v_dual_add_f32 v78, 0x40051340, v50
	s_delay_alu instid0(VALU_DEP_4)
	v_max3_num_f32 v11, v13, v15, v16
	ds_bpermute_b32 v13, v0, v1
	v_dual_add_f32 v79, 0x40051340, v52 :: v_dual_add_f32 v80, 0x40051340, v55
	v_add_f32_e32 v10, 0x40051340, v114
	v_max3_num_f32 v14, v48, v17, v75
	v_xor_b32_e32 v75, 8, v62
	s_delay_alu instid0(VALU_DEP_4) | instskip(SKIP_1) | instid1(VALU_DEP_4)
	v_max3_num_f32 v17, v47, v78, v79
	v_xor_b32_e32 v78, 1, v62
	v_max3_num_f32 v12, v14, v76, v77
	ds_bpermute_b32 v14, v0, v11
	v_cmp_gt_i32_e32 vcc_lo, 32, v75
	v_xor_b32_e32 v76, 4, v62
	v_xor_b32_e32 v77, 2, v62
	ds_bpermute_b32 v15, v0, v12
	s_wait_dscnt 0x2
	v_max_num_f32_e32 v13, v13, v13
	v_max3_num_f32 v10, v17, v80, v10
	ds_bpermute_b32 v0, v0, v10
	v_cndmask_b32_e32 v16, v62, v75, vcc_lo
	v_cmp_gt_i32_e32 vcc_lo, 32, v76
	s_wait_dscnt 0x1
	v_dual_max_num_f32 v14, v14, v14 :: v_dual_max_num_f32 v15, v15, v15
	s_delay_alu instid0(VALU_DEP_1) | instskip(SKIP_2) | instid1(VALU_DEP_3)
	v_dual_max_num_f32 v1, v1, v13 :: v_dual_max_num_f32 v11, v11, v14
	s_wait_dscnt 0x0
	v_max_num_f32_e32 v0, v0, v0
	v_dual_lshlrev_b32 v16, 2, v16 :: v_dual_max_num_f32 v12, v12, v15
	s_delay_alu instid0(VALU_DEP_2)
	v_max_num_f32_e32 v0, v10, v0
	ds_bpermute_b32 v10, v16, v1
	ds_bpermute_b32 v13, v16, v11
	;; [unrolled: 1-line block ×4, first 2 shown]
	v_cndmask_b32_e32 v16, v62, v76, vcc_lo
	v_cmp_gt_i32_e32 vcc_lo, 32, v77
	s_wait_dscnt 0x2
	v_dual_max_num_f32 v10, v10, v10 :: v_dual_max_num_f32 v13, v13, v13
	s_wait_dscnt 0x1
	v_dual_lshlrev_b32 v16, 2, v16 :: v_dual_max_num_f32 v14, v14, v14
	s_wait_dscnt 0x0
	s_delay_alu instid0(VALU_DEP_2) | instskip(NEXT) | instid1(VALU_DEP_2)
	v_dual_max_num_f32 v15, v15, v15 :: v_dual_max_num_f32 v1, v1, v10
	v_dual_max_num_f32 v10, v11, v13 :: v_dual_max_num_f32 v11, v12, v14
	s_delay_alu instid0(VALU_DEP_2)
	v_max_num_f32_e32 v0, v0, v15
	ds_bpermute_b32 v12, v16, v1
	ds_bpermute_b32 v13, v16, v10
	;; [unrolled: 1-line block ×4, first 2 shown]
	s_wait_dscnt 0x3
	v_dual_max_num_f32 v12, v12, v12 :: v_dual_cndmask_b32 v16, v62, v77, vcc_lo
	s_wait_dscnt 0x1
	v_dual_max_num_f32 v13, v13, v13 :: v_dual_max_num_f32 v14, v14, v14
	s_wait_dscnt 0x0
	s_delay_alu instid0(VALU_DEP_2) | instskip(NEXT) | instid1(VALU_DEP_2)
	v_dual_max_num_f32 v15, v15, v15 :: v_dual_max_num_f32 v12, v1, v12
	v_dual_lshlrev_b32 v16, 2, v16 :: v_dual_max_num_f32 v10, v10, v13
	s_delay_alu instid0(VALU_DEP_2)
	v_dual_max_num_f32 v11, v11, v14 :: v_dual_max_num_f32 v13, v0, v15
	v_cmp_gt_i32_e32 vcc_lo, 32, v78
	ds_bpermute_b32 v14, v16, v12
	ds_bpermute_b32 v15, v16, v10
	;; [unrolled: 1-line block ×4, first 2 shown]
	v_add_nc_u64_e32 v[0:1], s[26:27], v[44:45]
	v_cndmask_b32_e32 v79, v62, v78, vcc_lo
	s_or_b32 s26, s4, 16
	s_delay_alu instid0(SALU_CYCLE_1) | instskip(NEXT) | instid1(SALU_CYCLE_1)
	s_ashr_i32 s27, s26, 31
	s_mul_u64 s[26:27], s[26:27], s[14:15]
	s_delay_alu instid0(VALU_DEP_2) | instskip(SKIP_1) | instid1(SALU_CYCLE_1)
	v_add_nc_u64_e32 v[0:1], v[0:1], v[30:31]
	s_lshl_b64 s[26:27], s[26:27], 2
	s_add_nc_u64 s[26:27], s[8:9], s[26:27]
	s_wait_dscnt 0x2
	v_dual_max_num_f32 v14, v14, v14 :: v_dual_max_num_f32 v15, v15, v15
	s_wait_dscnt 0x1
	v_dual_lshlrev_b32 v79, 2, v79 :: v_dual_max_num_f32 v17, v17, v17
	s_wait_dscnt 0x0
	v_max_num_f32_e32 v16, v16, v16
	v_dual_max_num_f32 v115, v12, v14 :: v_dual_max_num_f32 v116, v10, v15
	s_delay_alu instid0(VALU_DEP_3)
	v_max_num_f32_e32 v117, v11, v17
	ds_bpermute_b32 v119, v79, v115
	v_max_num_f32_e32 v118, v13, v16
	s_clause 0x1
	global_load_b128 v[10:13], v[0:1], off
	global_load_b128 v[14:17], v[0:1], off offset:512
	ds_bpermute_b32 v120, v79, v116
	ds_bpermute_b32 v121, v79, v117
	v_add_nc_u32_e32 v80, 0x9000, v60
	s_wait_loadcnt 0x3
	ds_store_b128 v70, v[2:5]
	s_wait_loadcnt 0x2
	ds_store_b128 v71, v[6:9]
	s_wait_dscnt 0x4
	s_wait_xcnt 0x0
	v_max_num_f32_e32 v0, v119, v119
	ds_bpermute_b32 v122, v79, v118
	v_add_nc_u32_e32 v123, v69, v60
	s_wait_dscnt 0x3
	v_dual_max_num_f32 v1, v120, v120 :: v_dual_max_num_f32 v119, v121, v121
	s_delay_alu instid0(VALU_DEP_1) | instskip(NEXT) | instid1(VALU_DEP_1)
	v_dual_max_num_f32 v2, v117, v119 :: v_dual_add_nc_u32 v79, 0x9800, v60
	v_sub_f32_e32 v51, v51, v2
	s_wait_dscnt 0x0
	v_max_num_f32_e32 v120, v122, v122
	s_delay_alu instid0(VALU_DEP_1) | instskip(SKIP_2) | instid1(VALU_DEP_3)
	v_max_num_f32_e32 v3, v118, v120
	v_dual_max_num_f32 v0, v115, v0 :: v_dual_max_num_f32 v1, v116, v1
	v_dual_sub_f32 v113, v113, v2 :: v_dual_sub_f32 v115, v48, v2
	v_sub_f32_e32 v48, v50, v3
	s_delay_alu instid0(VALU_DEP_3)
	v_dual_sub_f32 v4, v18, v0 :: v_dual_sub_f32 v5, v19, v0
	v_dual_sub_f32 v6, v20, v0 :: v_dual_sub_f32 v7, v21, v0
	;; [unrolled: 1-line block ×7, first 2 shown]
	v_dual_mul_f32 v8, 0x3fb8aa3b, v4 :: v_dual_mul_f32 v23, 0x3fb8aa3b, v6
	v_dual_mul_f32 v22, 0x3fb8aa3b, v5 :: v_dual_mul_f32 v47, 0x3fb8aa3b, v18
	;; [unrolled: 1-line block ×3, first 2 shown]
	v_dual_sub_f32 v52, v52, v3 :: v_dual_sub_f32 v55, v55, v3
	v_dual_mul_f32 v46, 0x3fb8aa3b, v7 :: v_dual_mul_f32 v57, 0x3fb8aa3b, v20
	v_dual_mul_f32 v56, 0x3fb8aa3b, v19 :: v_dual_mul_f32 v117, 0x3fb8aa3b, v21
	;; [unrolled: 1-line block ×4, first 2 shown]
	v_fma_f32 v134, 0x3fb8aa3b, v6, -v23
	v_rndne_f32_e32 v135, v23
	v_rndne_f32_e32 v139, v47
	v_mul_f32_e32 v128, 0x3fb8aa3b, v114
	v_fma_f32 v140, 0x3fb8aa3b, v9, -v50
	v_rndne_f32_e32 v141, v50
	v_rndne_f32_e32 v151, v119
	v_dual_mul_f32 v122, 0x3fb8aa3b, v113 :: v_dual_mul_f32 v127, 0x3fb8aa3b, v55
	v_dual_mul_f32 v126, 0x3fb8aa3b, v52 :: v_dual_sub_f32 v23, v23, v135
	v_rndne_f32_e32 v131, v8
	v_fma_f32 v132, 0x3fb8aa3b, v5, -v22
	v_rndne_f32_e32 v133, v22
	v_rndne_f32_e32 v137, v46
	v_fma_f32 v138, 0x3fb8aa3b, v18, -v47
	v_fma_f32 v142, 0x3fb8aa3b, v19, -v56
	v_rndne_f32_e32 v143, v56
	v_rndne_f32_e32 v149, v118
	v_fma_f32 v150, 0x3fb8aa3b, v51, -v119
	v_rndne_f32_e32 v159, v124
	v_dual_fmac_f32 v134, 0x32a5705f, v6 :: v_dual_sub_f32 v119, v119, v151
	v_dual_fmac_f32 v140, 0x32a5705f, v9 :: v_dual_sub_f32 v47, v47, v139
	v_rndne_f32_e32 v167, v128
	v_sub_f32_e32 v50, v50, v141
	v_fma_f32 v130, 0x3fb8aa3b, v4, -v8
	v_fma_f32 v136, 0x3fb8aa3b, v7, -v46
	;; [unrolled: 1-line block ×3, first 2 shown]
	v_rndne_f32_e32 v145, v57
	v_rndne_f32_e32 v147, v117
	v_fma_f32 v148, 0x3fb8aa3b, v49, -v118
	v_fma_f32 v158, 0x3fb8aa3b, v115, -v124
	v_rndne_f32_e32 v165, v127
	v_fma_f32 v166, 0x3fb8aa3b, v114, -v128
	v_fmac_f32_e32 v132, 0x32a5705f, v5
	v_fmac_f32_e32 v142, 0x32a5705f, v19
	v_dual_sub_f32 v8, v8, v131 :: v_dual_sub_f32 v22, v22, v133
	v_dual_sub_f32 v46, v46, v137 :: v_dual_sub_f32 v56, v56, v143
	;; [unrolled: 1-line block ×3, first 2 shown]
	v_dual_sub_f32 v124, v124, v159 :: v_dual_add_f32 v23, v23, v134
	v_add_f32_e32 v50, v50, v140
	v_fma_f32 v146, 0x3fb8aa3b, v21, -v117
	v_fma_f32 v164, 0x3fb8aa3b, v55, -v127
	v_rndne_f32_e32 v169, v129
	v_dual_fmac_f32 v130, 0x32a5705f, v4 :: v_dual_sub_f32 v57, v57, v145
	v_dual_fmac_f32 v144, 0x32a5705f, v20 :: v_dual_sub_f32 v117, v117, v147
	v_dual_sub_f32 v127, v127, v165 :: v_dual_add_f32 v22, v22, v132
	v_add_f32_e32 v56, v56, v142
	v_exp_f32_e32 v50, v50
	v_rndne_f32_e32 v155, v121
	v_cvt_i32_f32_e32 v141, v141
	v_fma_f32 v168, 0x3fb8aa3b, v116, -v129
	v_sub_f32_e32 v129, v129, v169
	v_dual_fmac_f32 v148, 0x32a5705f, v49 :: v_dual_add_f32 v57, v57, v144
	v_exp_f32_e32 v56, v56
	v_dual_mul_f32 v120, 0x3fb8aa3b, v53 :: v_dual_mul_f32 v125, 0x3fb8aa3b, v48
	v_fma_f32 v154, 0x3fb8aa3b, v54, -v121
	v_dual_fmac_f32 v138, 0x32a5705f, v18 :: v_dual_sub_f32 v121, v121, v155
	v_fmac_f32_e32 v146, 0x32a5705f, v21
	v_cvt_i32_f32_e32 v143, v143
	v_ldexp_f32 v50, v50, v141
	v_cmp_ngt_f32_e32 vcc_lo, 0xc2ce8ed0, v9
	v_exp_f32_e32 v22, v22
	v_exp_f32_e32 v57, v57
	v_fma_f32 v160, 0x3fb8aa3b, v48, -v125
	v_rndne_f32_e32 v161, v125
	v_cvt_i32_f32_e32 v133, v133
	v_cvt_i32_f32_e32 v145, v145
	v_dual_add_f32 v47, v47, v138 :: v_dual_fmac_f32 v150, 0x32a5705f, v51
	v_dual_add_f32 v117, v117, v146 :: v_dual_add_f32 v118, v118, v148
	v_cndmask_b32_e32 v50, 0, v50, vcc_lo
	v_ldexp_f32 v56, v56, v143
	v_cmp_ngt_f32_e32 vcc_lo, 0xc2ce8ed0, v19
	v_dual_fmac_f32 v136, 0x32a5705f, v7 :: v_dual_sub_f32 v125, v125, v161
	v_exp_f32_e32 v117, v117
	v_ldexp_f32 v22, v22, v133
	v_ldexp_f32 v57, v57, v145
	v_cndmask_b32_e32 v56, 0, v56, vcc_lo
	v_cmp_ngt_f32_e32 vcc_lo, 0xc2ce8ed0, v20
	v_fmac_f32_e32 v160, 0x32a5705f, v48
	v_cvt_i32_f32_e32 v147, v147
	v_exp_f32_e32 v118, v118
	v_fma_f32 v156, 0x3fb8aa3b, v113, -v122
	v_dual_cndmask_b32 v57, 0, v57 :: v_dual_fmac_f32 v154, 0x32a5705f, v54
	v_add_f32_e32 v125, v125, v160
	v_rndne_f32_e32 v157, v122
	v_fma_f32 v162, 0x3fb8aa3b, v52, -v126
	v_cvt_i32_f32_e32 v149, v149
	v_ldexp_f32 v117, v117, v147
	v_cmp_ngt_f32_e32 vcc_lo, 0xc2ce8ed0, v21
	v_exp_f32_e32 v125, v125
	v_dual_fmac_f32 v156, 0x32a5705f, v113 :: v_dual_add_f32 v121, v121, v154
	s_delay_alu instid0(VALU_DEP_3) | instskip(SKIP_4) | instid1(VALU_DEP_4)
	v_dual_fmac_f32 v162, 0x32a5705f, v52 :: v_dual_cndmask_b32 v117, 0, v117
	v_dual_sub_f32 v122, v122, v157 :: v_dual_add_f32 v8, v8, v130
	v_cvt_i32_f32_e32 v161, v161
	v_ldexp_f32 v118, v118, v149
	v_cmp_ngt_f32_e32 vcc_lo, 0xc2ce8ed0, v49
	v_add_f32_e32 v122, v122, v156
	v_cvt_i32_f32_e32 v169, v169
	v_ldexp_f32 v125, v125, v161
	v_exp_f32_e32 v8, v8
	v_cndmask_b32_e32 v118, 0, v118, vcc_lo
	v_cmp_ngt_f32_e32 vcc_lo, 0xc2ce8ed0, v48
	v_fmac_f32_e32 v166, 0x32a5705f, v114
	v_cvt_i32_f32_e32 v131, v131
	v_exp_f32_e32 v23, v23
	v_cvt_i32_f32_e32 v135, v135
	v_cndmask_b32_e32 v125, 0, v125, vcc_lo
	v_cmp_ngt_f32_e32 vcc_lo, 0xc2ce8ed0, v116
	v_fmac_f32_e32 v168, 0x32a5705f, v116
	v_fmac_f32_e32 v164, 0x32a5705f, v55
	v_ldexp_f32 v8, v8, v131
	v_ldexp_f32 v23, v23, v135
	v_fma_f32 v152, 0x3fb8aa3b, v53, -v120
	v_dual_add_f32 v129, v129, v168 :: v_dual_fmac_f32 v158, 0x32a5705f, v115
	v_add_f32_e32 v127, v127, v164
	v_add_f32_e32 v46, v46, v136
	v_rndne_f32_e32 v153, v120
	s_delay_alu instid0(VALU_DEP_4)
	v_exp_f32_e32 v129, v129
	v_add_f32_e32 v124, v124, v158
	v_cvt_i32_f32_e32 v137, v137
	v_exp_f32_e32 v46, v46
	v_rndne_f32_e32 v163, v126
	v_dual_fmac_f32 v152, 0x32a5705f, v53 :: v_dual_add_f32 v119, v119, v150
	s_delay_alu instid0(TRANS32_DEP_2) | instskip(NEXT) | instid1(VALU_DEP_3)
	v_ldexp_f32 v129, v129, v169
	v_dual_sub_f32 v120, v120, v153 :: v_dual_sub_f32 v126, v126, v163
	v_exp_f32_e32 v47, v47
	v_cvt_i32_f32_e32 v139, v139
	s_delay_alu instid0(VALU_DEP_3)
	v_cndmask_b32_e32 v129, 0, v129, vcc_lo
	v_cmp_ngt_f32_e32 vcc_lo, 0xc2ce8ed0, v4
	v_ldexp_f32 v46, v46, v137
	v_dual_add_f32 v120, v120, v152 :: v_dual_add_f32 v126, v126, v162
	v_exp_f32_e32 v119, v119
	v_cndmask_b32_e32 v8, 0, v8, vcc_lo
	v_cmp_ngt_f32_e32 vcc_lo, 0xc2ce8ed0, v5
	v_cvt_i32_f32_e32 v151, v151
	v_ldexp_f32 v47, v47, v139
	v_exp_f32_e32 v120, v120
	v_cvt_i32_f32_e32 v153, v153
	v_cndmask_b32_e32 v22, 0, v22, vcc_lo
	v_cmp_ngt_f32_e32 vcc_lo, 0xc2ce8ed0, v6
	v_ldexp_f32 v119, v119, v151
	v_exp_f32_e32 v126, v126
	v_cvt_i32_f32_e32 v163, v163
	v_ldexp_f32 v120, v120, v153
	v_cndmask_b32_e32 v23, 0, v23, vcc_lo
	v_cmp_ngt_f32_e32 vcc_lo, 0xc2ce8ed0, v7
	v_exp_f32_e32 v121, v121
	v_cvt_i32_f32_e32 v155, v155
	v_ldexp_f32 v126, v126, v163
	v_exp_f32_e32 v122, v122
	v_cndmask_b32_e32 v130, 0, v46, vcc_lo
	v_cmp_ngt_f32_e32 vcc_lo, 0xc2ce8ed0, v18
	v_cvt_i32_f32_e32 v157, v157
	v_ldexp_f32 v121, v121, v155
	v_add_f32_e32 v128, v128, v166
	v_exp_f32_e32 v127, v127
	v_cndmask_b32_e32 v131, 0, v47, vcc_lo
	v_cmp_ngt_f32_e32 vcc_lo, 0xc2ce8ed0, v51
	v_cvt_i32_f32_e32 v165, v165
	v_ldexp_f32 v122, v122, v157
	v_exp_f32_e32 v128, v128
	v_cvt_i32_f32_e32 v167, v167
	v_cndmask_b32_e32 v119, 0, v119, vcc_lo
	v_cmp_ngt_f32_e32 vcc_lo, 0xc2ce8ed0, v53
	v_ldexp_f32 v127, v127, v165
	v_exp_f32_e32 v124, v124
	v_cvt_i32_f32_e32 v159, v159
	v_ldexp_f32 v128, v128, v167
	v_cndmask_b32_e32 v120, 0, v120, vcc_lo
	v_cmp_ngt_f32_e32 vcc_lo, 0xc2ce8ed0, v52
	s_delay_alu instid0(TRANS32_DEP_1) | instid1(VALU_DEP_4)
	v_ldexp_f32 v124, v124, v159
	v_cndmask_b32_e32 v126, 0, v126, vcc_lo
	v_cmp_ngt_f32_e32 vcc_lo, 0xc2ce8ed0, v54
	v_cndmask_b32_e32 v121, 0, v121, vcc_lo
	v_cmp_ngt_f32_e32 vcc_lo, 0xc2ce8ed0, v113
	;; [unrolled: 2-line block ×5, first 2 shown]
	v_cndmask_b32_e32 v124, 0, v124, vcc_lo
	v_cmp_nlt_f32_e32 vcc_lo, 0x42b17218, v4
	v_cndmask_b32_e32 v8, 0x7f800000, v8, vcc_lo
	v_cmp_nlt_f32_e32 vcc_lo, 0x42b17218, v9
	;; [unrolled: 2-line block ×3, first 2 shown]
	s_delay_alu instid0(VALU_DEP_2) | instskip(SKIP_4) | instid1(VALU_DEP_2)
	v_cvt_pk_f16_f32 v4, v8, v9
	v_cndmask_b32_e32 v46, 0x7f800000, v22, vcc_lo
	v_cmp_nlt_f32_e32 vcc_lo, 0x42b17218, v19
	v_cndmask_b32_e32 v47, 0x7f800000, v56, vcc_lo
	v_cmp_nlt_f32_e32 vcc_lo, 0x42b17218, v6
	v_cvt_pk_f16_f32 v6, v46, v47
	v_cndmask_b32_e32 v22, 0x7f800000, v23, vcc_lo
	v_cmp_nlt_f32_e32 vcc_lo, 0x42b17218, v20
	v_cndmask_b32_e32 v23, 0x7f800000, v57, vcc_lo
	v_cmp_nlt_f32_e32 vcc_lo, 0x42b17218, v7
	;; [unrolled: 2-line block ×6, first 2 shown]
	s_delay_alu instid0(VALU_DEP_2) | instskip(SKIP_2) | instid1(VALU_DEP_3)
	v_cvt_f16_f32_e32 v118, v19
	v_cndmask_b32_e32 v50, 0x7f800000, v119, vcc_lo
	v_cmp_nlt_f32_e32 vcc_lo, 0x42b17218, v48
	v_and_b32_e32 v134, 0xffff, v118
	v_cndmask_b32_e32 v51, 0x7f800000, v125, vcc_lo
	v_cmp_nlt_f32_e32 vcc_lo, 0x42b17218, v53
	s_delay_alu instid0(VALU_DEP_3) | instskip(NEXT) | instid1(VALU_DEP_3)
	v_mul_u32_u24_e32 v134, 0x10001, v134
	v_cvt_pk_f16_f32 v5, v50, v51
	v_cndmask_b32_e32 v56, 0x7f800000, v120, vcc_lo
	v_cmp_nlt_f32_e32 vcc_lo, 0x42b17218, v52
	s_delay_alu instid0(VALU_DEP_4)
	v_pk_mul_f16 v100, v100, v134
	v_pk_mul_f16 v101, v101, v134
	;; [unrolled: 1-line block ×4, first 2 shown]
	v_cndmask_b32_e32 v57, 0x7f800000, v126, vcc_lo
	v_cmp_nlt_f32_e32 vcc_lo, 0x42b17218, v54
	v_pk_mul_f16 v104, v104, v134
	v_pk_mul_f16 v98, v98, v134
	;; [unrolled: 1-line block ×3, first 2 shown]
	v_cvt_pk_f16_f32 v7, v56, v57
	v_cndmask_b32_e32 v54, 0x7f800000, v121, vcc_lo
	v_cmp_nlt_f32_e32 vcc_lo, 0x42b17218, v113
	v_cvt_f16_f32_e32 v113, v18
	v_cndmask_b32_e32 v48, 0x7f800000, v122, vcc_lo
	v_cmp_nlt_f32_e32 vcc_lo, 0x42b17218, v55
	s_delay_alu instid0(VALU_DEP_3) | instskip(SKIP_3) | instid1(VALU_DEP_4)
	v_and_b32_e32 v113, 0xffff, v113
	v_cndmask_b32_e32 v55, 0x7f800000, v127, vcc_lo
	v_cmp_nlt_f32_e32 vcc_lo, 0x42b17218, v114
	v_cvt_pk_f16_f32 v114, v22, v23
	v_mul_u32_u24_e32 v113, 0x10001, v113
	v_cndmask_b32_e32 v49, 0x7f800000, v128, vcc_lo
	v_cmp_nlt_f32_e32 vcc_lo, 0x42b17218, v115
	v_cvt_pk_f16_f32 v115, v54, v55
	s_delay_alu instid0(VALU_DEP_4)
	v_pk_mul_f16 v108, v108, v113
	v_pk_mul_f16 v112, v112, v113
	v_cvt_pk_f16_f32 v117, v48, v49
	v_cndmask_b32_e32 v52, 0x7f800000, v124, vcc_lo
	v_cmp_nlt_f32_e32 vcc_lo, 0x42b17218, v116
	v_cvt_pk_f16_f32 v116, v20, v21
	ds_store_2addr_b64 v123, v[4:5], v[6:7] offset1:32
	ds_store_2addr_b64 v123, v[114:115], v[116:117] offset0:64 offset1:96
	v_cndmask_b32_e32 v53, 0x7f800000, v129, vcc_lo
	v_cvt_f16_f32_e32 v119, v52
	s_wait_loadcnt 0x1
	ds_store_b128 v72, v[10:13]
	s_wait_loadcnt 0x0
	ds_store_b128 v73, v[14:17]
	s_wait_dscnt 0x0
	s_barrier_signal -1
	v_cvt_f16_f32_e32 v120, v53
	v_and_b32_e32 v135, 0xffff, v119
	s_barrier_wait -1
	v_pk_mul_f16 v111, v111, v113
	s_delay_alu instid0(VALU_DEP_3)
	v_and_b32_e32 v136, 0xffff, v120
	ds_load_b128 v[4:7], v69
	ds_load_b128 v[10:13], v69 offset:16
	ds_load_2addr_b64 v[14:17], v80 offset0:64 offset1:96
	ds_load_2addr_b64 v[114:117], v80 offset1:32
	ds_load_2addr_b64 v[118:121], v80 offset0:192 offset1:224
	ds_load_2addr_b64 v[122:125], v80 offset0:128 offset1:160
	ds_load_2addr_b64 v[126:129], v79 offset1:32
	v_mul_u32_u24_e32 v135, 0x10001, v135
	ds_load_2addr_b64 v[130:133], v79 offset0:64 offset1:96
	v_pk_mul_f16 v110, v110, v113
	v_mul_u32_u24_e32 v136, 0x10001, v136
	v_pk_mul_f16 v109, v109, v113
	v_pk_mul_f16 v92, v92, v135
	;; [unrolled: 1-line block ×12, first 2 shown]
	s_wait_dscnt 0x7
	v_and_b32_e32 v136, 0xffff, v4
	v_lshrrev_b32_e32 v4, 16, v4
	v_and_b32_e32 v137, 0xffff, v5
	v_lshrrev_b32_e32 v5, 16, v5
	v_pk_mul_f16 v95, v95, v135
	v_pk_mul_f16 v107, v107, v113
	v_mul_u32_u24_e32 v136, 0x10001, v136
	v_mul_u32_u24_e32 v4, 0x10001, v4
	;; [unrolled: 1-line block ×4, first 2 shown]
	v_pk_mul_f16 v106, v106, v113
	v_and_b32_e32 v138, 0xffff, v6
	v_lshrrev_b32_e32 v6, 16, v6
	v_and_b32_e32 v139, 0xffff, v7
	v_lshrrev_b32_e32 v7, 16, v7
	s_wait_dscnt 0x5
	v_pk_fma_f16 v108, v14, v136, v108
	v_pk_fma_f16 v100, v14, v4, v100
	;; [unrolled: 1-line block ×16, first 2 shown]
	s_wait_dscnt 0x4
	v_pk_fma_f16 v86, v114, v5, v87
	v_pk_fma_f16 v87, v115, v5, v88
	;; [unrolled: 1-line block ×6, first 2 shown]
	v_pk_mul_f16 v107, v114, v136
	v_pk_fma_f16 v104, v115, v4, v104
	v_pk_fma_f16 v98, v116, v4, v98
	;; [unrolled: 1-line block ×3, first 2 shown]
	v_pk_mul_f16 v4, v114, v4
	v_pk_mul_f16 v109, v114, v137
	v_lshrrev_b32_e32 v140, 16, v10
	v_and_b32_e32 v10, 0xffff, v10
	v_and_b32_e32 v141, 0xffff, v11
	v_lshrrev_b32_e32 v11, 16, v11
	v_mul_u32_u24_e32 v138, 0x10001, v138
	v_mul_u32_u24_e32 v6, 0x10001, v6
	;; [unrolled: 1-line block ×4, first 2 shown]
	v_pk_fma_f16 v106, v117, v136, v106
	v_pk_fma_f16 v105, v105, v113, v107
	;; [unrolled: 1-line block ×4, first 2 shown]
	v_mul_u32_u24_e32 v10, 0x10001, v10
	v_mul_u32_u24_e32 v140, 0x10001, v140
	;; [unrolled: 1-line block ×4, first 2 shown]
	s_wait_dscnt 0x3
	v_pk_fma_f16 v108, v118, v138, v108
	v_pk_fma_f16 v100, v118, v6, v100
	;; [unrolled: 1-line block ×12, first 2 shown]
	s_wait_dscnt 0x2
	v_pk_fma_f16 v86, v122, v7, v86
	v_pk_fma_f16 v87, v123, v7, v87
	;; [unrolled: 1-line block ×13, first 2 shown]
	s_wait_dscnt 0x1
	v_pk_fma_f16 v89, v127, v10, v7
	v_pk_fma_f16 v83, v128, v10, v83
	;; [unrolled: 1-line block ×7, first 2 shown]
	s_wait_dscnt 0x0
	v_pk_fma_f16 v108, v130, v10, v108
	v_pk_fma_f16 v81, v131, v10, v81
	;; [unrolled: 1-line block ×6, first 2 shown]
	ds_load_2addr_b64 v[4:7], v79 offset0:128 offset1:160
	v_pk_fma_f16 v101, v132, v140, v102
	v_pk_fma_f16 v102, v133, v140, v103
	;; [unrolled: 1-line block ×4, first 2 shown]
	v_and_b32_e32 v14, 0xffff, v12
	v_lshrrev_b32_e32 v12, 16, v12
	v_and_b32_e32 v15, 0xffff, v13
	v_lshrrev_b32_e32 v84, 16, v13
	v_pk_mul_f16 v96, v96, v135
	v_mul_u32_u24_e32 v112, 0x10001, v14
	v_mul_u32_u24_e32 v113, 0x10001, v12
	;; [unrolled: 1-line block ×3, first 2 shown]
	ds_load_2addr_b64 v[12:15], v79 offset0:192 offset1:224
	v_pk_mul_f16 v90, v90, v135
	v_pk_mul_f16 v91, v91, v135
	v_pk_fma_f16 v96, v115, v137, v96
	v_pk_fma_f16 v82, v128, v11, v82
	v_mul_u32_u24_e32 v115, 0x10001, v84
	v_pk_fma_f16 v90, v116, v137, v90
	v_pk_fma_f16 v91, v117, v137, v91
	;; [unrolled: 1-line block ×8, first 2 shown]
	s_wait_dscnt 0x1
	v_pk_fma_f16 v118, v6, v112, v83
	v_pk_fma_f16 v120, v6, v115, v82
	ds_load_b128 v[82:85], v69 offset:32
	v_pk_fma_f16 v86, v126, v11, v86
	v_pk_fma_f16 v97, v127, v140, v97
	;; [unrolled: 1-line block ×10, first 2 shown]
	s_wait_dscnt 0x1
	v_pk_fma_f16 v123, v12, v113, v10
	v_add_nc_u32_e32 v10, 0xa000, v60
	v_pk_fma_f16 v95, v121, v139, v95
	v_pk_fma_f16 v16, v132, v11, v16
	;; [unrolled: 1-line block ×21, first 2 shown]
	ds_load_2addr_b64 v[4:7], v10 offset1:32
	v_pk_fma_f16 v112, v12, v114, v92
	v_pk_fma_f16 v12, v12, v115, v103
	;; [unrolled: 1-line block ×3, first 2 shown]
	ds_load_2addr_b64 v[90:93], v10 offset0:64 offset1:96
	v_pk_fma_f16 v94, v132, v141, v94
	v_pk_fma_f16 v100, v13, v113, v100
	v_pk_fma_f16 v101, v14, v113, v101
	v_pk_fma_f16 v13, v13, v115, v111
	ds_load_b128 v[86:89], v69 offset:48
	v_pk_fma_f16 v94, v14, v114, v94
	v_pk_fma_f16 v14, v14, v115, v16
	s_wait_dscnt 0x3
	v_and_b32_e32 v16, 0xffff, v82
	v_lshrrev_b32_e32 v82, 16, v82
	v_and_b32_e32 v111, 0xffff, v83
	v_lshrrev_b32_e32 v83, 16, v83
	v_pk_fma_f16 v95, v133, v141, v95
	v_pk_fma_f16 v102, v15, v113, v102
	v_mul_u32_u24_e32 v16, 0x10001, v16
	v_mul_u32_u24_e32 v82, 0x10001, v82
	;; [unrolled: 1-line block ×4, first 2 shown]
	v_pk_fma_f16 v95, v15, v114, v95
	v_pk_fma_f16 v11, v15, v115, v11
	s_wait_dscnt 0x2
	v_pk_fma_f16 v17, v4, v16, v17
	v_pk_fma_f16 v104, v4, v82, v104
	;; [unrolled: 1-line block ×8, first 2 shown]
	s_wait_dscnt 0x1
	v_pk_fma_f16 v108, v90, v16, v108
	v_pk_fma_f16 v81, v91, v16, v81
	;; [unrolled: 1-line block ×12, first 2 shown]
	v_and_b32_e32 v12, 0xffff, v84
	v_lshrrev_b32_e32 v13, 16, v84
	v_pk_fma_f16 v105, v4, v111, v105
	v_pk_fma_f16 v106, v4, v83, v106
	;; [unrolled: 1-line block ×8, first 2 shown]
	ds_load_2addr_b64 v[4:7], v10 offset0:128 offset1:160
	v_pk_fma_f16 v94, v92, v111, v94
	v_pk_fma_f16 v95, v93, v111, v95
	;; [unrolled: 1-line block ×3, first 2 shown]
	v_mul_u32_u24_e32 v111, 0x10001, v12
	v_mul_u32_u24_e32 v112, 0x10001, v13
	ds_load_2addr_b64 v[12:15], v10 offset0:192 offset1:224
	v_and_b32_e32 v92, 0xffff, v85
	v_lshrrev_b32_e32 v85, 16, v85
	v_pk_fma_f16 v93, v93, v83, v11
	v_add_nc_u32_e32 v11, 0xa800, v60
	s_wait_dscnt 0x2
	v_lshrrev_b32_e32 v83, 16, v86
	v_mul_u32_u24_e32 v92, 0x10001, v92
	v_mul_u32_u24_e32 v120, 0x10001, v85
	v_add_nc_u64_e32 v[126:127], s[26:27], v[44:45]
	s_wait_dscnt 0x1
	v_pk_fma_f16 v17, v4, v111, v17
	v_pk_fma_f16 v113, v5, v111, v113
	;; [unrolled: 1-line block ×6, first 2 shown]
	s_wait_dscnt 0x0
	v_pk_fma_f16 v108, v12, v111, v108
	v_pk_fma_f16 v81, v13, v111, v81
	;; [unrolled: 1-line block ×5, first 2 shown]
	v_and_b32_e32 v82, 0xffff, v86
	v_pk_fma_f16 v106, v4, v120, v106
	v_pk_fma_f16 v97, v5, v112, v97
	;; [unrolled: 1-line block ×12, first 2 shown]
	ds_load_2addr_b64 v[4:7], v11 offset1:32
	v_pk_fma_f16 v101, v14, v112, v101
	v_pk_fma_f16 v102, v12, v92, v102
	v_pk_fma_f16 v103, v13, v92, v103
	v_pk_fma_f16 v94, v14, v92, v94
	v_pk_fma_f16 v12, v12, v120, v90
	v_pk_fma_f16 v13, v13, v120, v91
	v_pk_fma_f16 v14, v14, v120, v84
	v_mul_u32_u24_e32 v90, 0x10001, v82
	v_mul_u32_u24_e32 v91, 0x10001, v83
	ds_load_2addr_b64 v[82:85], v11 offset0:64 offset1:96
	v_and_b32_e32 v86, 0xffff, v87
	v_lshrrev_b32_e32 v87, 16, v87
	v_pk_fma_f16 v92, v15, v92, v95
	v_pk_fma_f16 v93, v15, v120, v93
	v_lshrrev_b32_e32 v15, 16, v88
	v_mul_u32_u24_e32 v86, 0x10001, v86
	v_mul_u32_u24_e32 v87, 0x10001, v87
	v_add_nc_u64_e32 v[142:143], v[126:127], v[30:31]
	s_wait_dscnt 0x1
	v_pk_fma_f16 v95, v4, v90, v17
	v_pk_fma_f16 v105, v4, v86, v105
	;; [unrolled: 1-line block ×10, first 2 shown]
	s_wait_dscnt 0x0
	v_pk_fma_f16 v108, v82, v90, v108
	v_pk_fma_f16 v81, v83, v90, v81
	;; [unrolled: 1-line block ×10, first 2 shown]
	v_and_b32_e32 v16, 0xffff, v89
	v_lshrrev_b32_e32 v82, 16, v89
	v_pk_fma_f16 v104, v4, v91, v104
	v_pk_fma_f16 v106, v4, v87, v106
	;; [unrolled: 1-line block ×7, first 2 shown]
	ds_load_2addr_b64 v[4:7], v11 offset0:128 offset1:160
	v_pk_fma_f16 v101, v84, v91, v101
	v_pk_fma_f16 v91, v85, v91, v111
	;; [unrolled: 1-line block ×3, first 2 shown]
	v_and_b32_e32 v12, 0xffff, v88
	v_pk_fma_f16 v88, v84, v87, v14
	v_mul_u32_u24_e32 v111, 0x10001, v15
	v_mul_u32_u24_e32 v119, 0x10001, v16
	ds_load_2addr_b64 v[14:17], v11 offset0:192 offset1:224
	v_mul_u32_u24_e32 v120, 0x10001, v82
	v_pk_fma_f16 v121, v85, v87, v93
	ds_load_b128 v[82:85], v69 offset:64
	v_mul_u32_u24_e32 v89, 0x10001, v12
	v_add_nc_u32_e32 v12, 0xb000, v60
	s_wait_dscnt 0x2
	s_delay_alu instid0(VALU_DEP_2)
	v_pk_fma_f16 v95, v4, v89, v95
	v_pk_fma_f16 v112, v5, v89, v112
	;; [unrolled: 1-line block ×8, first 2 shown]
	s_wait_dscnt 0x1
	v_pk_fma_f16 v108, v14, v89, v108
	v_pk_fma_f16 v110, v14, v111, v110
	v_pk_fma_f16 v102, v14, v119, v102
	v_pk_fma_f16 v14, v14, v120, v86
	v_pk_fma_f16 v81, v15, v89, v81
	v_pk_fma_f16 v100, v15, v111, v100
	v_pk_fma_f16 v103, v15, v119, v103
	v_pk_fma_f16 v13, v15, v120, v13
	v_pk_fma_f16 v15, v16, v89, v109
	v_pk_fma_f16 v101, v16, v111, v101
	v_pk_fma_f16 v94, v16, v119, v94
	v_pk_fma_f16 v16, v16, v120, v88
	v_pk_fma_f16 v109, v17, v89, v90
	ds_load_b128 v[86:89], v69 offset:80
	s_wait_dscnt 0x1
	v_and_b32_e32 v90, 0xffff, v82
	v_pk_fma_f16 v98, v6, v111, v98
	v_pk_fma_f16 v115, v6, v119, v115
	;; [unrolled: 1-line block ×6, first 2 shown]
	v_mul_u32_u24_e32 v123, 0x10001, v90
	ds_load_2addr_b64 v[90:93], v12 offset0:64 offset1:96
	v_pk_fma_f16 v106, v4, v120, v106
	v_pk_fma_f16 v113, v5, v120, v113
	v_pk_fma_f16 v116, v6, v120, v116
	v_pk_fma_f16 v107, v7, v120, v107
	ds_load_2addr_b64 v[4:7], v12 offset1:32
	v_lshrrev_b32_e32 v82, 16, v82
	v_and_b32_e32 v122, 0xffff, v83
	v_lshrrev_b32_e32 v83, 16, v83
	v_pk_fma_f16 v120, v17, v120, v121
	s_delay_alu instid0(VALU_DEP_4) | instskip(NEXT) | instid1(VALU_DEP_4)
	v_mul_u32_u24_e32 v82, 0x10001, v82
	v_mul_u32_u24_e32 v122, 0x10001, v122
	s_delay_alu instid0(VALU_DEP_4)
	v_mul_u32_u24_e32 v83, 0x10001, v83
	s_wait_dscnt 0x2
	v_and_b32_e32 v173, 0xffff, v88
	v_lshrrev_b32_e32 v174, 16, v88
	v_and_b32_e32 v175, 0xffff, v89
	v_lshrrev_b32_e32 v177, 16, v89
	s_wait_dscnt 0x1
	v_pk_fma_f16 v108, v90, v123, v108
	v_pk_fma_f16 v110, v90, v82, v110
	;; [unrolled: 1-line block ×4, first 2 shown]
	v_lshrrev_b32_e32 v14, 16, v84
	s_wait_dscnt 0x0
	v_pk_fma_f16 v95, v4, v123, v95
	v_pk_fma_f16 v104, v4, v82, v104
	;; [unrolled: 1-line block ×19, first 2 shown]
	ds_load_2addr_b64 v[4:7], v12 offset0:128 offset1:160
	v_pk_fma_f16 v101, v92, v82, v101
	v_pk_fma_f16 v82, v93, v82, v111
	;; [unrolled: 1-line block ×6, first 2 shown]
	v_and_b32_e32 v13, 0xffff, v84
	v_pk_fma_f16 v84, v92, v83, v16
	v_mul_u32_u24_e32 v122, 0x10001, v14
	ds_load_2addr_b64 v[14:17], v12 offset0:192 offset1:224
	v_pk_fma_f16 v109, v93, v123, v109
	v_and_b32_e32 v92, 0xffff, v85
	v_lshrrev_b32_e32 v85, 16, v85
	v_mul_u32_u24_e32 v119, 0x10001, v13
	v_pk_fma_f16 v93, v93, v83, v120
	v_add_nc_u32_e32 v13, 0xb800, v60
	v_mul_u32_u24_e32 v92, 0x10001, v92
	v_mul_u32_u24_e32 v123, 0x10001, v85
	v_lshrrev_b32_e32 v83, 16, v86
	s_wait_dscnt 0x1
	v_pk_fma_f16 v95, v4, v119, v95
	v_pk_fma_f16 v112, v5, v119, v112
	;; [unrolled: 1-line block ×10, first 2 shown]
	s_wait_dscnt 0x0
	v_pk_fma_f16 v108, v14, v119, v108
	v_pk_fma_f16 v81, v15, v119, v81
	;; [unrolled: 1-line block ×5, first 2 shown]
	v_and_b32_e32 v82, 0xffff, v86
	v_pk_fma_f16 v110, v14, v122, v110
	v_pk_fma_f16 v100, v15, v122, v100
	;; [unrolled: 1-line block ×9, first 2 shown]
	v_and_b32_e32 v86, 0xffff, v87
	v_lshrrev_b32_e32 v87, 16, v87
	v_mul_u32_u24_e32 v90, 0x10001, v82
	v_mul_u32_u24_e32 v91, 0x10001, v83
	ds_load_2addr_b64 v[82:85], v13 offset0:64 offset1:96
	v_pk_fma_f16 v98, v6, v122, v98
	v_pk_fma_f16 v115, v6, v92, v115
	;; [unrolled: 1-line block ×6, first 2 shown]
	ds_load_2addr_b64 v[4:7], v13 offset1:32
	v_pk_fma_f16 v92, v17, v92, v111
	v_mul_u32_u24_e32 v111, 0x10001, v87
	v_pk_fma_f16 v17, v17, v123, v93
	v_mul_u32_u24_e32 v86, 0x10001, v86
	s_wait_dscnt 0x1
	s_delay_alu instid0(VALU_DEP_3) | instskip(NEXT) | instid1(VALU_DEP_3)
	v_pk_fma_f16 v176, v84, v111, v16
	v_pk_fma_f16 v178, v85, v111, v17
	v_add_nc_u64_e32 v[16:17], s[26:27], v[42:43]
	v_pk_fma_f16 v171, v82, v111, v14
	v_pk_fma_f16 v172, v83, v111, v15
	v_add_nc_u32_e32 v14, 0xc000, v60
	v_add_nc_u32_e32 v15, 0xc800, v60
	s_wait_dscnt 0x0
	v_pk_fma_f16 v144, v4, v90, v95
	v_pk_fma_f16 v145, v4, v91, v104
	v_add_nc_u64_e32 v[16:17], v[16:17], v[30:31]
	v_pk_fma_f16 v146, v4, v86, v105
	v_pk_fma_f16 v147, v4, v111, v106
	;; [unrolled: 1-line block ×20, first 2 shown]
	ds_load_2addr_b64 v[4:7], v13 offset0:128 offset1:160
	v_pk_fma_f16 v165, v84, v91, v101
	v_pk_fma_f16 v166, v85, v91, v119
	;; [unrolled: 1-line block ×6, first 2 shown]
	ds_load_2addr_b64 v[86:89], v13 offset0:192 offset1:224
	ds_load_2addr_b64 v[82:85], v14 offset1:32
	ds_load_2addr_b64 v[90:93], v14 offset0:64 offset1:96
	ds_load_b128 v[94:97], v69 offset:96
	ds_load_b128 v[98:101], v69 offset:112
	ds_load_2addr_b64 v[102:105], v14 offset0:128 offset1:160
	ds_load_2addr_b64 v[106:109], v14 offset0:192 offset1:224
	ds_load_2addr_b64 v[110:113], v15 offset1:32
	ds_load_2addr_b64 v[114:117], v15 offset0:64 offset1:96
	ds_load_2addr_b64 v[118:121], v15 offset0:128 offset1:160
	;; [unrolled: 1-line block ×3, first 2 shown]
	s_wait_dscnt 0x0
	s_barrier_signal -1
	s_barrier_wait -1
	s_clause 0x3
	global_load_b128 v[126:129], v[16:17], off
	global_load_b128 v[130:133], v[16:17], off offset:512
	global_load_b128 v[134:137], v[142:143], off
	global_load_b128 v[138:141], v[142:143], off offset:512
	s_wait_xcnt 0x2
	v_mul_u32_u24_e32 v16, 0x10001, v173
	v_mul_u32_u24_e32 v17, 0x10001, v174
	s_wait_xcnt 0x0
	v_mul_u32_u24_e32 v142, 0x10001, v175
	v_mul_u32_u24_e32 v143, 0x10001, v177
	s_wait_loadcnt 0x3
	ds_store_b128 v70, v[126:129]
	s_wait_loadcnt 0x2
	ds_store_b128 v71, v[130:133]
	;; [unrolled: 2-line block ×4, first 2 shown]
	v_pk_fma_f16 v144, v4, v16, v144
	v_pk_fma_f16 v145, v4, v17, v145
	;; [unrolled: 1-line block ×19, first 2 shown]
	v_and_b32_e32 v164, 0xffff, v94
	v_lshrrev_b32_e32 v94, 16, v94
	v_and_b32_e32 v165, 0xffff, v95
	v_lshrrev_b32_e32 v95, 16, v95
	v_pk_fma_f16 v81, v87, v16, v81
	v_pk_fma_f16 v157, v88, v16, v161
	;; [unrolled: 1-line block ×9, first 2 shown]
	v_mul_u32_u24_e32 v164, 0x10001, v164
	v_mul_u32_u24_e32 v94, 0x10001, v94
	;; [unrolled: 1-line block ×4, first 2 shown]
	v_pk_fma_f16 v163, v88, v142, v169
	v_pk_fma_f16 v88, v88, v143, v176
	v_pk_fma_f16 v142, v89, v142, v170
	v_pk_fma_f16 v89, v89, v143, v178
	v_pk_fma_f16 v143, v82, v164, v144
	v_pk_fma_f16 v144, v82, v94, v145
	v_pk_fma_f16 v145, v82, v165, v146
	v_pk_fma_f16 v4, v82, v95, v4
	v_pk_fma_f16 v82, v83, v164, v147
	v_pk_fma_f16 v146, v83, v94, v148
	v_pk_fma_f16 v147, v83, v165, v149
	v_pk_fma_f16 v5, v83, v95, v5
	v_pk_fma_f16 v83, v84, v164, v150
	v_pk_fma_f16 v148, v84, v94, v151
	v_pk_fma_f16 v149, v84, v165, v152
	v_pk_fma_f16 v6, v84, v95, v6
	v_pk_fma_f16 v84, v85, v164, v153
	v_pk_fma_f16 v150, v85, v94, v154
	v_pk_fma_f16 v151, v85, v165, v155
	v_pk_fma_f16 v7, v85, v95, v7
	v_pk_fma_f16 v85, v90, v164, v156
	v_pk_fma_f16 v81, v91, v164, v81
	v_pk_fma_f16 v153, v90, v94, v158
	v_pk_fma_f16 v154, v91, v94, v159
	v_pk_fma_f16 v155, v92, v94, v160
	v_pk_fma_f16 v17, v93, v94, v17
	v_pk_fma_f16 v94, v90, v165, v161
	v_pk_fma_f16 v156, v91, v165, v162
	v_pk_fma_f16 v86, v90, v95, v86
	v_pk_fma_f16 v87, v91, v95, v87
	v_and_b32_e32 v90, 0xffff, v96
	v_lshrrev_b32_e32 v91, 16, v96
	v_and_b32_e32 v96, 0xffff, v97
	v_lshrrev_b32_e32 v97, 16, v97
	v_pk_fma_f16 v152, v92, v164, v157
	v_pk_fma_f16 v16, v93, v164, v16
	;; [unrolled: 1-line block ×4, first 2 shown]
	v_mul_u32_u24_e32 v90, 0x10001, v90
	v_mul_u32_u24_e32 v91, 0x10001, v91
	v_mul_u32_u24_e32 v92, 0x10001, v96
	v_mul_u32_u24_e32 v96, 0x10001, v97
	v_pk_fma_f16 v142, v93, v165, v142
	v_pk_fma_f16 v89, v93, v95, v89
	;; [unrolled: 1-line block ×30, first 2 shown]
	v_and_b32_e32 v106, 0xffff, v98
	v_lshrrev_b32_e32 v98, 16, v98
	v_and_b32_e32 v107, 0xffff, v99
	v_lshrrev_b32_e32 v99, 16, v99
	v_pk_fma_f16 v148, v108, v92, v157
	v_pk_fma_f16 v92, v109, v92, v142
	v_mul_u32_u24_e32 v106, 0x10001, v106
	v_mul_u32_u24_e32 v98, 0x10001, v98
	;; [unrolled: 1-line block ×4, first 2 shown]
	v_pk_fma_f16 v88, v108, v96, v88
	v_pk_fma_f16 v89, v109, v96, v89
	;; [unrolled: 1-line block ×29, first 2 shown]
	v_and_b32_e32 v7, 0xffff, v100
	v_lshrrev_b32_e32 v100, 16, v100
	v_and_b32_e32 v107, 0xffff, v101
	v_lshrrev_b32_e32 v101, 16, v101
	v_pk_fma_f16 v6, v112, v99, v6
	v_pk_fma_f16 v112, v116, v99, v88
	v_mul_u32_u24_e32 v88, 0x10001, v7
	v_mul_u32_u24_e32 v100, 0x10001, v100
	;; [unrolled: 1-line block ×4, first 2 shown]
	v_pk_fma_f16 v86, v114, v99, v86
	v_pk_fma_f16 v113, v118, v88, v93
	;; [unrolled: 1-line block ×7, first 2 shown]
	s_wait_dscnt 0x0
	s_barrier_signal -1
	s_barrier_wait -1
	ds_load_b128 v[4:7], v69 offset:128
	v_pk_fma_f16 v87, v115, v99, v87
	v_pk_fma_f16 v99, v117, v99, v89
	;; [unrolled: 1-line block ×24, first 2 shown]
	ds_load_b128 v[86:89], v69 offset:144
	s_wait_dscnt 0x1
	v_and_b32_e32 v90, 0xffff, v4
	ds_load_2addr_b64 v[82:85], v80 offset1:32
	v_pk_fma_f16 v98, v124, v107, v98
	v_pk_fma_f16 v107, v125, v107, v92
	v_lshrrev_b32_e32 v4, 16, v4
	v_mul_u32_u24_e32 v126, 0x10001, v90
	ds_load_2addr_b64 v[90:93], v80 offset0:64 offset1:96
	v_pk_fma_f16 v112, v124, v101, v112
	v_and_b32_e32 v124, 0xffff, v5
	v_lshrrev_b32_e32 v5, 16, v5
	v_mul_u32_u24_e32 v4, 0x10001, v4
	v_pk_fma_f16 v99, v125, v101, v99
	s_or_b32 s26, s4, 32
	v_mul_u32_u24_e32 v124, 0x10001, v124
	v_mul_u32_u24_e32 v127, 0x10001, v5
	v_lshrrev_b32_e32 v5, 16, v6
	s_ashr_i32 s27, s26, 31
	s_delay_alu instid0(SALU_CYCLE_1) | instskip(NEXT) | instid1(SALU_CYCLE_1)
	s_mul_u64 s[26:27], s[26:27], s[14:15]
	s_lshl_b64 s[26:27], s[26:27], 2
	s_wait_dscnt 0x1
	v_pk_fma_f16 v101, v82, v126, v113
	v_pk_fma_f16 v95, v82, v4, v95
	;; [unrolled: 1-line block ×11, first 2 shown]
	s_wait_dscnt 0x0
	v_pk_fma_f16 v119, v90, v126, v120
	v_pk_fma_f16 v120, v90, v4, v121
	v_pk_fma_f16 v106, v91, v4, v106
	v_pk_fma_f16 v111, v92, v4, v111
	v_pk_fma_f16 v17, v93, v4, v17
	v_and_b32_e32 v4, 0xffff, v6
	v_pk_fma_f16 v96, v82, v124, v96
	v_pk_fma_f16 v102, v83, v124, v102
	;; [unrolled: 1-line block ×7, first 2 shown]
	ds_load_2addr_b64 v[82:85], v80 offset0:128 offset1:160
	v_pk_fma_f16 v100, v90, v124, v100
	v_pk_fma_f16 v94, v91, v124, v94
	v_pk_fma_f16 v98, v92, v124, v98
	v_pk_fma_f16 v90, v90, v127, v122
	v_pk_fma_f16 v91, v91, v127, v123
	v_pk_fma_f16 v92, v92, v127, v112
	v_and_b32_e32 v112, 0xffff, v7
	v_lshrrev_b32_e32 v121, 16, v7
	v_mul_u32_u24_e32 v122, 0x10001, v4
	v_mul_u32_u24_e32 v123, 0x10001, v5
	ds_load_2addr_b64 v[4:7], v80 offset0:192 offset1:224
	v_pk_fma_f16 v16, v93, v126, v16
	v_pk_fma_f16 v107, v93, v124, v107
	v_mul_u32_u24_e32 v112, 0x10001, v112
	v_mul_u32_u24_e32 v121, 0x10001, v121
	v_pk_fma_f16 v99, v93, v127, v99
	s_add_nc_u64 s[26:27], s[8:9], s[26:27]
	s_wait_dscnt 0x1
	v_pk_fma_f16 v101, v82, v122, v101
	v_pk_fma_f16 v95, v82, v123, v95
	;; [unrolled: 1-line block ×16, first 2 shown]
	s_wait_dscnt 0x0
	v_pk_fma_f16 v119, v4, v122, v119
	v_pk_fma_f16 v81, v5, v122, v81
	;; [unrolled: 1-line block ×6, first 2 shown]
	ds_load_2addr_b64 v[82:85], v79 offset1:32
	v_pk_fma_f16 v100, v4, v112, v100
	v_pk_fma_f16 v94, v5, v112, v94
	;; [unrolled: 1-line block ×6, first 2 shown]
	v_and_b32_e32 v4, 0xffff, v86
	v_lshrrev_b32_e32 v5, 16, v86
	v_pk_fma_f16 v86, v6, v121, v92
	ds_load_2addr_b64 v[90:93], v79 offset0:64 offset1:96
	v_pk_fma_f16 v111, v6, v123, v111
	v_and_b32_e32 v6, 0xffff, v87
	v_lshrrev_b32_e32 v87, 16, v87
	v_pk_fma_f16 v17, v7, v123, v17
	v_mul_u32_u24_e32 v4, 0x10001, v4
	v_mul_u32_u24_e32 v123, 0x10001, v5
	;; [unrolled: 1-line block ×4, first 2 shown]
	v_pk_fma_f16 v99, v7, v121, v99
	s_wait_dscnt 0x1
	v_pk_fma_f16 v101, v82, v4, v101
	v_pk_fma_f16 v95, v82, v123, v95
	;; [unrolled: 1-line block ×12, first 2 shown]
	s_wait_dscnt 0x0
	v_pk_fma_f16 v119, v90, v4, v119
	v_pk_fma_f16 v120, v90, v123, v120
	;; [unrolled: 1-line block ×4, first 2 shown]
	v_and_b32_e32 v82, 0xffff, v88
	v_lshrrev_b32_e32 v83, 16, v88
	v_and_b32_e32 v84, 0xffff, v89
	v_pk_fma_f16 v112, v92, v87, v86
	v_lshrrev_b32_e32 v86, 16, v89
	v_pk_fma_f16 v118, v85, v4, v118
	v_pk_fma_f16 v104, v85, v123, v104
	;; [unrolled: 1-line block ×8, first 2 shown]
	ds_load_2addr_b64 v[4:7], v79 offset0:128 offset1:160
	v_pk_fma_f16 v111, v92, v123, v111
	v_pk_fma_f16 v17, v93, v123, v17
	;; [unrolled: 1-line block ×5, first 2 shown]
	v_mul_u32_u24_e32 v92, 0x10001, v82
	v_mul_u32_u24_e32 v121, 0x10001, v83
	;; [unrolled: 1-line block ×3, first 2 shown]
	ds_load_2addr_b64 v[82:85], v79 offset0:192 offset1:224
	v_mul_u32_u24_e32 v123, 0x10001, v86
	v_pk_fma_f16 v99, v93, v87, v99
	ds_load_b128 v[86:89], v69 offset:160
	v_pk_fma_f16 v107, v93, v124, v107
	s_wait_dscnt 0x2
	v_pk_fma_f16 v101, v4, v92, v101
	v_pk_fma_f16 v124, v4, v121, v95
	;; [unrolled: 1-line block ×9, first 2 shown]
	s_wait_dscnt 0x1
	v_pk_fma_f16 v119, v82, v92, v119
	v_pk_fma_f16 v81, v83, v92, v81
	;; [unrolled: 1-line block ×12, first 2 shown]
	ds_load_b128 v[90:93], v69 offset:176
	s_wait_dscnt 0x1
	v_and_b32_e32 v94, 0xffff, v86
	v_pk_fma_f16 v113, v4, v123, v113
	v_pk_fma_f16 v102, v5, v122, v102
	;; [unrolled: 1-line block ×7, first 2 shown]
	ds_load_2addr_b64 v[4:7], v10 offset1:32
	v_pk_fma_f16 v98, v84, v122, v98
	v_pk_fma_f16 v107, v85, v122, v107
	v_mul_u32_u24_e32 v122, 0x10001, v94
	ds_load_2addr_b64 v[94:97], v10 offset0:64 offset1:96
	v_lshrrev_b32_e32 v86, 16, v86
	v_pk_fma_f16 v84, v84, v123, v112
	v_and_b32_e32 v112, 0xffff, v87
	v_lshrrev_b32_e32 v87, 16, v87
	v_pk_fma_f16 v99, v85, v123, v99
	v_mul_u32_u24_e32 v86, 0x10001, v86
	s_delay_alu instid0(VALU_DEP_4) | instskip(NEXT) | instid1(VALU_DEP_4)
	v_mul_u32_u24_e32 v112, 0x10001, v112
	v_mul_u32_u24_e32 v87, 0x10001, v87
	s_wait_dscnt 0x1
	s_delay_alu instid0(VALU_DEP_3) | instskip(NEXT) | instid1(VALU_DEP_3)
	v_pk_fma_f16 v123, v4, v86, v124
	v_pk_fma_f16 v124, v4, v112, v125
	;; [unrolled: 1-line block ×5, first 2 shown]
	s_wait_dscnt 0x0
	v_pk_fma_f16 v119, v94, v122, v119
	v_pk_fma_f16 v81, v95, v122, v81
	;; [unrolled: 1-line block ×10, first 2 shown]
	v_and_b32_e32 v82, 0xffff, v88
	v_lshrrev_b32_e32 v83, 16, v88
	v_pk_fma_f16 v101, v4, v122, v101
	v_pk_fma_f16 v113, v4, v87, v113
	;; [unrolled: 1-line block ×12, first 2 shown]
	ds_load_2addr_b64 v[4:7], v10 offset0:128 offset1:160
	v_pk_fma_f16 v98, v96, v112, v98
	v_pk_fma_f16 v107, v97, v112, v107
	;; [unrolled: 1-line block ×3, first 2 shown]
	v_and_b32_e32 v96, 0xffff, v89
	v_lshrrev_b32_e32 v89, 16, v89
	v_mul_u32_u24_e32 v112, 0x10001, v82
	v_mul_u32_u24_e32 v121, 0x10001, v83
	ds_load_2addr_b64 v[82:85], v10 offset0:192 offset1:224
	v_pk_fma_f16 v16, v97, v122, v16
	v_mul_u32_u24_e32 v96, 0x10001, v96
	v_mul_u32_u24_e32 v122, 0x10001, v89
	v_pk_fma_f16 v97, v97, v87, v99
	v_lshrrev_b32_e32 v87, 16, v90
	s_wait_dscnt 0x1
	v_pk_fma_f16 v99, v4, v112, v101
	v_pk_fma_f16 v114, v5, v112, v114
	;; [unrolled: 1-line block ×8, first 2 shown]
	s_wait_dscnt 0x0
	v_pk_fma_f16 v119, v82, v112, v119
	v_pk_fma_f16 v81, v83, v112, v81
	;; [unrolled: 1-line block ×6, first 2 shown]
	v_and_b32_e32 v86, 0xffff, v90
	v_pk_fma_f16 v102, v5, v96, v102
	v_pk_fma_f16 v115, v5, v122, v115
	;; [unrolled: 1-line block ×9, first 2 shown]
	ds_load_2addr_b64 v[4:7], v11 offset1:32
	v_pk_fma_f16 v111, v84, v121, v111
	v_pk_fma_f16 v100, v83, v96, v100
	;; [unrolled: 1-line block ×6, first 2 shown]
	v_and_b32_e32 v90, 0xffff, v91
	v_lshrrev_b32_e32 v91, 16, v91
	v_mul_u32_u24_e32 v94, 0x10001, v86
	v_mul_u32_u24_e32 v95, 0x10001, v87
	ds_load_2addr_b64 v[86:89], v11 offset0:64 offset1:96
	v_pk_fma_f16 v17, v85, v121, v17
	v_pk_fma_f16 v96, v85, v96, v107
	v_mul_u32_u24_e32 v90, 0x10001, v90
	v_mul_u32_u24_e32 v91, 0x10001, v91
	v_pk_fma_f16 v97, v85, v122, v97
	v_and_b32_e32 v85, 0xffff, v93
	s_wait_dscnt 0x1
	v_pk_fma_f16 v99, v4, v94, v99
	v_pk_fma_f16 v101, v4, v95, v101
	;; [unrolled: 1-line block ×12, first 2 shown]
	s_wait_dscnt 0x0
	v_pk_fma_f16 v119, v86, v94, v119
	v_pk_fma_f16 v81, v87, v94, v81
	;; [unrolled: 1-line block ×14, first 2 shown]
	v_and_b32_e32 v82, 0xffff, v92
	v_dual_lshrrev_b32 v83, 16, v92 :: v_dual_lshrrev_b32 v86, 16, v93
	v_pk_fma_f16 v113, v4, v91, v113
	v_pk_fma_f16 v115, v5, v91, v115
	v_pk_fma_f16 v117, v6, v91, v117
	v_pk_fma_f16 v110, v7, v91, v110
	ds_load_2addr_b64 v[4:7], v11 offset0:128 offset1:160
	v_pk_fma_f16 v120, v88, v91, v84
	v_mul_u32_u24_e32 v92, 0x10001, v82
	v_mul_u32_u24_e32 v93, 0x10001, v83
	v_mul_u32_u24_e32 v122, 0x10001, v85
	ds_load_2addr_b64 v[82:85], v11 offset0:192 offset1:224
	v_mul_u32_u24_e32 v123, 0x10001, v86
	v_pk_fma_f16 v124, v89, v91, v97
	ds_load_b128 v[86:89], v69 offset:192
	s_wait_dscnt 0x2
	v_pk_fma_f16 v99, v4, v92, v99
	v_pk_fma_f16 v101, v4, v93, v101
	;; [unrolled: 1-line block ×12, first 2 shown]
	s_wait_dscnt 0x1
	v_pk_fma_f16 v119, v82, v92, v119
	v_pk_fma_f16 v81, v83, v92, v81
	;; [unrolled: 1-line block ×12, first 2 shown]
	ds_load_b128 v[90:93], v69 offset:208
	s_wait_dscnt 0x1
	v_and_b32_e32 v94, 0xffff, v86
	v_pk_fma_f16 v113, v4, v123, v113
	v_pk_fma_f16 v115, v5, v123, v115
	;; [unrolled: 1-line block ×4, first 2 shown]
	ds_load_2addr_b64 v[4:7], v12 offset1:32
	v_pk_fma_f16 v82, v82, v123, v96
	v_pk_fma_f16 v84, v84, v123, v120
	v_mul_u32_u24_e32 v120, 0x10001, v94
	ds_load_2addr_b64 v[94:97], v12 offset0:64 offset1:96
	v_pk_fma_f16 v83, v83, v123, v112
	v_lshrrev_b32_e32 v86, 16, v86
	v_and_b32_e32 v112, 0xffff, v87
	v_lshrrev_b32_e32 v87, 16, v87
	v_pk_fma_f16 v123, v85, v123, v124
	s_delay_alu instid0(VALU_DEP_4) | instskip(NEXT) | instid1(VALU_DEP_4)
	v_mul_u32_u24_e32 v86, 0x10001, v86
	v_mul_u32_u24_e32 v112, 0x10001, v112
	s_delay_alu instid0(VALU_DEP_4)
	v_mul_u32_u24_e32 v87, 0x10001, v87
	s_wait_dscnt 0x2
	v_and_b32_e32 v173, 0xffff, v92
	v_dual_lshrrev_b32 v174, 16, v92 :: v_dual_lshrrev_b32 v177, 16, v93
	v_and_b32_e32 v175, 0xffff, v93
	s_wait_dscnt 0x1
	v_pk_fma_f16 v99, v4, v120, v99
	v_pk_fma_f16 v101, v4, v86, v101
	;; [unrolled: 1-line block ×8, first 2 shown]
	s_wait_dscnt 0x0
	v_pk_fma_f16 v119, v94, v120, v119
	v_pk_fma_f16 v81, v95, v120, v81
	;; [unrolled: 1-line block ×12, first 2 shown]
	v_and_b32_e32 v82, 0xffff, v88
	v_lshrrev_b32_e32 v83, 16, v88
	v_pk_fma_f16 v107, v4, v112, v107
	v_pk_fma_f16 v113, v4, v87, v113
	;; [unrolled: 1-line block ×8, first 2 shown]
	ds_load_2addr_b64 v[4:7], v12 offset0:128 offset1:160
	v_pk_fma_f16 v98, v96, v112, v98
	v_pk_fma_f16 v112, v97, v112, v122
	;; [unrolled: 1-line block ×3, first 2 shown]
	v_and_b32_e32 v96, 0xffff, v89
	v_lshrrev_b32_e32 v89, 16, v89
	v_mul_u32_u24_e32 v122, 0x10001, v82
	v_mul_u32_u24_e32 v124, 0x10001, v83
	ds_load_2addr_b64 v[82:85], v12 offset0:192 offset1:224
	v_mul_u32_u24_e32 v96, 0x10001, v96
	v_mul_u32_u24_e32 v125, 0x10001, v89
	v_pk_fma_f16 v97, v97, v87, v123
	v_lshrrev_b32_e32 v87, 16, v90
	v_add_nc_u64_e32 v[126:127], s[26:27], v[44:45]
	s_wait_dscnt 0x1
	v_pk_fma_f16 v99, v4, v122, v99
	v_pk_fma_f16 v114, v5, v122, v114
	;; [unrolled: 1-line block ×8, first 2 shown]
	s_wait_dscnt 0x0
	v_pk_fma_f16 v119, v82, v122, v119
	v_pk_fma_f16 v81, v83, v122, v81
	;; [unrolled: 1-line block ×5, first 2 shown]
	v_and_b32_e32 v86, 0xffff, v90
	v_pk_fma_f16 v120, v82, v124, v120
	v_pk_fma_f16 v106, v83, v124, v106
	;; [unrolled: 1-line block ×8, first 2 shown]
	v_and_b32_e32 v90, 0xffff, v91
	v_lshrrev_b32_e32 v91, 16, v91
	v_mul_u32_u24_e32 v94, 0x10001, v86
	v_mul_u32_u24_e32 v95, 0x10001, v87
	ds_load_2addr_b64 v[86:89], v13 offset0:64 offset1:96
	v_pk_fma_f16 v102, v5, v96, v102
	v_pk_fma_f16 v115, v5, v125, v115
	;; [unrolled: 1-line block ×8, first 2 shown]
	ds_load_2addr_b64 v[4:7], v13 offset1:32
	v_pk_fma_f16 v17, v85, v124, v17
	v_pk_fma_f16 v96, v85, v96, v112
	v_mul_u32_u24_e32 v90, 0x10001, v90
	v_mul_u32_u24_e32 v91, 0x10001, v91
	v_pk_fma_f16 v97, v85, v125, v97
	v_add_nc_u64_e32 v[142:143], v[126:127], v[30:31]
	s_wait_dscnt 0x1
	v_pk_fma_f16 v162, v89, v94, v16
	v_pk_fma_f16 v166, v89, v95, v17
	v_add_nc_u64_e32 v[16:17], s[26:27], v[42:43]
	v_pk_fma_f16 v160, v86, v94, v119
	v_pk_fma_f16 v81, v87, v94, v81
	;; [unrolled: 1-line block ×6, first 2 shown]
	v_add_nc_u64_e32 v[16:17], v[16:17], v[30:31]
	s_wait_dscnt 0x0
	v_pk_fma_f16 v144, v4, v94, v99
	v_pk_fma_f16 v145, v4, v95, v101
	;; [unrolled: 1-line block ×16, first 2 shown]
	ds_load_2addr_b64 v[4:7], v13 offset0:128 offset1:160
	v_pk_fma_f16 v167, v86, v90, v122
	v_pk_fma_f16 v168, v87, v90, v100
	v_pk_fma_f16 v169, v88, v90, v98
	v_pk_fma_f16 v170, v89, v90, v96
	v_pk_fma_f16 v171, v86, v91, v82
	v_pk_fma_f16 v172, v87, v91, v83
	v_pk_fma_f16 v176, v88, v91, v84
	ds_load_2addr_b64 v[82:85], v13 offset0:192 offset1:224
	v_pk_fma_f16 v178, v89, v91, v97
	ds_load_2addr_b64 v[86:89], v14 offset1:32
	ds_load_2addr_b64 v[90:93], v14 offset0:64 offset1:96
	ds_load_b128 v[94:97], v69 offset:224
	ds_load_b128 v[98:101], v69 offset:240
	ds_load_2addr_b64 v[102:105], v14 offset0:128 offset1:160
	ds_load_2addr_b64 v[106:109], v14 offset0:192 offset1:224
	ds_load_2addr_b64 v[110:113], v15 offset1:32
	ds_load_2addr_b64 v[114:117], v15 offset0:64 offset1:96
	ds_load_2addr_b64 v[118:121], v15 offset0:128 offset1:160
	;; [unrolled: 1-line block ×3, first 2 shown]
	s_wait_dscnt 0x0
	s_barrier_signal -1
	s_barrier_wait -1
	s_clause 0x3
	global_load_b128 v[126:129], v[16:17], off
	global_load_b128 v[130:133], v[16:17], off offset:512
	global_load_b128 v[134:137], v[142:143], off
	global_load_b128 v[138:141], v[142:143], off offset:512
	s_wait_xcnt 0x2
	v_mul_u32_u24_e32 v16, 0x10001, v173
	v_mul_u32_u24_e32 v17, 0x10001, v174
	s_wait_xcnt 0x0
	v_mul_u32_u24_e32 v142, 0x10001, v175
	v_mul_u32_u24_e32 v143, 0x10001, v177
	s_wait_loadcnt 0x3
	ds_store_b128 v70, v[126:129]
	s_wait_loadcnt 0x2
	ds_store_b128 v71, v[130:133]
	;; [unrolled: 2-line block ×4, first 2 shown]
	v_pk_fma_f16 v144, v4, v16, v144
	v_pk_fma_f16 v145, v4, v17, v145
	;; [unrolled: 1-line block ×19, first 2 shown]
	v_and_b32_e32 v164, 0xffff, v94
	v_lshrrev_b32_e32 v94, 16, v94
	v_and_b32_e32 v165, 0xffff, v95
	v_lshrrev_b32_e32 v95, 16, v95
	v_pk_fma_f16 v81, v83, v16, v81
	v_pk_fma_f16 v157, v84, v16, v161
	;; [unrolled: 1-line block ×9, first 2 shown]
	v_mul_u32_u24_e32 v164, 0x10001, v164
	v_mul_u32_u24_e32 v94, 0x10001, v94
	v_mul_u32_u24_e32 v165, 0x10001, v165
	v_mul_u32_u24_e32 v95, 0x10001, v95
	v_pk_fma_f16 v163, v84, v142, v169
	v_pk_fma_f16 v142, v85, v142, v170
	;; [unrolled: 1-line block ×30, first 2 shown]
	v_and_b32_e32 v90, 0xffff, v96
	v_lshrrev_b32_e32 v91, 16, v96
	v_and_b32_e32 v96, 0xffff, v97
	v_lshrrev_b32_e32 v97, 16, v97
	v_pk_fma_f16 v152, v92, v164, v157
	v_pk_fma_f16 v16, v93, v164, v16
	;; [unrolled: 1-line block ×4, first 2 shown]
	v_mul_u32_u24_e32 v90, 0x10001, v90
	v_mul_u32_u24_e32 v91, 0x10001, v91
	;; [unrolled: 1-line block ×4, first 2 shown]
	v_pk_fma_f16 v142, v93, v165, v142
	v_pk_fma_f16 v85, v93, v95, v85
	;; [unrolled: 1-line block ×30, first 2 shown]
	v_and_b32_e32 v106, 0xffff, v98
	v_lshrrev_b32_e32 v98, 16, v98
	v_and_b32_e32 v107, 0xffff, v99
	v_lshrrev_b32_e32 v99, 16, v99
	v_pk_fma_f16 v148, v108, v92, v157
	v_pk_fma_f16 v92, v109, v92, v142
	v_mul_u32_u24_e32 v106, 0x10001, v106
	v_mul_u32_u24_e32 v98, 0x10001, v98
	;; [unrolled: 1-line block ×4, first 2 shown]
	v_pk_fma_f16 v84, v108, v96, v84
	v_pk_fma_f16 v85, v109, v96, v85
	;; [unrolled: 1-line block ×32, first 2 shown]
	v_and_b32_e32 v7, 0xffff, v100
	v_dual_lshrrev_b32 v82, 16, v100 :: v_dual_lshrrev_b32 v100, 16, v101
	v_and_b32_e32 v83, 0xffff, v101
	v_pk_fma_f16 v101, v116, v99, v84
	s_delay_alu instid0(VALU_DEP_4) | instskip(NEXT) | instid1(VALU_DEP_4)
	v_mul_u32_u24_e32 v84, 0x10001, v7
	v_mul_u32_u24_e32 v113, 0x10001, v82
	v_mul_u32_u24_e32 v100, 0x10001, v100
	v_mul_u32_u24_e32 v114, 0x10001, v83
	v_pk_fma_f16 v99, v117, v99, v85
	v_pk_fma_f16 v115, v118, v84, v93
	;; [unrolled: 1-line block ×13, first 2 shown]
	s_wait_dscnt 0x0
	s_barrier_signal -1
	s_barrier_wait -1
	ds_load_b128 v[4:7], v69 offset:256
	v_pk_fma_f16 v142, v121, v84, v88
	v_pk_fma_f16 v104, v121, v113, v104
	;; [unrolled: 1-line block ×6, first 2 shown]
	ds_load_b128 v[86:89], v69 offset:272
	v_pk_fma_f16 v81, v123, v84, v81
	v_pk_fma_f16 v105, v124, v84, v105
	;; [unrolled: 1-line block ×5, first 2 shown]
	ds_load_2addr_b64 v[82:85], v80 offset1:32
	v_pk_fma_f16 v17, v125, v113, v17
	v_pk_fma_f16 v113, v122, v114, v91
	;; [unrolled: 1-line block ×6, first 2 shown]
	s_wait_dscnt 0x2
	v_and_b32_e32 v90, 0xffff, v4
	v_pk_fma_f16 v107, v122, v100, v107
	v_lshrrev_b32_e32 v4, 16, v4
	v_and_b32_e32 v122, 0xffff, v5
	v_lshrrev_b32_e32 v5, 16, v5
	v_mul_u32_u24_e32 v123, 0x10001, v90
	ds_load_2addr_b64 v[90:93], v80 offset0:64 offset1:96
	v_pk_fma_f16 v101, v124, v100, v101
	v_mul_u32_u24_e32 v4, 0x10001, v4
	v_mul_u32_u24_e32 v124, 0x10001, v5
	;; [unrolled: 1-line block ×3, first 2 shown]
	v_pk_fma_f16 v99, v125, v100, v99
	v_lshrrev_b32_e32 v5, 16, v6
	s_wait_dscnt 0x1
	v_pk_fma_f16 v100, v82, v123, v115
	v_pk_fma_f16 v95, v82, v4, v95
	;; [unrolled: 1-line block ×13, first 2 shown]
	s_wait_dscnt 0x0
	v_pk_fma_f16 v121, v90, v123, v121
	v_pk_fma_f16 v81, v91, v123, v81
	;; [unrolled: 1-line block ×8, first 2 shown]
	v_and_b32_e32 v4, 0xffff, v6
	v_pk_fma_f16 v108, v84, v122, v108
	v_pk_fma_f16 v109, v85, v122, v109
	;; [unrolled: 1-line block ×3, first 2 shown]
	ds_load_2addr_b64 v[82:85], v80 offset0:128 offset1:160
	v_pk_fma_f16 v113, v90, v122, v113
	v_pk_fma_f16 v94, v91, v122, v94
	;; [unrolled: 1-line block ×7, first 2 shown]
	v_and_b32_e32 v101, 0xffff, v7
	v_lshrrev_b32_e32 v107, 16, v7
	v_mul_u32_u24_e32 v112, 0x10001, v4
	v_mul_u32_u24_e32 v122, 0x10001, v5
	ds_load_2addr_b64 v[4:7], v80 offset0:192 offset1:224
	v_mul_u32_u24_e32 v101, 0x10001, v101
	v_mul_u32_u24_e32 v107, 0x10001, v107
	v_pk_fma_f16 v99, v93, v124, v99
	s_or_b32 s26, s4, 48
	s_delay_alu instid0(SALU_CYCLE_1)
	s_ashr_i32 s27, s26, 31
	s_wait_dscnt 0x1
	v_pk_fma_f16 v100, v82, v112, v100
	v_pk_fma_f16 v95, v82, v122, v95
	;; [unrolled: 1-line block ×16, first 2 shown]
	s_wait_dscnt 0x0
	v_pk_fma_f16 v121, v4, v112, v121
	v_pk_fma_f16 v81, v5, v112, v81
	;; [unrolled: 1-line block ×6, first 2 shown]
	ds_load_2addr_b64 v[82:85], v79 offset1:32
	v_pk_fma_f16 v111, v6, v122, v111
	v_pk_fma_f16 v17, v7, v122, v17
	;; [unrolled: 1-line block ×8, first 2 shown]
	v_and_b32_e32 v4, 0xffff, v86
	v_lshrrev_b32_e32 v5, 16, v86
	v_pk_fma_f16 v86, v6, v107, v92
	ds_load_2addr_b64 v[90:93], v79 offset0:64 offset1:96
	v_and_b32_e32 v6, 0xffff, v87
	v_lshrrev_b32_e32 v87, 16, v87
	v_mul_u32_u24_e32 v4, 0x10001, v4
	v_mul_u32_u24_e32 v123, 0x10001, v5
	v_pk_fma_f16 v99, v7, v107, v99
	v_mul_u32_u24_e32 v124, 0x10001, v6
	v_mul_u32_u24_e32 v87, 0x10001, v87
	s_wait_dscnt 0x1
	v_pk_fma_f16 v100, v82, v4, v100
	v_pk_fma_f16 v95, v82, v123, v95
	;; [unrolled: 1-line block ×13, first 2 shown]
	s_wait_dscnt 0x0
	v_pk_fma_f16 v120, v90, v4, v121
	v_pk_fma_f16 v112, v90, v123, v112
	;; [unrolled: 1-line block ×4, first 2 shown]
	v_and_b32_e32 v82, 0xffff, v88
	v_lshrrev_b32_e32 v83, 16, v88
	v_and_b32_e32 v84, 0xffff, v89
	v_pk_fma_f16 v114, v92, v87, v86
	v_lshrrev_b32_e32 v86, 16, v89
	v_pk_fma_f16 v104, v85, v123, v104
	v_pk_fma_f16 v109, v85, v124, v109
	;; [unrolled: 1-line block ×7, first 2 shown]
	ds_load_2addr_b64 v[4:7], v79 offset0:128 offset1:160
	v_pk_fma_f16 v111, v92, v123, v111
	v_pk_fma_f16 v17, v93, v123, v17
	;; [unrolled: 1-line block ×5, first 2 shown]
	v_mul_u32_u24_e32 v92, 0x10001, v82
	v_mul_u32_u24_e32 v121, 0x10001, v83
	;; [unrolled: 1-line block ×3, first 2 shown]
	ds_load_2addr_b64 v[82:85], v79 offset0:192 offset1:224
	v_mul_u32_u24_e32 v123, 0x10001, v86
	v_pk_fma_f16 v99, v93, v87, v99
	ds_load_b128 v[86:89], v69 offset:288
	v_pk_fma_f16 v101, v93, v124, v101
	s_mul_u64 s[26:27], s[26:27], s[14:15]
	s_delay_alu instid0(SALU_CYCLE_1) | instskip(NEXT) | instid1(SALU_CYCLE_1)
	s_lshl_b64 s[26:27], s[26:27], 2
	s_add_nc_u64 s[26:27], s[8:9], s[26:27]
	s_wait_dscnt 0x2
	v_pk_fma_f16 v100, v4, v92, v100
	v_pk_fma_f16 v124, v4, v121, v95
	;; [unrolled: 1-line block ×9, first 2 shown]
	s_wait_dscnt 0x1
	v_pk_fma_f16 v120, v82, v92, v120
	v_pk_fma_f16 v81, v83, v92, v81
	;; [unrolled: 1-line block ×12, first 2 shown]
	ds_load_b128 v[90:93], v69 offset:304
	s_wait_dscnt 0x1
	v_and_b32_e32 v94, 0xffff, v86
	v_pk_fma_f16 v107, v4, v123, v107
	v_pk_fma_f16 v102, v5, v122, v102
	;; [unrolled: 1-line block ×7, first 2 shown]
	ds_load_2addr_b64 v[4:7], v10 offset1:32
	v_pk_fma_f16 v98, v84, v122, v98
	v_pk_fma_f16 v101, v85, v122, v101
	v_mul_u32_u24_e32 v122, 0x10001, v94
	ds_load_2addr_b64 v[94:97], v10 offset0:64 offset1:96
	v_lshrrev_b32_e32 v86, 16, v86
	v_pk_fma_f16 v84, v84, v123, v114
	v_and_b32_e32 v114, 0xffff, v87
	v_lshrrev_b32_e32 v87, 16, v87
	v_pk_fma_f16 v99, v85, v123, v99
	v_mul_u32_u24_e32 v86, 0x10001, v86
	s_delay_alu instid0(VALU_DEP_4) | instskip(NEXT) | instid1(VALU_DEP_4)
	v_mul_u32_u24_e32 v114, 0x10001, v114
	v_mul_u32_u24_e32 v87, 0x10001, v87
	s_wait_dscnt 0x1
	s_delay_alu instid0(VALU_DEP_3) | instskip(NEXT) | instid1(VALU_DEP_3)
	v_pk_fma_f16 v123, v4, v86, v124
	v_pk_fma_f16 v124, v4, v114, v125
	;; [unrolled: 1-line block ×5, first 2 shown]
	s_wait_dscnt 0x0
	v_pk_fma_f16 v120, v94, v122, v120
	v_pk_fma_f16 v81, v95, v122, v81
	;; [unrolled: 1-line block ×10, first 2 shown]
	v_and_b32_e32 v82, 0xffff, v88
	v_lshrrev_b32_e32 v83, 16, v88
	v_pk_fma_f16 v100, v4, v122, v100
	v_pk_fma_f16 v107, v4, v87, v107
	;; [unrolled: 1-line block ×12, first 2 shown]
	ds_load_2addr_b64 v[4:7], v10 offset0:128 offset1:160
	v_pk_fma_f16 v98, v96, v114, v98
	v_pk_fma_f16 v101, v97, v114, v101
	;; [unrolled: 1-line block ×3, first 2 shown]
	v_and_b32_e32 v96, 0xffff, v89
	v_lshrrev_b32_e32 v89, 16, v89
	v_mul_u32_u24_e32 v114, 0x10001, v82
	v_mul_u32_u24_e32 v121, 0x10001, v83
	ds_load_2addr_b64 v[82:85], v10 offset0:192 offset1:224
	v_pk_fma_f16 v16, v97, v122, v16
	v_mul_u32_u24_e32 v96, 0x10001, v96
	v_mul_u32_u24_e32 v122, 0x10001, v89
	v_pk_fma_f16 v97, v97, v87, v99
	v_lshrrev_b32_e32 v87, 16, v90
	s_wait_dscnt 0x1
	v_pk_fma_f16 v99, v4, v114, v100
	v_pk_fma_f16 v115, v5, v114, v115
	;; [unrolled: 1-line block ×8, first 2 shown]
	s_wait_dscnt 0x0
	v_pk_fma_f16 v120, v82, v114, v120
	v_pk_fma_f16 v81, v83, v114, v81
	;; [unrolled: 1-line block ×5, first 2 shown]
	v_and_b32_e32 v86, 0xffff, v90
	v_pk_fma_f16 v102, v5, v96, v102
	v_pk_fma_f16 v116, v5, v122, v116
	;; [unrolled: 1-line block ×10, first 2 shown]
	ds_load_2addr_b64 v[4:7], v11 offset1:32
	v_pk_fma_f16 v111, v84, v121, v111
	v_pk_fma_f16 v113, v83, v96, v113
	;; [unrolled: 1-line block ×6, first 2 shown]
	v_and_b32_e32 v90, 0xffff, v91
	v_lshrrev_b32_e32 v91, 16, v91
	v_mul_u32_u24_e32 v94, 0x10001, v86
	v_mul_u32_u24_e32 v95, 0x10001, v87
	ds_load_2addr_b64 v[86:89], v11 offset0:64 offset1:96
	v_pk_fma_f16 v17, v85, v121, v17
	v_pk_fma_f16 v96, v85, v96, v101
	v_mul_u32_u24_e32 v90, 0x10001, v90
	v_mul_u32_u24_e32 v91, 0x10001, v91
	v_pk_fma_f16 v97, v85, v122, v97
	v_and_b32_e32 v85, 0xffff, v93
	s_wait_dscnt 0x1
	v_pk_fma_f16 v99, v4, v94, v99
	v_pk_fma_f16 v100, v4, v95, v100
	;; [unrolled: 1-line block ×12, first 2 shown]
	s_wait_dscnt 0x0
	v_pk_fma_f16 v120, v86, v94, v120
	v_pk_fma_f16 v81, v87, v94, v81
	;; [unrolled: 1-line block ×14, first 2 shown]
	v_and_b32_e32 v82, 0xffff, v92
	v_dual_lshrrev_b32 v83, 16, v92 :: v_dual_lshrrev_b32 v86, 16, v93
	v_pk_fma_f16 v107, v4, v91, v107
	v_pk_fma_f16 v116, v5, v91, v116
	v_pk_fma_f16 v118, v6, v91, v118
	v_pk_fma_f16 v110, v7, v91, v110
	ds_load_2addr_b64 v[4:7], v11 offset0:128 offset1:160
	v_pk_fma_f16 v114, v88, v91, v84
	v_mul_u32_u24_e32 v92, 0x10001, v82
	v_mul_u32_u24_e32 v93, 0x10001, v83
	;; [unrolled: 1-line block ×3, first 2 shown]
	ds_load_2addr_b64 v[82:85], v11 offset0:192 offset1:224
	v_mul_u32_u24_e32 v123, 0x10001, v86
	v_pk_fma_f16 v124, v89, v91, v97
	ds_load_b128 v[86:89], v69 offset:320
	s_wait_dscnt 0x2
	v_pk_fma_f16 v99, v4, v92, v99
	v_pk_fma_f16 v100, v4, v93, v100
	;; [unrolled: 1-line block ×12, first 2 shown]
	s_wait_dscnt 0x1
	v_pk_fma_f16 v120, v82, v92, v120
	v_pk_fma_f16 v81, v83, v92, v81
	;; [unrolled: 1-line block ×12, first 2 shown]
	ds_load_b128 v[90:93], v69 offset:336
	s_wait_dscnt 0x1
	v_and_b32_e32 v94, 0xffff, v86
	v_pk_fma_f16 v107, v4, v123, v107
	v_pk_fma_f16 v116, v5, v123, v116
	;; [unrolled: 1-line block ×4, first 2 shown]
	ds_load_2addr_b64 v[4:7], v12 offset1:32
	v_pk_fma_f16 v82, v82, v123, v96
	v_pk_fma_f16 v84, v84, v123, v114
	v_mul_u32_u24_e32 v114, 0x10001, v94
	ds_load_2addr_b64 v[94:97], v12 offset0:64 offset1:96
	v_pk_fma_f16 v83, v83, v123, v113
	v_lshrrev_b32_e32 v86, 16, v86
	v_and_b32_e32 v113, 0xffff, v87
	v_lshrrev_b32_e32 v87, 16, v87
	v_pk_fma_f16 v123, v85, v123, v124
	s_delay_alu instid0(VALU_DEP_4) | instskip(NEXT) | instid1(VALU_DEP_4)
	v_mul_u32_u24_e32 v86, 0x10001, v86
	v_mul_u32_u24_e32 v113, 0x10001, v113
	s_delay_alu instid0(VALU_DEP_4)
	v_mul_u32_u24_e32 v87, 0x10001, v87
	s_wait_dscnt 0x2
	v_and_b32_e32 v173, 0xffff, v92
	v_dual_lshrrev_b32 v174, 16, v92 :: v_dual_lshrrev_b32 v177, 16, v93
	v_and_b32_e32 v175, 0xffff, v93
	s_wait_dscnt 0x1
	v_pk_fma_f16 v99, v4, v114, v99
	v_pk_fma_f16 v100, v4, v86, v100
	;; [unrolled: 1-line block ×8, first 2 shown]
	s_wait_dscnt 0x0
	v_pk_fma_f16 v120, v94, v114, v120
	v_pk_fma_f16 v81, v95, v114, v81
	;; [unrolled: 1-line block ×12, first 2 shown]
	v_and_b32_e32 v82, 0xffff, v88
	v_lshrrev_b32_e32 v83, 16, v88
	v_pk_fma_f16 v101, v4, v113, v101
	v_pk_fma_f16 v107, v4, v87, v107
	v_pk_fma_f16 v102, v5, v113, v102
	v_pk_fma_f16 v116, v5, v87, v116
	v_pk_fma_f16 v108, v6, v113, v108
	v_pk_fma_f16 v118, v6, v87, v118
	v_pk_fma_f16 v109, v7, v113, v109
	v_pk_fma_f16 v110, v7, v87, v110
	ds_load_2addr_b64 v[4:7], v12 offset0:128 offset1:160
	v_pk_fma_f16 v98, v96, v113, v98
	v_pk_fma_f16 v113, v97, v113, v122
	v_pk_fma_f16 v88, v96, v87, v84
	v_and_b32_e32 v96, 0xffff, v89
	v_lshrrev_b32_e32 v89, 16, v89
	v_mul_u32_u24_e32 v122, 0x10001, v82
	v_mul_u32_u24_e32 v124, 0x10001, v83
	ds_load_2addr_b64 v[82:85], v12 offset0:192 offset1:224
	v_mul_u32_u24_e32 v96, 0x10001, v96
	v_mul_u32_u24_e32 v125, 0x10001, v89
	v_pk_fma_f16 v97, v97, v87, v123
	v_lshrrev_b32_e32 v87, 16, v90
	v_add_nc_u64_e32 v[126:127], s[26:27], v[44:45]
	s_wait_dscnt 0x1
	v_pk_fma_f16 v99, v4, v122, v99
	v_pk_fma_f16 v115, v5, v122, v115
	;; [unrolled: 1-line block ×8, first 2 shown]
	s_wait_dscnt 0x0
	v_pk_fma_f16 v120, v82, v122, v120
	v_pk_fma_f16 v81, v83, v122, v81
	;; [unrolled: 1-line block ×5, first 2 shown]
	v_and_b32_e32 v86, 0xffff, v90
	v_pk_fma_f16 v114, v82, v124, v114
	v_pk_fma_f16 v106, v83, v124, v106
	;; [unrolled: 1-line block ×8, first 2 shown]
	v_and_b32_e32 v90, 0xffff, v91
	v_lshrrev_b32_e32 v91, 16, v91
	v_mul_u32_u24_e32 v94, 0x10001, v86
	v_mul_u32_u24_e32 v95, 0x10001, v87
	ds_load_2addr_b64 v[86:89], v13 offset0:64 offset1:96
	v_pk_fma_f16 v102, v5, v96, v102
	v_pk_fma_f16 v116, v5, v125, v116
	;; [unrolled: 1-line block ×8, first 2 shown]
	ds_load_2addr_b64 v[4:7], v13 offset1:32
	v_pk_fma_f16 v17, v85, v124, v17
	v_pk_fma_f16 v96, v85, v96, v113
	v_mul_u32_u24_e32 v90, 0x10001, v90
	v_mul_u32_u24_e32 v91, 0x10001, v91
	v_pk_fma_f16 v97, v85, v125, v97
	v_add_nc_u64_e32 v[142:143], v[126:127], v[30:31]
	s_wait_dscnt 0x1
	v_pk_fma_f16 v162, v89, v94, v16
	v_pk_fma_f16 v166, v89, v95, v17
	v_add_nc_u64_e32 v[16:17], s[26:27], v[42:43]
	v_pk_fma_f16 v160, v86, v94, v120
	v_pk_fma_f16 v81, v87, v94, v81
	;; [unrolled: 1-line block ×6, first 2 shown]
	v_add_nc_u64_e32 v[16:17], v[16:17], v[30:31]
	s_wait_dscnt 0x0
	v_pk_fma_f16 v144, v4, v94, v99
	v_pk_fma_f16 v145, v4, v95, v100
	;; [unrolled: 1-line block ×16, first 2 shown]
	ds_load_2addr_b64 v[4:7], v13 offset0:128 offset1:160
	v_pk_fma_f16 v167, v86, v90, v122
	v_pk_fma_f16 v168, v87, v90, v112
	;; [unrolled: 1-line block ×7, first 2 shown]
	ds_load_2addr_b64 v[82:85], v13 offset0:192 offset1:224
	v_pk_fma_f16 v178, v89, v91, v97
	ds_load_2addr_b64 v[86:89], v14 offset1:32
	ds_load_2addr_b64 v[90:93], v14 offset0:64 offset1:96
	ds_load_b128 v[94:97], v69 offset:352
	ds_load_b128 v[98:101], v69 offset:368
	ds_load_2addr_b64 v[102:105], v14 offset0:128 offset1:160
	ds_load_2addr_b64 v[106:109], v14 offset0:192 offset1:224
	ds_load_2addr_b64 v[110:113], v15 offset1:32
	ds_load_2addr_b64 v[114:117], v15 offset0:64 offset1:96
	ds_load_2addr_b64 v[118:121], v15 offset0:128 offset1:160
	;; [unrolled: 1-line block ×3, first 2 shown]
	s_wait_dscnt 0x0
	s_barrier_signal -1
	s_barrier_wait -1
	s_clause 0x3
	global_load_b128 v[126:129], v[16:17], off
	global_load_b128 v[130:133], v[16:17], off offset:512
	global_load_b128 v[134:137], v[142:143], off
	global_load_b128 v[138:141], v[142:143], off offset:512
	s_wait_xcnt 0x2
	v_mul_u32_u24_e32 v16, 0x10001, v173
	v_mul_u32_u24_e32 v17, 0x10001, v174
	s_wait_xcnt 0x0
	v_mul_u32_u24_e32 v142, 0x10001, v175
	v_mul_u32_u24_e32 v143, 0x10001, v177
	s_wait_loadcnt 0x3
	ds_store_b128 v70, v[126:129]
	s_wait_loadcnt 0x2
	ds_store_b128 v71, v[130:133]
	;; [unrolled: 2-line block ×4, first 2 shown]
	v_pk_fma_f16 v144, v4, v16, v144
	v_pk_fma_f16 v145, v4, v17, v145
	;; [unrolled: 1-line block ×19, first 2 shown]
	v_and_b32_e32 v164, 0xffff, v94
	v_lshrrev_b32_e32 v94, 16, v94
	v_and_b32_e32 v165, 0xffff, v95
	v_lshrrev_b32_e32 v95, 16, v95
	v_pk_fma_f16 v81, v83, v16, v81
	v_pk_fma_f16 v157, v84, v16, v161
	v_pk_fma_f16 v16, v85, v16, v162
	v_pk_fma_f16 v158, v82, v17, v163
	v_pk_fma_f16 v17, v85, v17, v166
	v_pk_fma_f16 v161, v82, v142, v167
	v_pk_fma_f16 v162, v83, v142, v168
	v_pk_fma_f16 v82, v82, v143, v171
	v_pk_fma_f16 v83, v83, v143, v172
	v_mul_u32_u24_e32 v164, 0x10001, v164
	v_mul_u32_u24_e32 v94, 0x10001, v94
	;; [unrolled: 1-line block ×4, first 2 shown]
	v_pk_fma_f16 v163, v84, v142, v169
	v_pk_fma_f16 v142, v85, v142, v170
	;; [unrolled: 1-line block ×30, first 2 shown]
	v_and_b32_e32 v90, 0xffff, v96
	v_lshrrev_b32_e32 v91, 16, v96
	v_and_b32_e32 v96, 0xffff, v97
	v_lshrrev_b32_e32 v97, 16, v97
	v_pk_fma_f16 v152, v92, v164, v157
	v_pk_fma_f16 v16, v93, v164, v16
	;; [unrolled: 1-line block ×4, first 2 shown]
	v_mul_u32_u24_e32 v90, 0x10001, v90
	v_mul_u32_u24_e32 v91, 0x10001, v91
	;; [unrolled: 1-line block ×4, first 2 shown]
	v_pk_fma_f16 v142, v93, v165, v142
	v_pk_fma_f16 v85, v93, v95, v85
	;; [unrolled: 1-line block ×30, first 2 shown]
	v_and_b32_e32 v106, 0xffff, v98
	v_lshrrev_b32_e32 v98, 16, v98
	v_and_b32_e32 v107, 0xffff, v99
	v_lshrrev_b32_e32 v99, 16, v99
	v_pk_fma_f16 v148, v108, v92, v157
	v_pk_fma_f16 v92, v109, v92, v142
	v_mul_u32_u24_e32 v106, 0x10001, v106
	v_mul_u32_u24_e32 v98, 0x10001, v98
	v_mul_u32_u24_e32 v107, 0x10001, v107
	v_mul_u32_u24_e32 v99, 0x10001, v99
	v_pk_fma_f16 v84, v108, v96, v84
	v_pk_fma_f16 v85, v109, v96, v85
	;; [unrolled: 1-line block ×32, first 2 shown]
	v_and_b32_e32 v7, 0xffff, v100
	v_dual_lshrrev_b32 v82, 16, v100 :: v_dual_lshrrev_b32 v100, 16, v101
	v_and_b32_e32 v83, 0xffff, v101
	v_pk_fma_f16 v101, v116, v99, v84
	s_delay_alu instid0(VALU_DEP_4) | instskip(NEXT) | instid1(VALU_DEP_4)
	v_mul_u32_u24_e32 v84, 0x10001, v7
	v_mul_u32_u24_e32 v113, 0x10001, v82
	;; [unrolled: 1-line block ×4, first 2 shown]
	v_pk_fma_f16 v99, v117, v99, v85
	v_pk_fma_f16 v115, v118, v84, v93
	;; [unrolled: 1-line block ×13, first 2 shown]
	s_wait_dscnt 0x0
	s_barrier_signal -1
	s_barrier_wait -1
	ds_load_b128 v[4:7], v69 offset:384
	v_pk_fma_f16 v142, v121, v84, v88
	v_pk_fma_f16 v104, v121, v113, v104
	;; [unrolled: 1-line block ×6, first 2 shown]
	ds_load_b128 v[86:89], v69 offset:400
	v_pk_fma_f16 v81, v123, v84, v81
	v_pk_fma_f16 v105, v124, v84, v105
	;; [unrolled: 1-line block ×5, first 2 shown]
	ds_load_2addr_b64 v[82:85], v80 offset1:32
	v_pk_fma_f16 v17, v125, v113, v17
	v_pk_fma_f16 v113, v122, v114, v91
	;; [unrolled: 1-line block ×6, first 2 shown]
	s_wait_dscnt 0x2
	v_and_b32_e32 v90, 0xffff, v4
	v_pk_fma_f16 v107, v122, v100, v107
	v_lshrrev_b32_e32 v4, 16, v4
	v_and_b32_e32 v122, 0xffff, v5
	v_lshrrev_b32_e32 v5, 16, v5
	v_mul_u32_u24_e32 v123, 0x10001, v90
	ds_load_2addr_b64 v[90:93], v80 offset0:64 offset1:96
	v_pk_fma_f16 v101, v124, v100, v101
	v_mul_u32_u24_e32 v4, 0x10001, v4
	v_mul_u32_u24_e32 v124, 0x10001, v5
	;; [unrolled: 1-line block ×3, first 2 shown]
	v_pk_fma_f16 v99, v125, v100, v99
	v_lshrrev_b32_e32 v5, 16, v6
	s_wait_dscnt 0x1
	v_pk_fma_f16 v100, v82, v123, v115
	v_pk_fma_f16 v95, v82, v4, v95
	;; [unrolled: 1-line block ×13, first 2 shown]
	s_wait_dscnt 0x0
	v_pk_fma_f16 v121, v90, v123, v121
	v_pk_fma_f16 v81, v91, v123, v81
	v_pk_fma_f16 v105, v92, v123, v105
	v_pk_fma_f16 v16, v93, v123, v16
	v_pk_fma_f16 v123, v90, v4, v126
	v_pk_fma_f16 v106, v91, v4, v106
	v_pk_fma_f16 v111, v92, v4, v111
	v_pk_fma_f16 v17, v93, v4, v17
	v_and_b32_e32 v4, 0xffff, v6
	v_pk_fma_f16 v108, v84, v122, v108
	v_pk_fma_f16 v109, v85, v122, v109
	;; [unrolled: 1-line block ×3, first 2 shown]
	ds_load_2addr_b64 v[82:85], v80 offset0:128 offset1:160
	v_pk_fma_f16 v113, v90, v122, v113
	v_pk_fma_f16 v94, v91, v122, v94
	v_pk_fma_f16 v98, v92, v122, v98
	v_pk_fma_f16 v114, v93, v122, v114
	v_pk_fma_f16 v90, v90, v124, v107
	v_pk_fma_f16 v91, v91, v124, v112
	v_pk_fma_f16 v92, v92, v124, v101
	v_and_b32_e32 v101, 0xffff, v7
	v_lshrrev_b32_e32 v107, 16, v7
	v_mul_u32_u24_e32 v112, 0x10001, v4
	v_mul_u32_u24_e32 v122, 0x10001, v5
	ds_load_2addr_b64 v[4:7], v80 offset0:192 offset1:224
	v_mul_u32_u24_e32 v101, 0x10001, v101
	v_mul_u32_u24_e32 v107, 0x10001, v107
	v_pk_fma_f16 v99, v93, v124, v99
	s_or_b32 s26, s4, 64
	s_delay_alu instid0(SALU_CYCLE_1)
	s_ashr_i32 s27, s26, 31
	s_wait_dscnt 0x1
	v_pk_fma_f16 v100, v82, v112, v100
	v_pk_fma_f16 v95, v82, v122, v95
	;; [unrolled: 1-line block ×16, first 2 shown]
	s_wait_dscnt 0x0
	v_pk_fma_f16 v121, v4, v112, v121
	v_pk_fma_f16 v81, v5, v112, v81
	;; [unrolled: 1-line block ×6, first 2 shown]
	ds_load_2addr_b64 v[82:85], v79 offset1:32
	v_pk_fma_f16 v111, v6, v122, v111
	v_pk_fma_f16 v17, v7, v122, v17
	;; [unrolled: 1-line block ×8, first 2 shown]
	v_and_b32_e32 v4, 0xffff, v86
	v_lshrrev_b32_e32 v5, 16, v86
	v_pk_fma_f16 v86, v6, v107, v92
	ds_load_2addr_b64 v[90:93], v79 offset0:64 offset1:96
	v_and_b32_e32 v6, 0xffff, v87
	v_lshrrev_b32_e32 v87, 16, v87
	v_mul_u32_u24_e32 v4, 0x10001, v4
	v_mul_u32_u24_e32 v123, 0x10001, v5
	v_pk_fma_f16 v99, v7, v107, v99
	v_mul_u32_u24_e32 v124, 0x10001, v6
	v_mul_u32_u24_e32 v87, 0x10001, v87
	s_wait_dscnt 0x1
	v_pk_fma_f16 v100, v82, v4, v100
	v_pk_fma_f16 v95, v82, v123, v95
	;; [unrolled: 1-line block ×13, first 2 shown]
	s_wait_dscnt 0x0
	v_pk_fma_f16 v120, v90, v4, v121
	v_pk_fma_f16 v112, v90, v123, v112
	;; [unrolled: 1-line block ×4, first 2 shown]
	v_and_b32_e32 v82, 0xffff, v88
	v_lshrrev_b32_e32 v83, 16, v88
	v_and_b32_e32 v84, 0xffff, v89
	v_pk_fma_f16 v114, v92, v87, v86
	v_lshrrev_b32_e32 v86, 16, v89
	v_pk_fma_f16 v104, v85, v123, v104
	v_pk_fma_f16 v109, v85, v124, v109
	;; [unrolled: 1-line block ×7, first 2 shown]
	ds_load_2addr_b64 v[4:7], v79 offset0:128 offset1:160
	v_pk_fma_f16 v111, v92, v123, v111
	v_pk_fma_f16 v17, v93, v123, v17
	;; [unrolled: 1-line block ×5, first 2 shown]
	v_mul_u32_u24_e32 v92, 0x10001, v82
	v_mul_u32_u24_e32 v121, 0x10001, v83
	;; [unrolled: 1-line block ×3, first 2 shown]
	ds_load_2addr_b64 v[82:85], v79 offset0:192 offset1:224
	v_mul_u32_u24_e32 v123, 0x10001, v86
	v_pk_fma_f16 v99, v93, v87, v99
	ds_load_b128 v[86:89], v69 offset:416
	v_pk_fma_f16 v101, v93, v124, v101
	s_mul_u64 s[26:27], s[26:27], s[14:15]
	s_delay_alu instid0(SALU_CYCLE_1) | instskip(NEXT) | instid1(SALU_CYCLE_1)
	s_lshl_b64 s[26:27], s[26:27], 2
	s_add_nc_u64 s[26:27], s[8:9], s[26:27]
	s_wait_dscnt 0x2
	v_pk_fma_f16 v100, v4, v92, v100
	v_pk_fma_f16 v124, v4, v121, v95
	;; [unrolled: 1-line block ×9, first 2 shown]
	s_wait_dscnt 0x1
	v_pk_fma_f16 v120, v82, v92, v120
	v_pk_fma_f16 v81, v83, v92, v81
	;; [unrolled: 1-line block ×12, first 2 shown]
	ds_load_b128 v[90:93], v69 offset:432
	s_wait_dscnt 0x1
	v_and_b32_e32 v94, 0xffff, v86
	v_pk_fma_f16 v107, v4, v123, v107
	v_pk_fma_f16 v102, v5, v122, v102
	;; [unrolled: 1-line block ×7, first 2 shown]
	ds_load_2addr_b64 v[4:7], v10 offset1:32
	v_pk_fma_f16 v98, v84, v122, v98
	v_pk_fma_f16 v101, v85, v122, v101
	v_mul_u32_u24_e32 v122, 0x10001, v94
	ds_load_2addr_b64 v[94:97], v10 offset0:64 offset1:96
	v_lshrrev_b32_e32 v86, 16, v86
	v_pk_fma_f16 v84, v84, v123, v114
	v_and_b32_e32 v114, 0xffff, v87
	v_lshrrev_b32_e32 v87, 16, v87
	v_pk_fma_f16 v99, v85, v123, v99
	v_mul_u32_u24_e32 v86, 0x10001, v86
	s_delay_alu instid0(VALU_DEP_4) | instskip(NEXT) | instid1(VALU_DEP_4)
	v_mul_u32_u24_e32 v114, 0x10001, v114
	v_mul_u32_u24_e32 v87, 0x10001, v87
	s_wait_dscnt 0x1
	s_delay_alu instid0(VALU_DEP_3) | instskip(NEXT) | instid1(VALU_DEP_3)
	v_pk_fma_f16 v123, v4, v86, v124
	v_pk_fma_f16 v124, v4, v114, v125
	;; [unrolled: 1-line block ×5, first 2 shown]
	s_wait_dscnt 0x0
	v_pk_fma_f16 v120, v94, v122, v120
	v_pk_fma_f16 v81, v95, v122, v81
	;; [unrolled: 1-line block ×10, first 2 shown]
	v_and_b32_e32 v82, 0xffff, v88
	v_lshrrev_b32_e32 v83, 16, v88
	v_pk_fma_f16 v100, v4, v122, v100
	v_pk_fma_f16 v107, v4, v87, v107
	;; [unrolled: 1-line block ×12, first 2 shown]
	ds_load_2addr_b64 v[4:7], v10 offset0:128 offset1:160
	v_pk_fma_f16 v98, v96, v114, v98
	v_pk_fma_f16 v101, v97, v114, v101
	;; [unrolled: 1-line block ×3, first 2 shown]
	v_and_b32_e32 v96, 0xffff, v89
	v_lshrrev_b32_e32 v89, 16, v89
	v_mul_u32_u24_e32 v114, 0x10001, v82
	v_mul_u32_u24_e32 v121, 0x10001, v83
	ds_load_2addr_b64 v[82:85], v10 offset0:192 offset1:224
	v_pk_fma_f16 v16, v97, v122, v16
	v_mul_u32_u24_e32 v96, 0x10001, v96
	v_mul_u32_u24_e32 v122, 0x10001, v89
	v_pk_fma_f16 v97, v97, v87, v99
	v_lshrrev_b32_e32 v87, 16, v90
	s_wait_dscnt 0x1
	v_pk_fma_f16 v99, v4, v114, v100
	v_pk_fma_f16 v115, v5, v114, v115
	;; [unrolled: 1-line block ×8, first 2 shown]
	s_wait_dscnt 0x0
	v_pk_fma_f16 v120, v82, v114, v120
	v_pk_fma_f16 v81, v83, v114, v81
	;; [unrolled: 1-line block ×5, first 2 shown]
	v_and_b32_e32 v86, 0xffff, v90
	v_pk_fma_f16 v102, v5, v96, v102
	v_pk_fma_f16 v116, v5, v122, v116
	;; [unrolled: 1-line block ×10, first 2 shown]
	ds_load_2addr_b64 v[4:7], v11 offset1:32
	v_pk_fma_f16 v111, v84, v121, v111
	v_pk_fma_f16 v113, v83, v96, v113
	;; [unrolled: 1-line block ×6, first 2 shown]
	v_and_b32_e32 v90, 0xffff, v91
	v_lshrrev_b32_e32 v91, 16, v91
	v_mul_u32_u24_e32 v94, 0x10001, v86
	v_mul_u32_u24_e32 v95, 0x10001, v87
	ds_load_2addr_b64 v[86:89], v11 offset0:64 offset1:96
	v_pk_fma_f16 v17, v85, v121, v17
	v_pk_fma_f16 v96, v85, v96, v101
	v_mul_u32_u24_e32 v90, 0x10001, v90
	v_mul_u32_u24_e32 v91, 0x10001, v91
	v_pk_fma_f16 v97, v85, v122, v97
	v_and_b32_e32 v85, 0xffff, v93
	s_wait_dscnt 0x1
	v_pk_fma_f16 v99, v4, v94, v99
	v_pk_fma_f16 v100, v4, v95, v100
	;; [unrolled: 1-line block ×12, first 2 shown]
	s_wait_dscnt 0x0
	v_pk_fma_f16 v120, v86, v94, v120
	v_pk_fma_f16 v81, v87, v94, v81
	;; [unrolled: 1-line block ×14, first 2 shown]
	v_and_b32_e32 v82, 0xffff, v92
	v_dual_lshrrev_b32 v83, 16, v92 :: v_dual_lshrrev_b32 v86, 16, v93
	v_pk_fma_f16 v107, v4, v91, v107
	v_pk_fma_f16 v116, v5, v91, v116
	v_pk_fma_f16 v118, v6, v91, v118
	v_pk_fma_f16 v110, v7, v91, v110
	ds_load_2addr_b64 v[4:7], v11 offset0:128 offset1:160
	v_pk_fma_f16 v114, v88, v91, v84
	v_mul_u32_u24_e32 v92, 0x10001, v82
	v_mul_u32_u24_e32 v93, 0x10001, v83
	;; [unrolled: 1-line block ×3, first 2 shown]
	ds_load_2addr_b64 v[82:85], v11 offset0:192 offset1:224
	v_mul_u32_u24_e32 v123, 0x10001, v86
	v_pk_fma_f16 v124, v89, v91, v97
	ds_load_b128 v[86:89], v69 offset:448
	s_wait_dscnt 0x2
	v_pk_fma_f16 v99, v4, v92, v99
	v_pk_fma_f16 v100, v4, v93, v100
	;; [unrolled: 1-line block ×12, first 2 shown]
	s_wait_dscnt 0x1
	v_pk_fma_f16 v120, v82, v92, v120
	v_pk_fma_f16 v81, v83, v92, v81
	;; [unrolled: 1-line block ×12, first 2 shown]
	ds_load_b128 v[90:93], v69 offset:464
	s_wait_dscnt 0x1
	v_and_b32_e32 v94, 0xffff, v86
	v_pk_fma_f16 v107, v4, v123, v107
	v_pk_fma_f16 v116, v5, v123, v116
	;; [unrolled: 1-line block ×4, first 2 shown]
	ds_load_2addr_b64 v[4:7], v12 offset1:32
	v_pk_fma_f16 v82, v82, v123, v96
	v_pk_fma_f16 v84, v84, v123, v114
	v_mul_u32_u24_e32 v114, 0x10001, v94
	ds_load_2addr_b64 v[94:97], v12 offset0:64 offset1:96
	v_pk_fma_f16 v83, v83, v123, v113
	v_lshrrev_b32_e32 v86, 16, v86
	v_and_b32_e32 v113, 0xffff, v87
	v_lshrrev_b32_e32 v87, 16, v87
	v_pk_fma_f16 v123, v85, v123, v124
	s_delay_alu instid0(VALU_DEP_4) | instskip(NEXT) | instid1(VALU_DEP_4)
	v_mul_u32_u24_e32 v86, 0x10001, v86
	v_mul_u32_u24_e32 v113, 0x10001, v113
	s_delay_alu instid0(VALU_DEP_4)
	v_mul_u32_u24_e32 v87, 0x10001, v87
	s_wait_dscnt 0x2
	v_and_b32_e32 v173, 0xffff, v92
	v_dual_lshrrev_b32 v174, 16, v92 :: v_dual_lshrrev_b32 v177, 16, v93
	v_and_b32_e32 v175, 0xffff, v93
	s_wait_dscnt 0x1
	v_pk_fma_f16 v99, v4, v114, v99
	v_pk_fma_f16 v100, v4, v86, v100
	;; [unrolled: 1-line block ×8, first 2 shown]
	s_wait_dscnt 0x0
	v_pk_fma_f16 v120, v94, v114, v120
	v_pk_fma_f16 v81, v95, v114, v81
	;; [unrolled: 1-line block ×12, first 2 shown]
	v_and_b32_e32 v82, 0xffff, v88
	v_lshrrev_b32_e32 v83, 16, v88
	v_pk_fma_f16 v101, v4, v113, v101
	v_pk_fma_f16 v107, v4, v87, v107
	;; [unrolled: 1-line block ×8, first 2 shown]
	ds_load_2addr_b64 v[4:7], v12 offset0:128 offset1:160
	v_pk_fma_f16 v98, v96, v113, v98
	v_pk_fma_f16 v113, v97, v113, v122
	;; [unrolled: 1-line block ×3, first 2 shown]
	v_and_b32_e32 v96, 0xffff, v89
	v_lshrrev_b32_e32 v89, 16, v89
	v_mul_u32_u24_e32 v122, 0x10001, v82
	v_mul_u32_u24_e32 v124, 0x10001, v83
	ds_load_2addr_b64 v[82:85], v12 offset0:192 offset1:224
	v_mul_u32_u24_e32 v96, 0x10001, v96
	v_mul_u32_u24_e32 v125, 0x10001, v89
	v_pk_fma_f16 v97, v97, v87, v123
	v_lshrrev_b32_e32 v87, 16, v90
	v_add_nc_u64_e32 v[126:127], s[26:27], v[44:45]
	s_wait_dscnt 0x1
	v_pk_fma_f16 v99, v4, v122, v99
	v_pk_fma_f16 v115, v5, v122, v115
	;; [unrolled: 1-line block ×8, first 2 shown]
	s_wait_dscnt 0x0
	v_pk_fma_f16 v120, v82, v122, v120
	v_pk_fma_f16 v81, v83, v122, v81
	;; [unrolled: 1-line block ×5, first 2 shown]
	v_and_b32_e32 v86, 0xffff, v90
	v_pk_fma_f16 v114, v82, v124, v114
	v_pk_fma_f16 v106, v83, v124, v106
	;; [unrolled: 1-line block ×8, first 2 shown]
	v_and_b32_e32 v90, 0xffff, v91
	v_lshrrev_b32_e32 v91, 16, v91
	v_mul_u32_u24_e32 v94, 0x10001, v86
	v_mul_u32_u24_e32 v95, 0x10001, v87
	ds_load_2addr_b64 v[86:89], v13 offset0:64 offset1:96
	v_pk_fma_f16 v102, v5, v96, v102
	v_pk_fma_f16 v116, v5, v125, v116
	;; [unrolled: 1-line block ×8, first 2 shown]
	ds_load_2addr_b64 v[4:7], v13 offset1:32
	v_pk_fma_f16 v17, v85, v124, v17
	v_pk_fma_f16 v96, v85, v96, v113
	v_mul_u32_u24_e32 v90, 0x10001, v90
	v_mul_u32_u24_e32 v91, 0x10001, v91
	v_pk_fma_f16 v97, v85, v125, v97
	v_add_nc_u64_e32 v[142:143], v[126:127], v[30:31]
	s_wait_dscnt 0x1
	v_pk_fma_f16 v162, v89, v94, v16
	v_pk_fma_f16 v166, v89, v95, v17
	v_add_nc_u64_e32 v[16:17], s[26:27], v[42:43]
	v_pk_fma_f16 v160, v86, v94, v120
	v_pk_fma_f16 v81, v87, v94, v81
	;; [unrolled: 1-line block ×6, first 2 shown]
	v_add_nc_u64_e32 v[16:17], v[16:17], v[30:31]
	s_wait_dscnt 0x0
	v_pk_fma_f16 v144, v4, v94, v99
	v_pk_fma_f16 v145, v4, v95, v100
	;; [unrolled: 1-line block ×16, first 2 shown]
	ds_load_2addr_b64 v[4:7], v13 offset0:128 offset1:160
	v_pk_fma_f16 v167, v86, v90, v122
	v_pk_fma_f16 v168, v87, v90, v112
	;; [unrolled: 1-line block ×7, first 2 shown]
	ds_load_2addr_b64 v[82:85], v13 offset0:192 offset1:224
	v_pk_fma_f16 v178, v89, v91, v97
	ds_load_2addr_b64 v[86:89], v14 offset1:32
	ds_load_2addr_b64 v[90:93], v14 offset0:64 offset1:96
	ds_load_b128 v[94:97], v69 offset:480
	ds_load_b128 v[98:101], v69 offset:496
	ds_load_2addr_b64 v[102:105], v14 offset0:128 offset1:160
	ds_load_2addr_b64 v[106:109], v14 offset0:192 offset1:224
	ds_load_2addr_b64 v[110:113], v15 offset1:32
	ds_load_2addr_b64 v[114:117], v15 offset0:64 offset1:96
	ds_load_2addr_b64 v[118:121], v15 offset0:128 offset1:160
	;; [unrolled: 1-line block ×3, first 2 shown]
	s_wait_dscnt 0x0
	s_barrier_signal -1
	s_barrier_wait -1
	s_clause 0x3
	global_load_b128 v[126:129], v[16:17], off
	global_load_b128 v[130:133], v[16:17], off offset:512
	global_load_b128 v[134:137], v[142:143], off
	global_load_b128 v[138:141], v[142:143], off offset:512
	s_wait_xcnt 0x2
	v_mul_u32_u24_e32 v16, 0x10001, v173
	v_mul_u32_u24_e32 v17, 0x10001, v174
	s_wait_xcnt 0x0
	v_mul_u32_u24_e32 v142, 0x10001, v175
	v_mul_u32_u24_e32 v143, 0x10001, v177
	s_wait_loadcnt 0x3
	ds_store_b128 v70, v[126:129]
	s_wait_loadcnt 0x2
	ds_store_b128 v71, v[130:133]
	;; [unrolled: 2-line block ×4, first 2 shown]
	v_pk_fma_f16 v144, v4, v16, v144
	v_pk_fma_f16 v145, v4, v17, v145
	;; [unrolled: 1-line block ×19, first 2 shown]
	v_and_b32_e32 v164, 0xffff, v94
	v_lshrrev_b32_e32 v94, 16, v94
	v_and_b32_e32 v165, 0xffff, v95
	v_lshrrev_b32_e32 v95, 16, v95
	v_pk_fma_f16 v81, v83, v16, v81
	v_pk_fma_f16 v157, v84, v16, v161
	;; [unrolled: 1-line block ×9, first 2 shown]
	v_mul_u32_u24_e32 v164, 0x10001, v164
	v_mul_u32_u24_e32 v94, 0x10001, v94
	;; [unrolled: 1-line block ×4, first 2 shown]
	v_pk_fma_f16 v163, v84, v142, v169
	v_pk_fma_f16 v142, v85, v142, v170
	;; [unrolled: 1-line block ×30, first 2 shown]
	v_and_b32_e32 v90, 0xffff, v96
	v_lshrrev_b32_e32 v91, 16, v96
	v_and_b32_e32 v96, 0xffff, v97
	v_lshrrev_b32_e32 v97, 16, v97
	v_pk_fma_f16 v152, v92, v164, v157
	v_pk_fma_f16 v16, v93, v164, v16
	;; [unrolled: 1-line block ×4, first 2 shown]
	v_mul_u32_u24_e32 v90, 0x10001, v90
	v_mul_u32_u24_e32 v91, 0x10001, v91
	;; [unrolled: 1-line block ×4, first 2 shown]
	v_pk_fma_f16 v142, v93, v165, v142
	v_pk_fma_f16 v85, v93, v95, v85
	;; [unrolled: 1-line block ×30, first 2 shown]
	v_and_b32_e32 v106, 0xffff, v98
	v_lshrrev_b32_e32 v98, 16, v98
	v_and_b32_e32 v107, 0xffff, v99
	v_lshrrev_b32_e32 v99, 16, v99
	v_pk_fma_f16 v148, v108, v92, v157
	v_pk_fma_f16 v92, v109, v92, v142
	v_mul_u32_u24_e32 v106, 0x10001, v106
	v_mul_u32_u24_e32 v98, 0x10001, v98
	;; [unrolled: 1-line block ×4, first 2 shown]
	v_pk_fma_f16 v84, v108, v96, v84
	v_pk_fma_f16 v85, v109, v96, v85
	;; [unrolled: 1-line block ×32, first 2 shown]
	v_and_b32_e32 v7, 0xffff, v100
	v_dual_lshrrev_b32 v82, 16, v100 :: v_dual_lshrrev_b32 v100, 16, v101
	v_and_b32_e32 v83, 0xffff, v101
	v_pk_fma_f16 v101, v116, v99, v84
	s_delay_alu instid0(VALU_DEP_4) | instskip(NEXT) | instid1(VALU_DEP_4)
	v_mul_u32_u24_e32 v84, 0x10001, v7
	v_mul_u32_u24_e32 v113, 0x10001, v82
	;; [unrolled: 1-line block ×4, first 2 shown]
	v_pk_fma_f16 v99, v117, v99, v85
	v_pk_fma_f16 v115, v118, v84, v93
	;; [unrolled: 1-line block ×13, first 2 shown]
	s_wait_dscnt 0x0
	s_barrier_signal -1
	s_barrier_wait -1
	ds_load_b128 v[4:7], v69 offset:512
	v_pk_fma_f16 v142, v121, v84, v88
	v_pk_fma_f16 v104, v121, v113, v104
	;; [unrolled: 1-line block ×6, first 2 shown]
	ds_load_b128 v[86:89], v69 offset:528
	v_pk_fma_f16 v81, v123, v84, v81
	v_pk_fma_f16 v105, v124, v84, v105
	v_pk_fma_f16 v16, v125, v84, v16
	v_pk_fma_f16 v106, v123, v113, v106
	v_pk_fma_f16 v111, v124, v113, v111
	ds_load_2addr_b64 v[82:85], v80 offset1:32
	v_pk_fma_f16 v17, v125, v113, v17
	v_pk_fma_f16 v113, v122, v114, v91
	;; [unrolled: 1-line block ×6, first 2 shown]
	s_wait_dscnt 0x2
	v_and_b32_e32 v90, 0xffff, v4
	v_pk_fma_f16 v107, v122, v100, v107
	v_lshrrev_b32_e32 v4, 16, v4
	v_and_b32_e32 v122, 0xffff, v5
	v_lshrrev_b32_e32 v5, 16, v5
	v_mul_u32_u24_e32 v123, 0x10001, v90
	ds_load_2addr_b64 v[90:93], v80 offset0:64 offset1:96
	v_pk_fma_f16 v101, v124, v100, v101
	v_mul_u32_u24_e32 v4, 0x10001, v4
	v_mul_u32_u24_e32 v124, 0x10001, v5
	;; [unrolled: 1-line block ×3, first 2 shown]
	v_pk_fma_f16 v99, v125, v100, v99
	v_lshrrev_b32_e32 v5, 16, v6
	s_wait_dscnt 0x1
	v_pk_fma_f16 v100, v82, v123, v115
	v_pk_fma_f16 v95, v82, v4, v95
	;; [unrolled: 1-line block ×13, first 2 shown]
	s_wait_dscnt 0x0
	v_pk_fma_f16 v121, v90, v123, v121
	v_pk_fma_f16 v81, v91, v123, v81
	;; [unrolled: 1-line block ×8, first 2 shown]
	v_and_b32_e32 v4, 0xffff, v6
	v_pk_fma_f16 v108, v84, v122, v108
	v_pk_fma_f16 v109, v85, v122, v109
	;; [unrolled: 1-line block ×3, first 2 shown]
	ds_load_2addr_b64 v[82:85], v80 offset0:128 offset1:160
	v_pk_fma_f16 v113, v90, v122, v113
	v_pk_fma_f16 v94, v91, v122, v94
	;; [unrolled: 1-line block ×7, first 2 shown]
	v_and_b32_e32 v101, 0xffff, v7
	v_lshrrev_b32_e32 v107, 16, v7
	v_mul_u32_u24_e32 v112, 0x10001, v4
	v_mul_u32_u24_e32 v122, 0x10001, v5
	ds_load_2addr_b64 v[4:7], v80 offset0:192 offset1:224
	v_mul_u32_u24_e32 v101, 0x10001, v101
	v_mul_u32_u24_e32 v107, 0x10001, v107
	v_pk_fma_f16 v99, v93, v124, v99
	s_or_b32 s26, s4, 0x50
	s_delay_alu instid0(SALU_CYCLE_1)
	s_ashr_i32 s27, s26, 31
	s_wait_dscnt 0x1
	v_pk_fma_f16 v100, v82, v112, v100
	v_pk_fma_f16 v95, v82, v122, v95
	;; [unrolled: 1-line block ×16, first 2 shown]
	s_wait_dscnt 0x0
	v_pk_fma_f16 v121, v4, v112, v121
	v_pk_fma_f16 v81, v5, v112, v81
	;; [unrolled: 1-line block ×6, first 2 shown]
	ds_load_2addr_b64 v[82:85], v79 offset1:32
	v_pk_fma_f16 v111, v6, v122, v111
	v_pk_fma_f16 v17, v7, v122, v17
	;; [unrolled: 1-line block ×8, first 2 shown]
	v_and_b32_e32 v4, 0xffff, v86
	v_lshrrev_b32_e32 v5, 16, v86
	v_pk_fma_f16 v86, v6, v107, v92
	ds_load_2addr_b64 v[90:93], v79 offset0:64 offset1:96
	v_and_b32_e32 v6, 0xffff, v87
	v_lshrrev_b32_e32 v87, 16, v87
	v_mul_u32_u24_e32 v4, 0x10001, v4
	v_mul_u32_u24_e32 v123, 0x10001, v5
	v_pk_fma_f16 v99, v7, v107, v99
	v_mul_u32_u24_e32 v124, 0x10001, v6
	v_mul_u32_u24_e32 v87, 0x10001, v87
	s_wait_dscnt 0x1
	v_pk_fma_f16 v100, v82, v4, v100
	v_pk_fma_f16 v95, v82, v123, v95
	;; [unrolled: 1-line block ×13, first 2 shown]
	s_wait_dscnt 0x0
	v_pk_fma_f16 v120, v90, v4, v121
	v_pk_fma_f16 v112, v90, v123, v112
	;; [unrolled: 1-line block ×4, first 2 shown]
	v_and_b32_e32 v82, 0xffff, v88
	v_lshrrev_b32_e32 v83, 16, v88
	v_and_b32_e32 v84, 0xffff, v89
	v_pk_fma_f16 v114, v92, v87, v86
	v_lshrrev_b32_e32 v86, 16, v89
	v_pk_fma_f16 v104, v85, v123, v104
	v_pk_fma_f16 v109, v85, v124, v109
	;; [unrolled: 1-line block ×7, first 2 shown]
	ds_load_2addr_b64 v[4:7], v79 offset0:128 offset1:160
	v_pk_fma_f16 v111, v92, v123, v111
	v_pk_fma_f16 v17, v93, v123, v17
	v_pk_fma_f16 v94, v91, v124, v94
	v_pk_fma_f16 v98, v92, v124, v98
	v_pk_fma_f16 v91, v91, v87, v122
	v_mul_u32_u24_e32 v92, 0x10001, v82
	v_mul_u32_u24_e32 v121, 0x10001, v83
	;; [unrolled: 1-line block ×3, first 2 shown]
	ds_load_2addr_b64 v[82:85], v79 offset0:192 offset1:224
	v_mul_u32_u24_e32 v123, 0x10001, v86
	v_pk_fma_f16 v99, v93, v87, v99
	ds_load_b128 v[86:89], v69 offset:544
	v_pk_fma_f16 v101, v93, v124, v101
	s_mul_u64 s[26:27], s[26:27], s[14:15]
	s_delay_alu instid0(SALU_CYCLE_1) | instskip(NEXT) | instid1(SALU_CYCLE_1)
	s_lshl_b64 s[26:27], s[26:27], 2
	s_add_nc_u64 s[26:27], s[8:9], s[26:27]
	s_wait_dscnt 0x2
	v_pk_fma_f16 v100, v4, v92, v100
	v_pk_fma_f16 v124, v4, v121, v95
	;; [unrolled: 1-line block ×9, first 2 shown]
	s_wait_dscnt 0x1
	v_pk_fma_f16 v120, v82, v92, v120
	v_pk_fma_f16 v81, v83, v92, v81
	;; [unrolled: 1-line block ×12, first 2 shown]
	ds_load_b128 v[90:93], v69 offset:560
	s_wait_dscnt 0x1
	v_and_b32_e32 v94, 0xffff, v86
	v_pk_fma_f16 v107, v4, v123, v107
	v_pk_fma_f16 v102, v5, v122, v102
	;; [unrolled: 1-line block ×7, first 2 shown]
	ds_load_2addr_b64 v[4:7], v10 offset1:32
	v_pk_fma_f16 v98, v84, v122, v98
	v_pk_fma_f16 v101, v85, v122, v101
	v_mul_u32_u24_e32 v122, 0x10001, v94
	ds_load_2addr_b64 v[94:97], v10 offset0:64 offset1:96
	v_lshrrev_b32_e32 v86, 16, v86
	v_pk_fma_f16 v84, v84, v123, v114
	v_and_b32_e32 v114, 0xffff, v87
	v_lshrrev_b32_e32 v87, 16, v87
	v_pk_fma_f16 v99, v85, v123, v99
	v_mul_u32_u24_e32 v86, 0x10001, v86
	s_delay_alu instid0(VALU_DEP_4) | instskip(NEXT) | instid1(VALU_DEP_4)
	v_mul_u32_u24_e32 v114, 0x10001, v114
	v_mul_u32_u24_e32 v87, 0x10001, v87
	s_wait_dscnt 0x1
	s_delay_alu instid0(VALU_DEP_3) | instskip(NEXT) | instid1(VALU_DEP_3)
	v_pk_fma_f16 v123, v4, v86, v124
	v_pk_fma_f16 v124, v4, v114, v125
	;; [unrolled: 1-line block ×5, first 2 shown]
	s_wait_dscnt 0x0
	v_pk_fma_f16 v120, v94, v122, v120
	v_pk_fma_f16 v81, v95, v122, v81
	;; [unrolled: 1-line block ×10, first 2 shown]
	v_and_b32_e32 v82, 0xffff, v88
	v_lshrrev_b32_e32 v83, 16, v88
	v_pk_fma_f16 v100, v4, v122, v100
	v_pk_fma_f16 v107, v4, v87, v107
	;; [unrolled: 1-line block ×12, first 2 shown]
	ds_load_2addr_b64 v[4:7], v10 offset0:128 offset1:160
	v_pk_fma_f16 v98, v96, v114, v98
	v_pk_fma_f16 v101, v97, v114, v101
	v_pk_fma_f16 v88, v96, v87, v84
	v_and_b32_e32 v96, 0xffff, v89
	v_lshrrev_b32_e32 v89, 16, v89
	v_mul_u32_u24_e32 v114, 0x10001, v82
	v_mul_u32_u24_e32 v121, 0x10001, v83
	ds_load_2addr_b64 v[82:85], v10 offset0:192 offset1:224
	v_pk_fma_f16 v16, v97, v122, v16
	v_mul_u32_u24_e32 v96, 0x10001, v96
	v_mul_u32_u24_e32 v122, 0x10001, v89
	v_pk_fma_f16 v97, v97, v87, v99
	v_lshrrev_b32_e32 v87, 16, v90
	s_wait_dscnt 0x1
	v_pk_fma_f16 v99, v4, v114, v100
	v_pk_fma_f16 v115, v5, v114, v115
	;; [unrolled: 1-line block ×8, first 2 shown]
	s_wait_dscnt 0x0
	v_pk_fma_f16 v120, v82, v114, v120
	v_pk_fma_f16 v81, v83, v114, v81
	;; [unrolled: 1-line block ×5, first 2 shown]
	v_and_b32_e32 v86, 0xffff, v90
	v_pk_fma_f16 v102, v5, v96, v102
	v_pk_fma_f16 v116, v5, v122, v116
	;; [unrolled: 1-line block ×10, first 2 shown]
	ds_load_2addr_b64 v[4:7], v11 offset1:32
	v_pk_fma_f16 v111, v84, v121, v111
	v_pk_fma_f16 v113, v83, v96, v113
	v_pk_fma_f16 v98, v84, v96, v98
	v_pk_fma_f16 v82, v82, v122, v94
	v_pk_fma_f16 v83, v83, v122, v95
	v_pk_fma_f16 v84, v84, v122, v88
	v_and_b32_e32 v90, 0xffff, v91
	v_lshrrev_b32_e32 v91, 16, v91
	v_mul_u32_u24_e32 v94, 0x10001, v86
	v_mul_u32_u24_e32 v95, 0x10001, v87
	ds_load_2addr_b64 v[86:89], v11 offset0:64 offset1:96
	v_pk_fma_f16 v17, v85, v121, v17
	v_pk_fma_f16 v96, v85, v96, v101
	v_mul_u32_u24_e32 v90, 0x10001, v90
	v_mul_u32_u24_e32 v91, 0x10001, v91
	v_pk_fma_f16 v97, v85, v122, v97
	v_and_b32_e32 v85, 0xffff, v93
	s_wait_dscnt 0x1
	v_pk_fma_f16 v99, v4, v94, v99
	v_pk_fma_f16 v100, v4, v95, v100
	;; [unrolled: 1-line block ×12, first 2 shown]
	s_wait_dscnt 0x0
	v_pk_fma_f16 v120, v86, v94, v120
	v_pk_fma_f16 v81, v87, v94, v81
	v_pk_fma_f16 v105, v88, v94, v105
	v_pk_fma_f16 v16, v89, v94, v16
	v_pk_fma_f16 v94, v86, v95, v112
	v_pk_fma_f16 v106, v87, v95, v106
	v_pk_fma_f16 v111, v88, v95, v111
	v_pk_fma_f16 v17, v89, v95, v17
	v_pk_fma_f16 v95, v86, v90, v114
	v_pk_fma_f16 v112, v87, v90, v113
	v_pk_fma_f16 v98, v88, v90, v98
	v_pk_fma_f16 v90, v89, v90, v96
	v_pk_fma_f16 v96, v86, v91, v82
	v_pk_fma_f16 v113, v87, v91, v83
	v_and_b32_e32 v82, 0xffff, v92
	v_dual_lshrrev_b32 v83, 16, v92 :: v_dual_lshrrev_b32 v86, 16, v93
	v_pk_fma_f16 v107, v4, v91, v107
	v_pk_fma_f16 v116, v5, v91, v116
	;; [unrolled: 1-line block ×4, first 2 shown]
	ds_load_2addr_b64 v[4:7], v11 offset0:128 offset1:160
	v_pk_fma_f16 v114, v88, v91, v84
	v_mul_u32_u24_e32 v92, 0x10001, v82
	v_mul_u32_u24_e32 v93, 0x10001, v83
	;; [unrolled: 1-line block ×3, first 2 shown]
	ds_load_2addr_b64 v[82:85], v11 offset0:192 offset1:224
	v_mul_u32_u24_e32 v123, 0x10001, v86
	v_pk_fma_f16 v124, v89, v91, v97
	ds_load_b128 v[86:89], v69 offset:576
	s_wait_dscnt 0x2
	v_pk_fma_f16 v99, v4, v92, v99
	v_pk_fma_f16 v100, v4, v93, v100
	;; [unrolled: 1-line block ×12, first 2 shown]
	s_wait_dscnt 0x1
	v_pk_fma_f16 v120, v82, v92, v120
	v_pk_fma_f16 v81, v83, v92, v81
	v_pk_fma_f16 v105, v84, v92, v105
	v_pk_fma_f16 v16, v85, v92, v16
	v_pk_fma_f16 v125, v82, v93, v94
	v_pk_fma_f16 v106, v83, v93, v106
	v_pk_fma_f16 v111, v84, v93, v111
	v_pk_fma_f16 v17, v85, v93, v17
	v_pk_fma_f16 v126, v82, v122, v95
	v_pk_fma_f16 v112, v83, v122, v112
	v_pk_fma_f16 v98, v84, v122, v98
	v_pk_fma_f16 v122, v85, v122, v90
	ds_load_b128 v[90:93], v69 offset:592
	s_wait_dscnt 0x1
	v_and_b32_e32 v94, 0xffff, v86
	v_pk_fma_f16 v107, v4, v123, v107
	v_pk_fma_f16 v116, v5, v123, v116
	;; [unrolled: 1-line block ×4, first 2 shown]
	ds_load_2addr_b64 v[4:7], v12 offset1:32
	v_pk_fma_f16 v82, v82, v123, v96
	v_pk_fma_f16 v84, v84, v123, v114
	v_mul_u32_u24_e32 v114, 0x10001, v94
	ds_load_2addr_b64 v[94:97], v12 offset0:64 offset1:96
	v_pk_fma_f16 v83, v83, v123, v113
	v_lshrrev_b32_e32 v86, 16, v86
	v_and_b32_e32 v113, 0xffff, v87
	v_lshrrev_b32_e32 v87, 16, v87
	v_pk_fma_f16 v123, v85, v123, v124
	s_delay_alu instid0(VALU_DEP_4) | instskip(NEXT) | instid1(VALU_DEP_4)
	v_mul_u32_u24_e32 v86, 0x10001, v86
	v_mul_u32_u24_e32 v113, 0x10001, v113
	s_delay_alu instid0(VALU_DEP_4)
	v_mul_u32_u24_e32 v87, 0x10001, v87
	s_wait_dscnt 0x2
	v_and_b32_e32 v173, 0xffff, v92
	v_dual_lshrrev_b32 v174, 16, v92 :: v_dual_lshrrev_b32 v177, 16, v93
	v_and_b32_e32 v175, 0xffff, v93
	s_wait_dscnt 0x1
	v_pk_fma_f16 v99, v4, v114, v99
	v_pk_fma_f16 v100, v4, v86, v100
	;; [unrolled: 1-line block ×8, first 2 shown]
	s_wait_dscnt 0x0
	v_pk_fma_f16 v120, v94, v114, v120
	v_pk_fma_f16 v81, v95, v114, v81
	;; [unrolled: 1-line block ×12, first 2 shown]
	v_and_b32_e32 v82, 0xffff, v88
	v_lshrrev_b32_e32 v83, 16, v88
	v_pk_fma_f16 v101, v4, v113, v101
	v_pk_fma_f16 v107, v4, v87, v107
	;; [unrolled: 1-line block ×8, first 2 shown]
	ds_load_2addr_b64 v[4:7], v12 offset0:128 offset1:160
	v_pk_fma_f16 v98, v96, v113, v98
	v_pk_fma_f16 v113, v97, v113, v122
	;; [unrolled: 1-line block ×3, first 2 shown]
	v_and_b32_e32 v96, 0xffff, v89
	v_lshrrev_b32_e32 v89, 16, v89
	v_mul_u32_u24_e32 v122, 0x10001, v82
	v_mul_u32_u24_e32 v124, 0x10001, v83
	ds_load_2addr_b64 v[82:85], v12 offset0:192 offset1:224
	v_mul_u32_u24_e32 v96, 0x10001, v96
	v_mul_u32_u24_e32 v125, 0x10001, v89
	v_pk_fma_f16 v97, v97, v87, v123
	v_lshrrev_b32_e32 v87, 16, v90
	v_add_nc_u64_e32 v[126:127], s[26:27], v[44:45]
	s_wait_dscnt 0x1
	v_pk_fma_f16 v99, v4, v122, v99
	v_pk_fma_f16 v115, v5, v122, v115
	;; [unrolled: 1-line block ×8, first 2 shown]
	s_wait_dscnt 0x0
	v_pk_fma_f16 v120, v82, v122, v120
	v_pk_fma_f16 v81, v83, v122, v81
	;; [unrolled: 1-line block ×5, first 2 shown]
	v_and_b32_e32 v86, 0xffff, v90
	v_pk_fma_f16 v114, v82, v124, v114
	v_pk_fma_f16 v106, v83, v124, v106
	;; [unrolled: 1-line block ×8, first 2 shown]
	v_and_b32_e32 v90, 0xffff, v91
	v_lshrrev_b32_e32 v91, 16, v91
	v_mul_u32_u24_e32 v94, 0x10001, v86
	v_mul_u32_u24_e32 v95, 0x10001, v87
	ds_load_2addr_b64 v[86:89], v13 offset0:64 offset1:96
	v_pk_fma_f16 v102, v5, v96, v102
	v_pk_fma_f16 v116, v5, v125, v116
	;; [unrolled: 1-line block ×8, first 2 shown]
	ds_load_2addr_b64 v[4:7], v13 offset1:32
	v_pk_fma_f16 v17, v85, v124, v17
	v_pk_fma_f16 v96, v85, v96, v113
	v_mul_u32_u24_e32 v90, 0x10001, v90
	v_mul_u32_u24_e32 v91, 0x10001, v91
	v_pk_fma_f16 v97, v85, v125, v97
	v_add_nc_u64_e32 v[142:143], v[126:127], v[30:31]
	s_wait_dscnt 0x1
	v_pk_fma_f16 v162, v89, v94, v16
	v_pk_fma_f16 v166, v89, v95, v17
	v_add_nc_u64_e32 v[16:17], s[26:27], v[42:43]
	v_pk_fma_f16 v160, v86, v94, v120
	v_pk_fma_f16 v81, v87, v94, v81
	v_pk_fma_f16 v161, v88, v94, v105
	v_pk_fma_f16 v163, v86, v95, v114
	v_pk_fma_f16 v164, v87, v95, v106
	v_pk_fma_f16 v165, v88, v95, v111
	v_add_nc_u64_e32 v[16:17], v[16:17], v[30:31]
	s_wait_dscnt 0x0
	v_pk_fma_f16 v144, v4, v94, v99
	v_pk_fma_f16 v145, v4, v95, v100
	;; [unrolled: 1-line block ×16, first 2 shown]
	ds_load_2addr_b64 v[4:7], v13 offset0:128 offset1:160
	v_pk_fma_f16 v167, v86, v90, v122
	v_pk_fma_f16 v168, v87, v90, v112
	;; [unrolled: 1-line block ×7, first 2 shown]
	ds_load_2addr_b64 v[82:85], v13 offset0:192 offset1:224
	v_pk_fma_f16 v178, v89, v91, v97
	ds_load_2addr_b64 v[86:89], v14 offset1:32
	ds_load_2addr_b64 v[90:93], v14 offset0:64 offset1:96
	ds_load_b128 v[94:97], v69 offset:608
	ds_load_b128 v[98:101], v69 offset:624
	ds_load_2addr_b64 v[102:105], v14 offset0:128 offset1:160
	ds_load_2addr_b64 v[106:109], v14 offset0:192 offset1:224
	ds_load_2addr_b64 v[110:113], v15 offset1:32
	ds_load_2addr_b64 v[114:117], v15 offset0:64 offset1:96
	ds_load_2addr_b64 v[118:121], v15 offset0:128 offset1:160
	;; [unrolled: 1-line block ×3, first 2 shown]
	s_wait_dscnt 0x0
	s_barrier_signal -1
	s_barrier_wait -1
	s_clause 0x3
	global_load_b128 v[126:129], v[16:17], off
	global_load_b128 v[130:133], v[16:17], off offset:512
	global_load_b128 v[134:137], v[142:143], off
	global_load_b128 v[138:141], v[142:143], off offset:512
	s_wait_xcnt 0x2
	v_mul_u32_u24_e32 v16, 0x10001, v173
	v_mul_u32_u24_e32 v17, 0x10001, v174
	s_wait_xcnt 0x0
	v_mul_u32_u24_e32 v142, 0x10001, v175
	v_mul_u32_u24_e32 v143, 0x10001, v177
	s_wait_loadcnt 0x3
	ds_store_b128 v70, v[126:129]
	s_wait_loadcnt 0x2
	ds_store_b128 v71, v[130:133]
	;; [unrolled: 2-line block ×4, first 2 shown]
	v_pk_fma_f16 v144, v4, v16, v144
	v_pk_fma_f16 v145, v4, v17, v145
	;; [unrolled: 1-line block ×19, first 2 shown]
	v_and_b32_e32 v164, 0xffff, v94
	v_lshrrev_b32_e32 v94, 16, v94
	v_and_b32_e32 v165, 0xffff, v95
	v_lshrrev_b32_e32 v95, 16, v95
	v_pk_fma_f16 v81, v83, v16, v81
	v_pk_fma_f16 v157, v84, v16, v161
	;; [unrolled: 1-line block ×9, first 2 shown]
	v_mul_u32_u24_e32 v164, 0x10001, v164
	v_mul_u32_u24_e32 v94, 0x10001, v94
	;; [unrolled: 1-line block ×4, first 2 shown]
	v_pk_fma_f16 v163, v84, v142, v169
	v_pk_fma_f16 v142, v85, v142, v170
	;; [unrolled: 1-line block ×30, first 2 shown]
	v_and_b32_e32 v90, 0xffff, v96
	v_lshrrev_b32_e32 v91, 16, v96
	v_and_b32_e32 v96, 0xffff, v97
	v_lshrrev_b32_e32 v97, 16, v97
	v_pk_fma_f16 v152, v92, v164, v157
	v_pk_fma_f16 v16, v93, v164, v16
	;; [unrolled: 1-line block ×4, first 2 shown]
	v_mul_u32_u24_e32 v90, 0x10001, v90
	v_mul_u32_u24_e32 v91, 0x10001, v91
	;; [unrolled: 1-line block ×4, first 2 shown]
	v_pk_fma_f16 v142, v93, v165, v142
	v_pk_fma_f16 v85, v93, v95, v85
	;; [unrolled: 1-line block ×30, first 2 shown]
	v_and_b32_e32 v106, 0xffff, v98
	v_lshrrev_b32_e32 v98, 16, v98
	v_and_b32_e32 v107, 0xffff, v99
	v_lshrrev_b32_e32 v99, 16, v99
	v_pk_fma_f16 v148, v108, v92, v157
	v_pk_fma_f16 v92, v109, v92, v142
	v_mul_u32_u24_e32 v106, 0x10001, v106
	v_mul_u32_u24_e32 v98, 0x10001, v98
	v_mul_u32_u24_e32 v107, 0x10001, v107
	v_mul_u32_u24_e32 v99, 0x10001, v99
	v_pk_fma_f16 v84, v108, v96, v84
	v_pk_fma_f16 v85, v109, v96, v85
	;; [unrolled: 1-line block ×32, first 2 shown]
	v_and_b32_e32 v7, 0xffff, v100
	v_dual_lshrrev_b32 v82, 16, v100 :: v_dual_lshrrev_b32 v100, 16, v101
	v_and_b32_e32 v83, 0xffff, v101
	v_pk_fma_f16 v101, v116, v99, v84
	s_delay_alu instid0(VALU_DEP_4) | instskip(NEXT) | instid1(VALU_DEP_4)
	v_mul_u32_u24_e32 v84, 0x10001, v7
	v_mul_u32_u24_e32 v113, 0x10001, v82
	;; [unrolled: 1-line block ×4, first 2 shown]
	v_pk_fma_f16 v99, v117, v99, v85
	v_pk_fma_f16 v115, v118, v84, v93
	;; [unrolled: 1-line block ×13, first 2 shown]
	s_wait_dscnt 0x0
	s_barrier_signal -1
	s_barrier_wait -1
	ds_load_b128 v[4:7], v69 offset:640
	v_pk_fma_f16 v142, v121, v84, v88
	v_pk_fma_f16 v104, v121, v113, v104
	;; [unrolled: 1-line block ×6, first 2 shown]
	ds_load_b128 v[86:89], v69 offset:656
	v_pk_fma_f16 v81, v123, v84, v81
	v_pk_fma_f16 v105, v124, v84, v105
	;; [unrolled: 1-line block ×5, first 2 shown]
	ds_load_2addr_b64 v[82:85], v80 offset1:32
	v_pk_fma_f16 v17, v125, v113, v17
	v_pk_fma_f16 v113, v122, v114, v91
	;; [unrolled: 1-line block ×6, first 2 shown]
	s_wait_dscnt 0x2
	v_and_b32_e32 v90, 0xffff, v4
	v_pk_fma_f16 v107, v122, v100, v107
	v_lshrrev_b32_e32 v4, 16, v4
	v_and_b32_e32 v122, 0xffff, v5
	v_lshrrev_b32_e32 v5, 16, v5
	v_mul_u32_u24_e32 v123, 0x10001, v90
	ds_load_2addr_b64 v[90:93], v80 offset0:64 offset1:96
	v_pk_fma_f16 v101, v124, v100, v101
	v_mul_u32_u24_e32 v4, 0x10001, v4
	v_mul_u32_u24_e32 v124, 0x10001, v5
	;; [unrolled: 1-line block ×3, first 2 shown]
	v_pk_fma_f16 v99, v125, v100, v99
	v_lshrrev_b32_e32 v5, 16, v6
	s_wait_dscnt 0x1
	v_pk_fma_f16 v100, v82, v123, v115
	v_pk_fma_f16 v95, v82, v4, v95
	v_pk_fma_f16 v115, v82, v124, v116
	v_pk_fma_f16 v116, v83, v123, v117
	v_pk_fma_f16 v97, v83, v4, v97
	v_pk_fma_f16 v117, v83, v124, v118
	v_pk_fma_f16 v118, v84, v123, v119
	v_pk_fma_f16 v103, v84, v4, v103
	v_pk_fma_f16 v119, v84, v124, v120
	v_pk_fma_f16 v120, v85, v123, v142
	v_pk_fma_f16 v104, v85, v4, v104
	v_pk_fma_f16 v96, v82, v122, v96
	v_pk_fma_f16 v102, v83, v122, v102
	s_wait_dscnt 0x0
	v_pk_fma_f16 v121, v90, v123, v121
	v_pk_fma_f16 v81, v91, v123, v81
	;; [unrolled: 1-line block ×8, first 2 shown]
	v_and_b32_e32 v4, 0xffff, v6
	v_pk_fma_f16 v108, v84, v122, v108
	v_pk_fma_f16 v109, v85, v122, v109
	;; [unrolled: 1-line block ×3, first 2 shown]
	ds_load_2addr_b64 v[82:85], v80 offset0:128 offset1:160
	v_pk_fma_f16 v113, v90, v122, v113
	v_pk_fma_f16 v94, v91, v122, v94
	;; [unrolled: 1-line block ×7, first 2 shown]
	v_and_b32_e32 v101, 0xffff, v7
	v_lshrrev_b32_e32 v107, 16, v7
	v_mul_u32_u24_e32 v112, 0x10001, v4
	v_mul_u32_u24_e32 v122, 0x10001, v5
	ds_load_2addr_b64 v[4:7], v80 offset0:192 offset1:224
	v_mul_u32_u24_e32 v101, 0x10001, v101
	v_mul_u32_u24_e32 v107, 0x10001, v107
	v_pk_fma_f16 v99, v93, v124, v99
	s_or_b32 s26, s4, 0x60
	s_delay_alu instid0(SALU_CYCLE_1)
	s_ashr_i32 s27, s26, 31
	s_wait_dscnt 0x1
	v_pk_fma_f16 v100, v82, v112, v100
	v_pk_fma_f16 v95, v82, v122, v95
	;; [unrolled: 1-line block ×16, first 2 shown]
	s_wait_dscnt 0x0
	v_pk_fma_f16 v121, v4, v112, v121
	v_pk_fma_f16 v81, v5, v112, v81
	;; [unrolled: 1-line block ×6, first 2 shown]
	ds_load_2addr_b64 v[82:85], v79 offset1:32
	v_pk_fma_f16 v111, v6, v122, v111
	v_pk_fma_f16 v17, v7, v122, v17
	;; [unrolled: 1-line block ×8, first 2 shown]
	v_and_b32_e32 v4, 0xffff, v86
	v_lshrrev_b32_e32 v5, 16, v86
	v_pk_fma_f16 v86, v6, v107, v92
	ds_load_2addr_b64 v[90:93], v79 offset0:64 offset1:96
	v_and_b32_e32 v6, 0xffff, v87
	v_lshrrev_b32_e32 v87, 16, v87
	v_mul_u32_u24_e32 v4, 0x10001, v4
	v_mul_u32_u24_e32 v123, 0x10001, v5
	v_pk_fma_f16 v99, v7, v107, v99
	v_mul_u32_u24_e32 v124, 0x10001, v6
	v_mul_u32_u24_e32 v87, 0x10001, v87
	s_wait_dscnt 0x1
	v_pk_fma_f16 v100, v82, v4, v100
	v_pk_fma_f16 v95, v82, v123, v95
	v_pk_fma_f16 v97, v83, v123, v97
	v_pk_fma_f16 v96, v82, v124, v96
	v_pk_fma_f16 v107, v82, v87, v115
	v_pk_fma_f16 v115, v83, v4, v116
	v_pk_fma_f16 v102, v83, v124, v102
	v_pk_fma_f16 v116, v83, v87, v117
	v_pk_fma_f16 v117, v84, v4, v118
	v_pk_fma_f16 v103, v84, v123, v103
	v_pk_fma_f16 v108, v84, v124, v108
	v_pk_fma_f16 v118, v84, v87, v119
	v_pk_fma_f16 v119, v85, v4, v120
	s_wait_dscnt 0x0
	v_pk_fma_f16 v120, v90, v4, v121
	v_pk_fma_f16 v112, v90, v123, v112
	;; [unrolled: 1-line block ×4, first 2 shown]
	v_and_b32_e32 v82, 0xffff, v88
	v_lshrrev_b32_e32 v83, 16, v88
	v_and_b32_e32 v84, 0xffff, v89
	v_pk_fma_f16 v114, v92, v87, v86
	v_lshrrev_b32_e32 v86, 16, v89
	v_pk_fma_f16 v104, v85, v123, v104
	v_pk_fma_f16 v109, v85, v124, v109
	;; [unrolled: 1-line block ×7, first 2 shown]
	ds_load_2addr_b64 v[4:7], v79 offset0:128 offset1:160
	v_pk_fma_f16 v111, v92, v123, v111
	v_pk_fma_f16 v17, v93, v123, v17
	;; [unrolled: 1-line block ×5, first 2 shown]
	v_mul_u32_u24_e32 v92, 0x10001, v82
	v_mul_u32_u24_e32 v121, 0x10001, v83
	;; [unrolled: 1-line block ×3, first 2 shown]
	ds_load_2addr_b64 v[82:85], v79 offset0:192 offset1:224
	v_mul_u32_u24_e32 v123, 0x10001, v86
	v_pk_fma_f16 v99, v93, v87, v99
	ds_load_b128 v[86:89], v69 offset:672
	v_pk_fma_f16 v101, v93, v124, v101
	s_mul_u64 s[26:27], s[26:27], s[14:15]
	s_delay_alu instid0(SALU_CYCLE_1) | instskip(NEXT) | instid1(SALU_CYCLE_1)
	s_lshl_b64 s[26:27], s[26:27], 2
	s_add_nc_u64 s[26:27], s[8:9], s[26:27]
	s_wait_dscnt 0x2
	v_pk_fma_f16 v100, v4, v92, v100
	v_pk_fma_f16 v124, v4, v121, v95
	;; [unrolled: 1-line block ×9, first 2 shown]
	s_wait_dscnt 0x1
	v_pk_fma_f16 v120, v82, v92, v120
	v_pk_fma_f16 v81, v83, v92, v81
	;; [unrolled: 1-line block ×12, first 2 shown]
	ds_load_b128 v[90:93], v69 offset:688
	s_wait_dscnt 0x1
	v_and_b32_e32 v94, 0xffff, v86
	v_pk_fma_f16 v107, v4, v123, v107
	v_pk_fma_f16 v102, v5, v122, v102
	;; [unrolled: 1-line block ×7, first 2 shown]
	ds_load_2addr_b64 v[4:7], v10 offset1:32
	v_pk_fma_f16 v98, v84, v122, v98
	v_pk_fma_f16 v101, v85, v122, v101
	v_mul_u32_u24_e32 v122, 0x10001, v94
	ds_load_2addr_b64 v[94:97], v10 offset0:64 offset1:96
	v_lshrrev_b32_e32 v86, 16, v86
	v_pk_fma_f16 v84, v84, v123, v114
	v_and_b32_e32 v114, 0xffff, v87
	v_lshrrev_b32_e32 v87, 16, v87
	v_pk_fma_f16 v99, v85, v123, v99
	v_mul_u32_u24_e32 v86, 0x10001, v86
	s_delay_alu instid0(VALU_DEP_4) | instskip(NEXT) | instid1(VALU_DEP_4)
	v_mul_u32_u24_e32 v114, 0x10001, v114
	v_mul_u32_u24_e32 v87, 0x10001, v87
	s_wait_dscnt 0x1
	s_delay_alu instid0(VALU_DEP_3) | instskip(NEXT) | instid1(VALU_DEP_3)
	v_pk_fma_f16 v123, v4, v86, v124
	v_pk_fma_f16 v124, v4, v114, v125
	;; [unrolled: 1-line block ×5, first 2 shown]
	s_wait_dscnt 0x0
	v_pk_fma_f16 v120, v94, v122, v120
	v_pk_fma_f16 v81, v95, v122, v81
	;; [unrolled: 1-line block ×10, first 2 shown]
	v_and_b32_e32 v82, 0xffff, v88
	v_lshrrev_b32_e32 v83, 16, v88
	v_pk_fma_f16 v100, v4, v122, v100
	v_pk_fma_f16 v107, v4, v87, v107
	;; [unrolled: 1-line block ×12, first 2 shown]
	ds_load_2addr_b64 v[4:7], v10 offset0:128 offset1:160
	v_pk_fma_f16 v98, v96, v114, v98
	v_pk_fma_f16 v101, v97, v114, v101
	;; [unrolled: 1-line block ×3, first 2 shown]
	v_and_b32_e32 v96, 0xffff, v89
	v_lshrrev_b32_e32 v89, 16, v89
	v_mul_u32_u24_e32 v114, 0x10001, v82
	v_mul_u32_u24_e32 v121, 0x10001, v83
	ds_load_2addr_b64 v[82:85], v10 offset0:192 offset1:224
	v_pk_fma_f16 v16, v97, v122, v16
	v_mul_u32_u24_e32 v96, 0x10001, v96
	v_mul_u32_u24_e32 v122, 0x10001, v89
	v_pk_fma_f16 v97, v97, v87, v99
	v_lshrrev_b32_e32 v87, 16, v90
	s_wait_dscnt 0x1
	v_pk_fma_f16 v99, v4, v114, v100
	v_pk_fma_f16 v115, v5, v114, v115
	;; [unrolled: 1-line block ×8, first 2 shown]
	s_wait_dscnt 0x0
	v_pk_fma_f16 v120, v82, v114, v120
	v_pk_fma_f16 v81, v83, v114, v81
	;; [unrolled: 1-line block ×5, first 2 shown]
	v_and_b32_e32 v86, 0xffff, v90
	v_pk_fma_f16 v102, v5, v96, v102
	v_pk_fma_f16 v116, v5, v122, v116
	;; [unrolled: 1-line block ×10, first 2 shown]
	ds_load_2addr_b64 v[4:7], v11 offset1:32
	v_pk_fma_f16 v111, v84, v121, v111
	v_pk_fma_f16 v113, v83, v96, v113
	;; [unrolled: 1-line block ×6, first 2 shown]
	v_and_b32_e32 v90, 0xffff, v91
	v_lshrrev_b32_e32 v91, 16, v91
	v_mul_u32_u24_e32 v94, 0x10001, v86
	v_mul_u32_u24_e32 v95, 0x10001, v87
	ds_load_2addr_b64 v[86:89], v11 offset0:64 offset1:96
	v_pk_fma_f16 v17, v85, v121, v17
	v_pk_fma_f16 v96, v85, v96, v101
	v_mul_u32_u24_e32 v90, 0x10001, v90
	v_mul_u32_u24_e32 v91, 0x10001, v91
	v_pk_fma_f16 v97, v85, v122, v97
	v_and_b32_e32 v85, 0xffff, v93
	s_wait_dscnt 0x1
	v_pk_fma_f16 v99, v4, v94, v99
	v_pk_fma_f16 v100, v4, v95, v100
	;; [unrolled: 1-line block ×12, first 2 shown]
	s_wait_dscnt 0x0
	v_pk_fma_f16 v120, v86, v94, v120
	v_pk_fma_f16 v81, v87, v94, v81
	;; [unrolled: 1-line block ×14, first 2 shown]
	v_and_b32_e32 v82, 0xffff, v92
	v_dual_lshrrev_b32 v83, 16, v92 :: v_dual_lshrrev_b32 v86, 16, v93
	v_pk_fma_f16 v107, v4, v91, v107
	v_pk_fma_f16 v116, v5, v91, v116
	;; [unrolled: 1-line block ×4, first 2 shown]
	ds_load_2addr_b64 v[4:7], v11 offset0:128 offset1:160
	v_pk_fma_f16 v114, v88, v91, v84
	v_mul_u32_u24_e32 v92, 0x10001, v82
	v_mul_u32_u24_e32 v93, 0x10001, v83
	;; [unrolled: 1-line block ×3, first 2 shown]
	ds_load_2addr_b64 v[82:85], v11 offset0:192 offset1:224
	v_mul_u32_u24_e32 v123, 0x10001, v86
	v_pk_fma_f16 v124, v89, v91, v97
	ds_load_b128 v[86:89], v69 offset:704
	s_wait_dscnt 0x2
	v_pk_fma_f16 v99, v4, v92, v99
	v_pk_fma_f16 v100, v4, v93, v100
	;; [unrolled: 1-line block ×12, first 2 shown]
	s_wait_dscnt 0x1
	v_pk_fma_f16 v120, v82, v92, v120
	v_pk_fma_f16 v81, v83, v92, v81
	;; [unrolled: 1-line block ×12, first 2 shown]
	ds_load_b128 v[90:93], v69 offset:720
	s_wait_dscnt 0x1
	v_and_b32_e32 v94, 0xffff, v86
	v_pk_fma_f16 v107, v4, v123, v107
	v_pk_fma_f16 v116, v5, v123, v116
	;; [unrolled: 1-line block ×4, first 2 shown]
	ds_load_2addr_b64 v[4:7], v12 offset1:32
	v_pk_fma_f16 v82, v82, v123, v96
	v_pk_fma_f16 v84, v84, v123, v114
	v_mul_u32_u24_e32 v114, 0x10001, v94
	ds_load_2addr_b64 v[94:97], v12 offset0:64 offset1:96
	v_pk_fma_f16 v83, v83, v123, v113
	v_lshrrev_b32_e32 v86, 16, v86
	v_and_b32_e32 v113, 0xffff, v87
	v_lshrrev_b32_e32 v87, 16, v87
	v_pk_fma_f16 v123, v85, v123, v124
	s_delay_alu instid0(VALU_DEP_4) | instskip(NEXT) | instid1(VALU_DEP_4)
	v_mul_u32_u24_e32 v86, 0x10001, v86
	v_mul_u32_u24_e32 v113, 0x10001, v113
	s_delay_alu instid0(VALU_DEP_4)
	v_mul_u32_u24_e32 v87, 0x10001, v87
	s_wait_dscnt 0x2
	v_and_b32_e32 v173, 0xffff, v92
	v_dual_lshrrev_b32 v174, 16, v92 :: v_dual_lshrrev_b32 v177, 16, v93
	v_and_b32_e32 v175, 0xffff, v93
	s_wait_dscnt 0x1
	v_pk_fma_f16 v99, v4, v114, v99
	v_pk_fma_f16 v100, v4, v86, v100
	;; [unrolled: 1-line block ×8, first 2 shown]
	s_wait_dscnt 0x0
	v_pk_fma_f16 v120, v94, v114, v120
	v_pk_fma_f16 v81, v95, v114, v81
	;; [unrolled: 1-line block ×12, first 2 shown]
	v_and_b32_e32 v82, 0xffff, v88
	v_lshrrev_b32_e32 v83, 16, v88
	v_pk_fma_f16 v101, v4, v113, v101
	v_pk_fma_f16 v107, v4, v87, v107
	;; [unrolled: 1-line block ×8, first 2 shown]
	ds_load_2addr_b64 v[4:7], v12 offset0:128 offset1:160
	v_pk_fma_f16 v98, v96, v113, v98
	v_pk_fma_f16 v113, v97, v113, v122
	;; [unrolled: 1-line block ×3, first 2 shown]
	v_and_b32_e32 v96, 0xffff, v89
	v_lshrrev_b32_e32 v89, 16, v89
	v_mul_u32_u24_e32 v122, 0x10001, v82
	v_mul_u32_u24_e32 v124, 0x10001, v83
	ds_load_2addr_b64 v[82:85], v12 offset0:192 offset1:224
	v_mul_u32_u24_e32 v96, 0x10001, v96
	v_mul_u32_u24_e32 v125, 0x10001, v89
	v_pk_fma_f16 v97, v97, v87, v123
	v_lshrrev_b32_e32 v87, 16, v90
	v_add_nc_u64_e32 v[126:127], s[26:27], v[44:45]
	s_wait_dscnt 0x1
	v_pk_fma_f16 v99, v4, v122, v99
	v_pk_fma_f16 v115, v5, v122, v115
	;; [unrolled: 1-line block ×8, first 2 shown]
	s_wait_dscnt 0x0
	v_pk_fma_f16 v120, v82, v122, v120
	v_pk_fma_f16 v81, v83, v122, v81
	;; [unrolled: 1-line block ×5, first 2 shown]
	v_and_b32_e32 v86, 0xffff, v90
	v_pk_fma_f16 v114, v82, v124, v114
	v_pk_fma_f16 v106, v83, v124, v106
	;; [unrolled: 1-line block ×8, first 2 shown]
	v_and_b32_e32 v90, 0xffff, v91
	v_lshrrev_b32_e32 v91, 16, v91
	v_mul_u32_u24_e32 v94, 0x10001, v86
	v_mul_u32_u24_e32 v95, 0x10001, v87
	ds_load_2addr_b64 v[86:89], v13 offset0:64 offset1:96
	v_pk_fma_f16 v102, v5, v96, v102
	v_pk_fma_f16 v116, v5, v125, v116
	;; [unrolled: 1-line block ×8, first 2 shown]
	ds_load_2addr_b64 v[4:7], v13 offset1:32
	v_pk_fma_f16 v17, v85, v124, v17
	v_pk_fma_f16 v96, v85, v96, v113
	v_mul_u32_u24_e32 v90, 0x10001, v90
	v_mul_u32_u24_e32 v91, 0x10001, v91
	v_pk_fma_f16 v97, v85, v125, v97
	v_add_nc_u64_e32 v[142:143], v[126:127], v[30:31]
	s_wait_dscnt 0x1
	v_pk_fma_f16 v162, v89, v94, v16
	v_pk_fma_f16 v166, v89, v95, v17
	v_add_nc_u64_e32 v[16:17], s[26:27], v[42:43]
	v_pk_fma_f16 v160, v86, v94, v120
	v_pk_fma_f16 v81, v87, v94, v81
	v_pk_fma_f16 v161, v88, v94, v105
	v_pk_fma_f16 v163, v86, v95, v114
	v_pk_fma_f16 v164, v87, v95, v106
	v_pk_fma_f16 v165, v88, v95, v111
	v_add_nc_u64_e32 v[16:17], v[16:17], v[30:31]
	s_wait_dscnt 0x0
	v_pk_fma_f16 v144, v4, v94, v99
	v_pk_fma_f16 v145, v4, v95, v100
	v_pk_fma_f16 v146, v4, v90, v101
	v_pk_fma_f16 v147, v4, v91, v107
	v_pk_fma_f16 v148, v5, v94, v115
	v_pk_fma_f16 v149, v5, v95, v121
	v_pk_fma_f16 v150, v5, v90, v102
	v_pk_fma_f16 v151, v5, v91, v116
	v_pk_fma_f16 v152, v6, v94, v117
	v_pk_fma_f16 v153, v6, v95, v103
	v_pk_fma_f16 v154, v6, v90, v108
	v_pk_fma_f16 v155, v6, v91, v118
	v_pk_fma_f16 v156, v7, v94, v119
	v_pk_fma_f16 v157, v7, v95, v104
	v_pk_fma_f16 v158, v7, v90, v109
	v_pk_fma_f16 v159, v7, v91, v110
	ds_load_2addr_b64 v[4:7], v13 offset0:128 offset1:160
	v_pk_fma_f16 v167, v86, v90, v122
	v_pk_fma_f16 v168, v87, v90, v112
	;; [unrolled: 1-line block ×7, first 2 shown]
	ds_load_2addr_b64 v[82:85], v13 offset0:192 offset1:224
	v_pk_fma_f16 v178, v89, v91, v97
	ds_load_2addr_b64 v[86:89], v14 offset1:32
	ds_load_2addr_b64 v[90:93], v14 offset0:64 offset1:96
	ds_load_b128 v[94:97], v69 offset:736
	ds_load_b128 v[98:101], v69 offset:752
	ds_load_2addr_b64 v[102:105], v14 offset0:128 offset1:160
	ds_load_2addr_b64 v[106:109], v14 offset0:192 offset1:224
	ds_load_2addr_b64 v[110:113], v15 offset1:32
	ds_load_2addr_b64 v[114:117], v15 offset0:64 offset1:96
	ds_load_2addr_b64 v[118:121], v15 offset0:128 offset1:160
	;; [unrolled: 1-line block ×3, first 2 shown]
	s_wait_dscnt 0x0
	s_barrier_signal -1
	s_barrier_wait -1
	s_clause 0x3
	global_load_b128 v[126:129], v[16:17], off
	global_load_b128 v[130:133], v[16:17], off offset:512
	global_load_b128 v[134:137], v[142:143], off
	global_load_b128 v[138:141], v[142:143], off offset:512
	s_wait_xcnt 0x2
	v_mul_u32_u24_e32 v16, 0x10001, v173
	v_mul_u32_u24_e32 v17, 0x10001, v174
	s_wait_xcnt 0x0
	v_mul_u32_u24_e32 v142, 0x10001, v175
	v_mul_u32_u24_e32 v143, 0x10001, v177
	s_wait_loadcnt 0x3
	ds_store_b128 v70, v[126:129]
	s_wait_loadcnt 0x2
	ds_store_b128 v71, v[130:133]
	;; [unrolled: 2-line block ×4, first 2 shown]
	v_pk_fma_f16 v144, v4, v16, v144
	v_pk_fma_f16 v145, v4, v17, v145
	;; [unrolled: 1-line block ×19, first 2 shown]
	v_and_b32_e32 v164, 0xffff, v94
	v_lshrrev_b32_e32 v94, 16, v94
	v_and_b32_e32 v165, 0xffff, v95
	v_lshrrev_b32_e32 v95, 16, v95
	v_pk_fma_f16 v81, v83, v16, v81
	v_pk_fma_f16 v157, v84, v16, v161
	v_pk_fma_f16 v16, v85, v16, v162
	v_pk_fma_f16 v158, v82, v17, v163
	v_pk_fma_f16 v17, v85, v17, v166
	v_pk_fma_f16 v161, v82, v142, v167
	v_pk_fma_f16 v162, v83, v142, v168
	v_pk_fma_f16 v82, v82, v143, v171
	v_pk_fma_f16 v83, v83, v143, v172
	v_mul_u32_u24_e32 v164, 0x10001, v164
	v_mul_u32_u24_e32 v94, 0x10001, v94
	;; [unrolled: 1-line block ×4, first 2 shown]
	v_pk_fma_f16 v163, v84, v142, v169
	v_pk_fma_f16 v142, v85, v142, v170
	;; [unrolled: 1-line block ×30, first 2 shown]
	v_and_b32_e32 v90, 0xffff, v96
	v_lshrrev_b32_e32 v91, 16, v96
	v_and_b32_e32 v96, 0xffff, v97
	v_lshrrev_b32_e32 v97, 16, v97
	v_pk_fma_f16 v152, v92, v164, v157
	v_pk_fma_f16 v16, v93, v164, v16
	;; [unrolled: 1-line block ×4, first 2 shown]
	v_mul_u32_u24_e32 v90, 0x10001, v90
	v_mul_u32_u24_e32 v91, 0x10001, v91
	v_mul_u32_u24_e32 v92, 0x10001, v96
	v_mul_u32_u24_e32 v96, 0x10001, v97
	v_pk_fma_f16 v142, v93, v165, v142
	v_pk_fma_f16 v85, v93, v95, v85
	;; [unrolled: 1-line block ×30, first 2 shown]
	v_and_b32_e32 v106, 0xffff, v98
	v_lshrrev_b32_e32 v98, 16, v98
	v_and_b32_e32 v107, 0xffff, v99
	v_lshrrev_b32_e32 v99, 16, v99
	v_pk_fma_f16 v148, v108, v92, v157
	v_pk_fma_f16 v92, v109, v92, v142
	v_mul_u32_u24_e32 v106, 0x10001, v106
	v_mul_u32_u24_e32 v98, 0x10001, v98
	v_mul_u32_u24_e32 v107, 0x10001, v107
	v_mul_u32_u24_e32 v99, 0x10001, v99
	v_pk_fma_f16 v84, v108, v96, v84
	v_pk_fma_f16 v85, v109, v96, v85
	;; [unrolled: 1-line block ×32, first 2 shown]
	v_and_b32_e32 v7, 0xffff, v100
	v_dual_lshrrev_b32 v82, 16, v100 :: v_dual_lshrrev_b32 v100, 16, v101
	v_and_b32_e32 v83, 0xffff, v101
	v_pk_fma_f16 v101, v116, v99, v84
	s_delay_alu instid0(VALU_DEP_4) | instskip(NEXT) | instid1(VALU_DEP_4)
	v_mul_u32_u24_e32 v84, 0x10001, v7
	v_mul_u32_u24_e32 v113, 0x10001, v82
	;; [unrolled: 1-line block ×4, first 2 shown]
	v_pk_fma_f16 v99, v117, v99, v85
	v_pk_fma_f16 v115, v118, v84, v93
	;; [unrolled: 1-line block ×13, first 2 shown]
	s_wait_dscnt 0x0
	s_barrier_signal -1
	s_barrier_wait -1
	ds_load_b128 v[4:7], v69 offset:768
	v_pk_fma_f16 v142, v121, v84, v88
	v_pk_fma_f16 v104, v121, v113, v104
	;; [unrolled: 1-line block ×6, first 2 shown]
	ds_load_b128 v[86:89], v69 offset:784
	v_pk_fma_f16 v81, v123, v84, v81
	v_pk_fma_f16 v105, v124, v84, v105
	;; [unrolled: 1-line block ×5, first 2 shown]
	ds_load_2addr_b64 v[82:85], v80 offset1:32
	v_pk_fma_f16 v17, v125, v113, v17
	v_pk_fma_f16 v113, v122, v114, v91
	;; [unrolled: 1-line block ×6, first 2 shown]
	s_wait_dscnt 0x2
	v_and_b32_e32 v90, 0xffff, v4
	v_pk_fma_f16 v107, v122, v100, v107
	v_lshrrev_b32_e32 v4, 16, v4
	v_and_b32_e32 v122, 0xffff, v5
	v_lshrrev_b32_e32 v5, 16, v5
	v_mul_u32_u24_e32 v123, 0x10001, v90
	ds_load_2addr_b64 v[90:93], v80 offset0:64 offset1:96
	v_pk_fma_f16 v101, v124, v100, v101
	v_mul_u32_u24_e32 v4, 0x10001, v4
	v_mul_u32_u24_e32 v124, 0x10001, v5
	;; [unrolled: 1-line block ×3, first 2 shown]
	v_pk_fma_f16 v99, v125, v100, v99
	v_lshrrev_b32_e32 v5, 16, v6
	s_wait_dscnt 0x1
	v_pk_fma_f16 v100, v82, v123, v115
	v_pk_fma_f16 v95, v82, v4, v95
	;; [unrolled: 1-line block ×13, first 2 shown]
	s_wait_dscnt 0x0
	v_pk_fma_f16 v121, v90, v123, v121
	v_pk_fma_f16 v81, v91, v123, v81
	;; [unrolled: 1-line block ×8, first 2 shown]
	v_and_b32_e32 v4, 0xffff, v6
	v_pk_fma_f16 v108, v84, v122, v108
	v_pk_fma_f16 v109, v85, v122, v109
	;; [unrolled: 1-line block ×3, first 2 shown]
	ds_load_2addr_b64 v[82:85], v80 offset0:128 offset1:160
	v_pk_fma_f16 v113, v90, v122, v113
	v_pk_fma_f16 v94, v91, v122, v94
	;; [unrolled: 1-line block ×7, first 2 shown]
	v_and_b32_e32 v101, 0xffff, v7
	v_lshrrev_b32_e32 v107, 16, v7
	v_mul_u32_u24_e32 v112, 0x10001, v4
	v_mul_u32_u24_e32 v122, 0x10001, v5
	ds_load_2addr_b64 v[4:7], v80 offset0:192 offset1:224
	v_mul_u32_u24_e32 v101, 0x10001, v101
	v_mul_u32_u24_e32 v107, 0x10001, v107
	v_pk_fma_f16 v99, v93, v124, v99
	s_or_b32 s26, s4, 0x70
	s_delay_alu instid0(SALU_CYCLE_1)
	s_ashr_i32 s27, s26, 31
	s_wait_dscnt 0x1
	v_pk_fma_f16 v100, v82, v112, v100
	v_pk_fma_f16 v95, v82, v122, v95
	;; [unrolled: 1-line block ×16, first 2 shown]
	s_wait_dscnt 0x0
	v_pk_fma_f16 v121, v4, v112, v121
	v_pk_fma_f16 v81, v5, v112, v81
	;; [unrolled: 1-line block ×6, first 2 shown]
	ds_load_2addr_b64 v[82:85], v79 offset1:32
	v_pk_fma_f16 v111, v6, v122, v111
	v_pk_fma_f16 v17, v7, v122, v17
	;; [unrolled: 1-line block ×8, first 2 shown]
	v_and_b32_e32 v4, 0xffff, v86
	v_lshrrev_b32_e32 v5, 16, v86
	v_pk_fma_f16 v86, v6, v107, v92
	ds_load_2addr_b64 v[90:93], v79 offset0:64 offset1:96
	v_and_b32_e32 v6, 0xffff, v87
	v_lshrrev_b32_e32 v87, 16, v87
	v_mul_u32_u24_e32 v4, 0x10001, v4
	v_mul_u32_u24_e32 v123, 0x10001, v5
	v_pk_fma_f16 v99, v7, v107, v99
	v_mul_u32_u24_e32 v124, 0x10001, v6
	v_mul_u32_u24_e32 v87, 0x10001, v87
	s_wait_dscnt 0x1
	v_pk_fma_f16 v100, v82, v4, v100
	v_pk_fma_f16 v95, v82, v123, v95
	;; [unrolled: 1-line block ×13, first 2 shown]
	s_wait_dscnt 0x0
	v_pk_fma_f16 v120, v90, v4, v121
	v_pk_fma_f16 v112, v90, v123, v112
	;; [unrolled: 1-line block ×4, first 2 shown]
	v_and_b32_e32 v82, 0xffff, v88
	v_lshrrev_b32_e32 v83, 16, v88
	v_and_b32_e32 v84, 0xffff, v89
	v_pk_fma_f16 v114, v92, v87, v86
	v_lshrrev_b32_e32 v86, 16, v89
	v_pk_fma_f16 v104, v85, v123, v104
	v_pk_fma_f16 v109, v85, v124, v109
	;; [unrolled: 1-line block ×7, first 2 shown]
	ds_load_2addr_b64 v[4:7], v79 offset0:128 offset1:160
	v_pk_fma_f16 v111, v92, v123, v111
	v_pk_fma_f16 v17, v93, v123, v17
	;; [unrolled: 1-line block ×5, first 2 shown]
	v_mul_u32_u24_e32 v92, 0x10001, v82
	v_mul_u32_u24_e32 v121, 0x10001, v83
	;; [unrolled: 1-line block ×3, first 2 shown]
	ds_load_2addr_b64 v[82:85], v79 offset0:192 offset1:224
	v_mul_u32_u24_e32 v123, 0x10001, v86
	v_pk_fma_f16 v99, v93, v87, v99
	ds_load_b128 v[86:89], v69 offset:800
	v_pk_fma_f16 v101, v93, v124, v101
	s_mul_u64 s[26:27], s[26:27], s[14:15]
	s_delay_alu instid0(SALU_CYCLE_1) | instskip(NEXT) | instid1(SALU_CYCLE_1)
	s_lshl_b64 s[26:27], s[26:27], 2
	s_add_nc_u64 s[26:27], s[8:9], s[26:27]
	s_wait_dscnt 0x2
	v_pk_fma_f16 v100, v4, v92, v100
	v_pk_fma_f16 v124, v4, v121, v95
	;; [unrolled: 1-line block ×9, first 2 shown]
	s_wait_dscnt 0x1
	v_pk_fma_f16 v120, v82, v92, v120
	v_pk_fma_f16 v81, v83, v92, v81
	;; [unrolled: 1-line block ×12, first 2 shown]
	ds_load_b128 v[90:93], v69 offset:816
	s_wait_dscnt 0x1
	v_and_b32_e32 v94, 0xffff, v86
	v_pk_fma_f16 v107, v4, v123, v107
	v_pk_fma_f16 v102, v5, v122, v102
	;; [unrolled: 1-line block ×7, first 2 shown]
	ds_load_2addr_b64 v[4:7], v10 offset1:32
	v_pk_fma_f16 v98, v84, v122, v98
	v_pk_fma_f16 v101, v85, v122, v101
	v_mul_u32_u24_e32 v122, 0x10001, v94
	ds_load_2addr_b64 v[94:97], v10 offset0:64 offset1:96
	v_lshrrev_b32_e32 v86, 16, v86
	v_pk_fma_f16 v84, v84, v123, v114
	v_and_b32_e32 v114, 0xffff, v87
	v_lshrrev_b32_e32 v87, 16, v87
	v_pk_fma_f16 v99, v85, v123, v99
	v_mul_u32_u24_e32 v86, 0x10001, v86
	s_delay_alu instid0(VALU_DEP_4) | instskip(NEXT) | instid1(VALU_DEP_4)
	v_mul_u32_u24_e32 v114, 0x10001, v114
	v_mul_u32_u24_e32 v87, 0x10001, v87
	s_wait_dscnt 0x1
	s_delay_alu instid0(VALU_DEP_3) | instskip(NEXT) | instid1(VALU_DEP_3)
	v_pk_fma_f16 v123, v4, v86, v124
	v_pk_fma_f16 v124, v4, v114, v125
	;; [unrolled: 1-line block ×5, first 2 shown]
	s_wait_dscnt 0x0
	v_pk_fma_f16 v120, v94, v122, v120
	v_pk_fma_f16 v81, v95, v122, v81
	;; [unrolled: 1-line block ×10, first 2 shown]
	v_and_b32_e32 v82, 0xffff, v88
	v_lshrrev_b32_e32 v83, 16, v88
	v_pk_fma_f16 v100, v4, v122, v100
	v_pk_fma_f16 v107, v4, v87, v107
	;; [unrolled: 1-line block ×12, first 2 shown]
	ds_load_2addr_b64 v[4:7], v10 offset0:128 offset1:160
	v_pk_fma_f16 v98, v96, v114, v98
	v_pk_fma_f16 v101, v97, v114, v101
	;; [unrolled: 1-line block ×3, first 2 shown]
	v_and_b32_e32 v96, 0xffff, v89
	v_lshrrev_b32_e32 v89, 16, v89
	v_mul_u32_u24_e32 v114, 0x10001, v82
	v_mul_u32_u24_e32 v121, 0x10001, v83
	ds_load_2addr_b64 v[82:85], v10 offset0:192 offset1:224
	v_pk_fma_f16 v16, v97, v122, v16
	v_mul_u32_u24_e32 v96, 0x10001, v96
	v_mul_u32_u24_e32 v122, 0x10001, v89
	v_pk_fma_f16 v97, v97, v87, v99
	v_lshrrev_b32_e32 v87, 16, v90
	s_wait_dscnt 0x1
	v_pk_fma_f16 v99, v4, v114, v100
	v_pk_fma_f16 v115, v5, v114, v115
	;; [unrolled: 1-line block ×8, first 2 shown]
	s_wait_dscnt 0x0
	v_pk_fma_f16 v120, v82, v114, v120
	v_pk_fma_f16 v81, v83, v114, v81
	;; [unrolled: 1-line block ×5, first 2 shown]
	v_and_b32_e32 v86, 0xffff, v90
	v_pk_fma_f16 v102, v5, v96, v102
	v_pk_fma_f16 v116, v5, v122, v116
	;; [unrolled: 1-line block ×10, first 2 shown]
	ds_load_2addr_b64 v[4:7], v11 offset1:32
	v_pk_fma_f16 v111, v84, v121, v111
	v_pk_fma_f16 v113, v83, v96, v113
	v_pk_fma_f16 v98, v84, v96, v98
	v_pk_fma_f16 v82, v82, v122, v94
	v_pk_fma_f16 v83, v83, v122, v95
	v_pk_fma_f16 v84, v84, v122, v88
	v_and_b32_e32 v90, 0xffff, v91
	v_lshrrev_b32_e32 v91, 16, v91
	v_mul_u32_u24_e32 v94, 0x10001, v86
	v_mul_u32_u24_e32 v95, 0x10001, v87
	ds_load_2addr_b64 v[86:89], v11 offset0:64 offset1:96
	v_pk_fma_f16 v17, v85, v121, v17
	v_pk_fma_f16 v96, v85, v96, v101
	v_mul_u32_u24_e32 v90, 0x10001, v90
	v_mul_u32_u24_e32 v91, 0x10001, v91
	v_pk_fma_f16 v97, v85, v122, v97
	v_and_b32_e32 v85, 0xffff, v93
	s_wait_dscnt 0x1
	v_pk_fma_f16 v99, v4, v94, v99
	v_pk_fma_f16 v100, v4, v95, v100
	;; [unrolled: 1-line block ×12, first 2 shown]
	s_wait_dscnt 0x0
	v_pk_fma_f16 v120, v86, v94, v120
	v_pk_fma_f16 v81, v87, v94, v81
	;; [unrolled: 1-line block ×14, first 2 shown]
	v_and_b32_e32 v82, 0xffff, v92
	v_dual_lshrrev_b32 v83, 16, v92 :: v_dual_lshrrev_b32 v86, 16, v93
	v_pk_fma_f16 v107, v4, v91, v107
	v_pk_fma_f16 v116, v5, v91, v116
	;; [unrolled: 1-line block ×4, first 2 shown]
	ds_load_2addr_b64 v[4:7], v11 offset0:128 offset1:160
	v_pk_fma_f16 v114, v88, v91, v84
	v_mul_u32_u24_e32 v92, 0x10001, v82
	v_mul_u32_u24_e32 v93, 0x10001, v83
	;; [unrolled: 1-line block ×3, first 2 shown]
	ds_load_2addr_b64 v[82:85], v11 offset0:192 offset1:224
	v_mul_u32_u24_e32 v123, 0x10001, v86
	v_pk_fma_f16 v124, v89, v91, v97
	ds_load_b128 v[86:89], v69 offset:832
	s_wait_dscnt 0x2
	v_pk_fma_f16 v99, v4, v92, v99
	v_pk_fma_f16 v100, v4, v93, v100
	;; [unrolled: 1-line block ×12, first 2 shown]
	s_wait_dscnt 0x1
	v_pk_fma_f16 v120, v82, v92, v120
	v_pk_fma_f16 v81, v83, v92, v81
	;; [unrolled: 1-line block ×12, first 2 shown]
	ds_load_b128 v[90:93], v69 offset:848
	s_wait_dscnt 0x1
	v_and_b32_e32 v94, 0xffff, v86
	v_pk_fma_f16 v107, v4, v123, v107
	v_pk_fma_f16 v116, v5, v123, v116
	;; [unrolled: 1-line block ×4, first 2 shown]
	ds_load_2addr_b64 v[4:7], v12 offset1:32
	v_pk_fma_f16 v82, v82, v123, v96
	v_pk_fma_f16 v84, v84, v123, v114
	v_mul_u32_u24_e32 v114, 0x10001, v94
	ds_load_2addr_b64 v[94:97], v12 offset0:64 offset1:96
	v_pk_fma_f16 v83, v83, v123, v113
	v_lshrrev_b32_e32 v86, 16, v86
	v_and_b32_e32 v113, 0xffff, v87
	v_lshrrev_b32_e32 v87, 16, v87
	v_pk_fma_f16 v123, v85, v123, v124
	s_delay_alu instid0(VALU_DEP_4) | instskip(NEXT) | instid1(VALU_DEP_4)
	v_mul_u32_u24_e32 v86, 0x10001, v86
	v_mul_u32_u24_e32 v113, 0x10001, v113
	s_delay_alu instid0(VALU_DEP_4)
	v_mul_u32_u24_e32 v87, 0x10001, v87
	s_wait_dscnt 0x2
	v_and_b32_e32 v173, 0xffff, v92
	v_dual_lshrrev_b32 v174, 16, v92 :: v_dual_lshrrev_b32 v177, 16, v93
	v_and_b32_e32 v175, 0xffff, v93
	s_wait_dscnt 0x1
	v_pk_fma_f16 v99, v4, v114, v99
	v_pk_fma_f16 v100, v4, v86, v100
	;; [unrolled: 1-line block ×8, first 2 shown]
	s_wait_dscnt 0x0
	v_pk_fma_f16 v120, v94, v114, v120
	v_pk_fma_f16 v81, v95, v114, v81
	;; [unrolled: 1-line block ×12, first 2 shown]
	v_and_b32_e32 v82, 0xffff, v88
	v_lshrrev_b32_e32 v83, 16, v88
	v_pk_fma_f16 v101, v4, v113, v101
	v_pk_fma_f16 v107, v4, v87, v107
	;; [unrolled: 1-line block ×8, first 2 shown]
	ds_load_2addr_b64 v[4:7], v12 offset0:128 offset1:160
	v_pk_fma_f16 v98, v96, v113, v98
	v_pk_fma_f16 v113, v97, v113, v122
	;; [unrolled: 1-line block ×3, first 2 shown]
	v_and_b32_e32 v96, 0xffff, v89
	v_lshrrev_b32_e32 v89, 16, v89
	v_mul_u32_u24_e32 v122, 0x10001, v82
	v_mul_u32_u24_e32 v124, 0x10001, v83
	ds_load_2addr_b64 v[82:85], v12 offset0:192 offset1:224
	v_mul_u32_u24_e32 v96, 0x10001, v96
	v_mul_u32_u24_e32 v125, 0x10001, v89
	v_pk_fma_f16 v97, v97, v87, v123
	v_lshrrev_b32_e32 v87, 16, v90
	v_add_nc_u64_e32 v[126:127], s[26:27], v[44:45]
	s_wait_dscnt 0x1
	v_pk_fma_f16 v99, v4, v122, v99
	v_pk_fma_f16 v115, v5, v122, v115
	;; [unrolled: 1-line block ×8, first 2 shown]
	s_wait_dscnt 0x0
	v_pk_fma_f16 v120, v82, v122, v120
	v_pk_fma_f16 v81, v83, v122, v81
	;; [unrolled: 1-line block ×5, first 2 shown]
	v_and_b32_e32 v86, 0xffff, v90
	v_pk_fma_f16 v114, v82, v124, v114
	v_pk_fma_f16 v106, v83, v124, v106
	;; [unrolled: 1-line block ×8, first 2 shown]
	v_and_b32_e32 v90, 0xffff, v91
	v_lshrrev_b32_e32 v91, 16, v91
	v_mul_u32_u24_e32 v94, 0x10001, v86
	v_mul_u32_u24_e32 v95, 0x10001, v87
	ds_load_2addr_b64 v[86:89], v13 offset0:64 offset1:96
	v_pk_fma_f16 v102, v5, v96, v102
	v_pk_fma_f16 v116, v5, v125, v116
	;; [unrolled: 1-line block ×8, first 2 shown]
	ds_load_2addr_b64 v[4:7], v13 offset1:32
	v_pk_fma_f16 v17, v85, v124, v17
	v_pk_fma_f16 v96, v85, v96, v113
	v_mul_u32_u24_e32 v90, 0x10001, v90
	v_mul_u32_u24_e32 v91, 0x10001, v91
	v_pk_fma_f16 v97, v85, v125, v97
	v_add_nc_u64_e32 v[142:143], v[126:127], v[30:31]
	s_wait_dscnt 0x1
	v_pk_fma_f16 v162, v89, v94, v16
	v_pk_fma_f16 v166, v89, v95, v17
	v_add_nc_u64_e32 v[16:17], s[26:27], v[42:43]
	v_pk_fma_f16 v160, v86, v94, v120
	v_pk_fma_f16 v81, v87, v94, v81
	;; [unrolled: 1-line block ×6, first 2 shown]
	v_add_nc_u64_e32 v[16:17], v[16:17], v[30:31]
	s_wait_dscnt 0x0
	v_pk_fma_f16 v144, v4, v94, v99
	v_pk_fma_f16 v145, v4, v95, v100
	;; [unrolled: 1-line block ×16, first 2 shown]
	ds_load_2addr_b64 v[4:7], v13 offset0:128 offset1:160
	v_pk_fma_f16 v167, v86, v90, v122
	v_pk_fma_f16 v168, v87, v90, v112
	v_pk_fma_f16 v169, v88, v90, v98
	v_pk_fma_f16 v170, v89, v90, v96
	v_pk_fma_f16 v171, v86, v91, v82
	v_pk_fma_f16 v172, v87, v91, v83
	v_pk_fma_f16 v176, v88, v91, v84
	ds_load_2addr_b64 v[82:85], v13 offset0:192 offset1:224
	v_pk_fma_f16 v178, v89, v91, v97
	ds_load_2addr_b64 v[86:89], v14 offset1:32
	ds_load_2addr_b64 v[90:93], v14 offset0:64 offset1:96
	ds_load_b128 v[94:97], v69 offset:864
	ds_load_b128 v[98:101], v69 offset:880
	ds_load_2addr_b64 v[102:105], v14 offset0:128 offset1:160
	ds_load_2addr_b64 v[106:109], v14 offset0:192 offset1:224
	ds_load_2addr_b64 v[110:113], v15 offset1:32
	ds_load_2addr_b64 v[114:117], v15 offset0:64 offset1:96
	ds_load_2addr_b64 v[118:121], v15 offset0:128 offset1:160
	;; [unrolled: 1-line block ×3, first 2 shown]
	s_wait_dscnt 0x0
	s_barrier_signal -1
	s_barrier_wait -1
	s_clause 0x3
	global_load_b128 v[126:129], v[16:17], off
	global_load_b128 v[130:133], v[16:17], off offset:512
	global_load_b128 v[134:137], v[142:143], off
	global_load_b128 v[138:141], v[142:143], off offset:512
	s_wait_xcnt 0x2
	v_mul_u32_u24_e32 v16, 0x10001, v173
	v_mul_u32_u24_e32 v17, 0x10001, v174
	;; [unrolled: 1-line block ×3, first 2 shown]
	s_wait_xcnt 0x0
	v_mul_u32_u24_e32 v142, 0x10001, v177
	s_wait_loadcnt 0x3
	ds_store_b128 v70, v[126:129]
	s_wait_loadcnt 0x2
	ds_store_b128 v71, v[130:133]
	;; [unrolled: 2-line block ×4, first 2 shown]
	v_pk_fma_f16 v143, v4, v16, v144
	v_pk_fma_f16 v144, v4, v17, v145
	;; [unrolled: 1-line block ×14, first 2 shown]
	v_and_b32_e32 v163, 0xffff, v94
	v_lshrrev_b32_e32 v94, 16, v94
	v_and_b32_e32 v164, 0xffff, v95
	v_lshrrev_b32_e32 v95, 16, v95
	v_pk_fma_f16 v149, v6, v16, v152
	v_pk_fma_f16 v6, v6, v142, v155
	;; [unrolled: 1-line block ×13, first 2 shown]
	v_mul_u32_u24_e32 v163, 0x10001, v163
	v_mul_u32_u24_e32 v94, 0x10001, v94
	;; [unrolled: 1-line block ×4, first 2 shown]
	v_pk_fma_f16 v16, v85, v16, v162
	v_pk_fma_f16 v162, v84, v30, v169
	;; [unrolled: 1-line block ×31, first 2 shown]
	v_and_b32_e32 v90, 0xffff, v96
	v_lshrrev_b32_e32 v91, 16, v96
	v_and_b32_e32 v96, 0xffff, v97
	v_lshrrev_b32_e32 v97, 16, v97
	v_pk_fma_f16 v151, v92, v163, v156
	v_pk_fma_f16 v16, v93, v163, v16
	;; [unrolled: 1-line block ×5, first 2 shown]
	v_mul_u32_u24_e32 v90, 0x10001, v90
	v_mul_u32_u24_e32 v91, 0x10001, v91
	;; [unrolled: 1-line block ×4, first 2 shown]
	v_pk_fma_f16 v85, v93, v95, v85
	v_pk_fma_f16 v93, v102, v90, v142
	;; [unrolled: 1-line block ×30, first 2 shown]
	v_and_b32_e32 v92, 0xffff, v98
	v_lshrrev_b32_e32 v98, 16, v98
	v_and_b32_e32 v106, 0xffff, v99
	v_lshrrev_b32_e32 v99, 16, v99
	v_pk_fma_f16 v83, v107, v96, v83
	v_mul_u32_u24_e32 v92, 0x10001, v92
	v_mul_u32_u24_e32 v98, 0x10001, v98
	;; [unrolled: 1-line block ×4, first 2 shown]
	v_pk_fma_f16 v84, v108, v96, v84
	v_pk_fma_f16 v85, v109, v96, v85
	;; [unrolled: 1-line block ×31, first 2 shown]
	v_and_b32_e32 v7, 0xffff, v100
	v_dual_lshrrev_b32 v82, 16, v100 :: v_dual_lshrrev_b32 v100, 16, v101
	v_and_b32_e32 v83, 0xffff, v101
	v_pk_fma_f16 v6, v112, v99, v6
	v_pk_fma_f16 v101, v116, v99, v84
	v_mul_u32_u24_e32 v84, 0x10001, v7
	v_mul_u32_u24_e32 v112, 0x10001, v82
	;; [unrolled: 1-line block ×4, first 2 shown]
	v_pk_fma_f16 v99, v117, v99, v85
	v_pk_fma_f16 v116, v119, v84, v86
	;; [unrolled: 1-line block ×7, first 2 shown]
	s_wait_dscnt 0x0
	s_barrier_signal -1
	s_barrier_wait -1
	ds_load_b128 v[4:7], v69 offset:896
	v_pk_fma_f16 v114, v118, v84, v93
	v_pk_fma_f16 v95, v118, v112, v95
	;; [unrolled: 1-line block ×12, first 2 shown]
	ds_load_b128 v[86:89], v69 offset:912
	v_pk_fma_f16 v81, v123, v84, v81
	v_pk_fma_f16 v105, v124, v84, v105
	;; [unrolled: 1-line block ×5, first 2 shown]
	ds_load_2addr_b64 v[82:85], v80 offset1:32
	s_wait_dscnt 0x2
	v_and_b32_e32 v90, 0xffff, v4
	v_pk_fma_f16 v17, v125, v112, v17
	v_pk_fma_f16 v112, v122, v113, v91
	;; [unrolled: 1-line block ×4, first 2 shown]
	v_mul_u32_u24_e32 v122, 0x10001, v90
	ds_load_2addr_b64 v[90:93], v80 offset0:64 offset1:96
	v_pk_fma_f16 v98, v124, v113, v98
	v_pk_fma_f16 v30, v125, v113, v30
	v_lshrrev_b32_e32 v4, 16, v4
	v_and_b32_e32 v113, 0xffff, v5
	v_lshrrev_b32_e32 v5, 16, v5
	v_pk_fma_f16 v111, v123, v100, v111
	v_pk_fma_f16 v101, v124, v100, v101
	v_mul_u32_u24_e32 v4, 0x10001, v4
	v_mul_u32_u24_e32 v113, 0x10001, v113
	;; [unrolled: 1-line block ×3, first 2 shown]
	v_pk_fma_f16 v99, v125, v100, v99
	v_lshrrev_b32_e32 v5, 16, v6
	s_wait_dscnt 0x1
	v_pk_fma_f16 v100, v82, v122, v114
	v_pk_fma_f16 v95, v82, v4, v95
	;; [unrolled: 1-line block ×11, first 2 shown]
	s_wait_dscnt 0x0
	v_pk_fma_f16 v120, v90, v122, v121
	v_pk_fma_f16 v81, v91, v122, v81
	v_pk_fma_f16 v105, v92, v122, v105
	v_pk_fma_f16 v16, v93, v122, v16
	v_pk_fma_f16 v121, v90, v4, v126
	v_pk_fma_f16 v122, v91, v4, v127
	v_pk_fma_f16 v110, v92, v4, v110
	v_pk_fma_f16 v17, v93, v4, v17
	v_and_b32_e32 v4, 0xffff, v6
	v_pk_fma_f16 v96, v82, v113, v96
	v_pk_fma_f16 v102, v83, v113, v102
	;; [unrolled: 1-line block ×5, first 2 shown]
	ds_load_2addr_b64 v[82:85], v80 offset0:128 offset1:160
	v_pk_fma_f16 v112, v90, v113, v112
	v_pk_fma_f16 v94, v91, v113, v94
	;; [unrolled: 1-line block ×7, first 2 shown]
	v_and_b32_e32 v101, 0xffff, v7
	v_lshrrev_b32_e32 v106, 16, v7
	v_mul_u32_u24_e32 v111, 0x10001, v4
	v_mul_u32_u24_e32 v113, 0x10001, v5
	ds_load_2addr_b64 v[4:7], v80 offset0:192 offset1:224
	v_mul_u32_u24_e32 v101, 0x10001, v101
	v_mul_u32_u24_e32 v106, 0x10001, v106
	v_pk_fma_f16 v93, v93, v123, v99
	s_wait_dscnt 0x1
	v_pk_fma_f16 v99, v82, v111, v100
	v_pk_fma_f16 v95, v82, v113, v95
	;; [unrolled: 1-line block ×16, first 2 shown]
	s_wait_dscnt 0x0
	v_pk_fma_f16 v119, v4, v111, v120
	v_pk_fma_f16 v120, v5, v111, v81
	;; [unrolled: 1-line block ×6, first 2 shown]
	ds_load_2addr_b64 v[80:83], v79 offset1:32
	v_pk_fma_f16 v110, v6, v113, v110
	v_pk_fma_f16 v112, v4, v101, v112
	;; [unrolled: 1-line block ×7, first 2 shown]
	v_and_b32_e32 v4, 0xffff, v86
	v_dual_lshrrev_b32 v5, 16, v86 :: v_dual_lshrrev_b32 v101, 16, v87
	v_pk_fma_f16 v92, v6, v106, v92
	v_and_b32_e32 v6, 0xffff, v87
	ds_load_2addr_b64 v[84:87], v79 offset0:64 offset1:96
	v_pk_fma_f16 v17, v7, v113, v17
	v_mul_u32_u24_e32 v4, 0x10001, v4
	v_mul_u32_u24_e32 v113, 0x10001, v5
	;; [unrolled: 1-line block ×4, first 2 shown]
	v_pk_fma_f16 v93, v7, v106, v93
	s_wait_dscnt 0x1
	v_pk_fma_f16 v99, v80, v4, v99
	v_pk_fma_f16 v95, v80, v113, v95
	v_pk_fma_f16 v96, v80, v122, v96
	v_pk_fma_f16 v100, v80, v101, v100
	v_pk_fma_f16 v106, v81, v4, v114
	v_pk_fma_f16 v97, v81, v113, v97
	v_pk_fma_f16 v102, v81, v122, v102
	v_pk_fma_f16 v114, v81, v101, v115
	v_pk_fma_f16 v115, v82, v4, v116
	v_pk_fma_f16 v103, v82, v113, v103
	v_pk_fma_f16 v107, v82, v122, v107
	v_pk_fma_f16 v116, v82, v101, v117
	v_pk_fma_f16 v117, v83, v4, v118
	s_wait_dscnt 0x0
	v_pk_fma_f16 v118, v84, v4, v119
	v_pk_fma_f16 v111, v84, v113, v111
	;; [unrolled: 1-line block ×4, first 2 shown]
	v_and_b32_e32 v80, 0xffff, v88
	v_dual_lshrrev_b32 v81, 16, v88 :: v_dual_lshrrev_b32 v84, 16, v89
	v_and_b32_e32 v82, 0xffff, v89
	v_pk_fma_f16 v104, v83, v113, v104
	v_pk_fma_f16 v108, v83, v122, v108
	;; [unrolled: 1-line block ×7, first 2 shown]
	ds_load_2addr_b64 v[4:7], v79 offset0:128 offset1:160
	v_pk_fma_f16 v110, v86, v113, v110
	v_pk_fma_f16 v17, v87, v113, v17
	;; [unrolled: 1-line block ×7, first 2 shown]
	v_mul_u32_u24_e32 v89, 0x10001, v80
	v_mul_u32_u24_e32 v92, 0x10001, v81
	;; [unrolled: 1-line block ×3, first 2 shown]
	ds_load_2addr_b64 v[80:83], v79 offset0:192 offset1:224
	v_mul_u32_u24_e32 v79, 0x10001, v84
	v_pk_fma_f16 v101, v87, v101, v93
	ds_load_b128 v[84:87], v69 offset:928
	s_wait_dscnt 0x2
	v_pk_fma_f16 v99, v4, v89, v99
	v_pk_fma_f16 v121, v4, v92, v95
	;; [unrolled: 1-line block ×11, first 2 shown]
	s_wait_dscnt 0x1
	v_pk_fma_f16 v118, v80, v89, v118
	v_pk_fma_f16 v119, v81, v89, v119
	;; [unrolled: 1-line block ×14, first 2 shown]
	ds_load_b128 v[88:91], v69 offset:944
	s_wait_dscnt 0x1
	v_and_b32_e32 v92, 0xffff, v84
	v_pk_fma_f16 v114, v5, v79, v114
	v_pk_fma_f16 v107, v6, v113, v107
	;; [unrolled: 1-line block ×5, first 2 shown]
	ds_load_2addr_b64 v[4:7], v10 offset1:32
	v_mul_u32_u24_e32 v123, 0x10001, v92
	ds_load_2addr_b64 v[92:95], v10 offset0:64 offset1:96
	v_lshrrev_b32_e32 v84, 16, v84
	v_pk_fma_f16 v30, v83, v113, v30
	v_and_b32_e32 v113, 0xffff, v85
	v_lshrrev_b32_e32 v85, 16, v85
	v_pk_fma_f16 v79, v83, v79, v101
	v_mul_u32_u24_e32 v84, 0x10001, v84
	s_delay_alu instid0(VALU_DEP_4) | instskip(NEXT) | instid1(VALU_DEP_4)
	v_mul_u32_u24_e32 v113, 0x10001, v113
	v_mul_u32_u24_e32 v85, 0x10001, v85
	s_wait_dscnt 0x1
	s_delay_alu instid0(VALU_DEP_3)
	v_pk_fma_f16 v101, v4, v84, v121
	v_pk_fma_f16 v97, v5, v84, v97
	;; [unrolled: 1-line block ×4, first 2 shown]
	s_wait_dscnt 0x0
	v_pk_fma_f16 v118, v92, v123, v118
	v_pk_fma_f16 v119, v93, v123, v119
	;; [unrolled: 1-line block ×10, first 2 shown]
	v_and_b32_e32 v80, 0xffff, v86
	v_lshrrev_b32_e32 v81, 16, v86
	v_pk_fma_f16 v99, v4, v123, v99
	v_pk_fma_f16 v96, v4, v113, v96
	v_pk_fma_f16 v100, v4, v85, v100
	v_pk_fma_f16 v106, v5, v123, v106
	v_pk_fma_f16 v102, v5, v113, v102
	v_pk_fma_f16 v114, v5, v85, v114
	v_pk_fma_f16 v115, v6, v123, v115
	v_pk_fma_f16 v107, v6, v113, v107
	v_pk_fma_f16 v116, v6, v85, v116
	v_pk_fma_f16 v117, v7, v123, v117
	v_pk_fma_f16 v108, v7, v113, v108
	v_pk_fma_f16 v109, v7, v85, v109
	v_pk_fma_f16 v105, v94, v123, v105
	ds_load_2addr_b64 v[4:7], v10 offset0:128 offset1:160
	v_pk_fma_f16 v98, v94, v113, v98
	v_pk_fma_f16 v30, v95, v113, v30
	;; [unrolled: 1-line block ×3, first 2 shown]
	v_and_b32_e32 v94, 0xffff, v87
	v_lshrrev_b32_e32 v87, 16, v87
	v_mul_u32_u24_e32 v113, 0x10001, v80
	v_mul_u32_u24_e32 v121, 0x10001, v81
	ds_load_2addr_b64 v[80:83], v10 offset0:192 offset1:224
	v_mul_u32_u24_e32 v10, 0x10001, v94
	v_mul_u32_u24_e32 v94, 0x10001, v87
	v_pk_fma_f16 v16, v95, v123, v16
	v_pk_fma_f16 v79, v95, v85, v79
	s_wait_dscnt 0x1
	v_pk_fma_f16 v95, v4, v113, v99
	v_pk_fma_f16 v99, v4, v121, v101
	;; [unrolled: 1-line block ×8, first 2 shown]
	s_wait_dscnt 0x0
	v_pk_fma_f16 v117, v80, v113, v118
	v_pk_fma_f16 v118, v81, v113, v119
	;; [unrolled: 1-line block ×3, first 2 shown]
	v_lshrrev_b32_e32 v84, 16, v88
	v_pk_fma_f16 v100, v4, v94, v100
	v_pk_fma_f16 v97, v5, v121, v97
	;; [unrolled: 1-line block ×12, first 2 shown]
	ds_load_2addr_b64 v[4:7], v11 offset1:32
	v_pk_fma_f16 v110, v82, v121, v110
	v_pk_fma_f16 v112, v81, v10, v112
	;; [unrolled: 1-line block ×6, first 2 shown]
	v_and_b32_e32 v81, 0xffff, v88
	v_pk_fma_f16 v82, v82, v94, v86
	v_and_b32_e32 v88, 0xffff, v89
	v_lshrrev_b32_e32 v89, 16, v89
	v_mul_u32_u24_e32 v92, 0x10001, v84
	ds_load_2addr_b64 v[84:87], v11 offset0:64 offset1:96
	v_pk_fma_f16 v17, v83, v121, v17
	v_mul_u32_u24_e32 v81, 0x10001, v81
	v_mul_u32_u24_e32 v88, 0x10001, v88
	;; [unrolled: 1-line block ×3, first 2 shown]
	v_pk_fma_f16 v79, v83, v94, v79
	v_and_b32_e32 v83, 0xffff, v91
	s_wait_dscnt 0x1
	v_pk_fma_f16 v93, v4, v81, v95
	v_pk_fma_f16 v94, v4, v92, v99
	;; [unrolled: 1-line block ×15, first 2 shown]
	s_wait_dscnt 0x0
	v_pk_fma_f16 v115, v84, v81, v117
	v_pk_fma_f16 v116, v85, v81, v118
	;; [unrolled: 1-line block ×14, first 2 shown]
	v_and_b32_e32 v80, 0xffff, v90
	v_dual_lshrrev_b32 v81, 16, v90 :: v_dual_lshrrev_b32 v84, 16, v91
	v_pk_fma_f16 v109, v7, v89, v109
	ds_load_2addr_b64 v[4:7], v11 offset0:128 offset1:160
	v_pk_fma_f16 v90, v86, v89, v82
	v_mul_u32_u24_e32 v91, 0x10001, v80
	v_mul_u32_u24_e32 v117, 0x10001, v81
	;; [unrolled: 1-line block ×3, first 2 shown]
	ds_load_2addr_b64 v[80:83], v11 offset0:192 offset1:224
	v_mul_u32_u24_e32 v11, 0x10001, v84
	v_pk_fma_f16 v79, v87, v89, v79
	ds_load_b128 v[84:87], v69 offset:960
	s_wait_dscnt 0x2
	v_pk_fma_f16 v119, v4, v91, v93
	v_pk_fma_f16 v99, v5, v91, v99
	;; [unrolled: 1-line block ×5, first 2 shown]
	s_wait_dscnt 0x1
	v_pk_fma_f16 v115, v80, v91, v115
	v_pk_fma_f16 v111, v80, v117, v111
	;; [unrolled: 1-line block ×13, first 2 shown]
	ds_load_b128 v[88:91], v69 offset:976
	s_wait_dscnt 0x1
	v_and_b32_e32 v92, 0xffff, v84
	v_pk_fma_f16 v121, v4, v118, v95
	v_pk_fma_f16 v96, v4, v11, v96
	;; [unrolled: 1-line block ×11, first 2 shown]
	ds_load_2addr_b64 v[4:7], v12 offset1:32
	v_pk_fma_f16 v17, v83, v117, v17
	v_mul_u32_u24_e32 v117, 0x10001, v92
	ds_load_2addr_b64 v[92:95], v12 offset0:64 offset1:96
	v_lshrrev_b32_e32 v84, 16, v84
	v_and_b32_e32 v116, 0xffff, v85
	v_lshrrev_b32_e32 v85, 16, v85
	v_pk_fma_f16 v10, v83, v118, v10
	v_pk_fma_f16 v11, v83, v11, v79
	v_mul_u32_u24_e32 v84, 0x10001, v84
	v_mul_u32_u24_e32 v116, 0x10001, v116
	v_mul_u32_u24_e32 v85, 0x10001, v85
	s_wait_dscnt 0x1
	s_delay_alu instid0(VALU_DEP_3)
	v_pk_fma_f16 v118, v4, v84, v120
	v_pk_fma_f16 v97, v5, v84, v97
	;; [unrolled: 1-line block ×4, first 2 shown]
	s_wait_dscnt 0x0
	v_pk_fma_f16 v115, v92, v117, v115
	v_pk_fma_f16 v120, v93, v117, v80
	;; [unrolled: 1-line block ×9, first 2 shown]
	v_and_b32_e32 v80, 0xffff, v86
	v_lshrrev_b32_e32 v81, 16, v86
	v_pk_fma_f16 v79, v4, v117, v119
	v_pk_fma_f16 v119, v4, v116, v121
	;; [unrolled: 1-line block ×13, first 2 shown]
	ds_load_2addr_b64 v[4:7], v12 offset0:128 offset1:160
	v_pk_fma_f16 v112, v93, v116, v112
	v_pk_fma_f16 v98, v94, v116, v98
	;; [unrolled: 1-line block ×4, first 2 shown]
	v_and_b32_e32 v93, 0xffff, v87
	v_lshrrev_b32_e32 v87, 16, v87
	v_mul_u32_u24_e32 v94, 0x10001, v80
	v_mul_u32_u24_e32 v116, 0x10001, v81
	ds_load_2addr_b64 v[80:83], v12 offset0:192 offset1:224
	v_pk_fma_f16 v16, v95, v117, v16
	v_mul_u32_u24_e32 v12, 0x10001, v93
	v_mul_u32_u24_e32 v93, 0x10001, v87
	v_pk_fma_f16 v11, v95, v85, v11
	s_wait_dscnt 0x1
	v_pk_fma_f16 v79, v4, v94, v79
	v_pk_fma_f16 v95, v4, v116, v118
	;; [unrolled: 1-line block ×16, first 2 shown]
	s_wait_dscnt 0x0
	v_pk_fma_f16 v115, v80, v94, v115
	v_pk_fma_f16 v118, v81, v94, v120
	;; [unrolled: 1-line block ×6, first 2 shown]
	ds_load_2addr_b64 v[4:7], v13 offset1:32
	v_pk_fma_f16 v110, v82, v116, v110
	v_pk_fma_f16 v113, v80, v12, v84
	;; [unrolled: 1-line block ×4, first 2 shown]
	ds_load_2addr_b64 v[84:87], v13 offset0:64 offset1:96
	v_pk_fma_f16 v112, v81, v12, v112
	v_pk_fma_f16 v10, v83, v12, v10
	;; [unrolled: 1-line block ×4, first 2 shown]
	v_and_b32_e32 v80, 0xffff, v88
	v_lshrrev_b32_e32 v81, 16, v88
	v_and_b32_e32 v88, 0xffff, v89
	v_lshrrev_b32_e32 v89, 16, v89
	v_pk_fma_f16 v17, v83, v116, v17
	v_mul_u32_u24_e32 v80, 0x10001, v80
	v_mul_u32_u24_e32 v81, 0x10001, v81
	;; [unrolled: 1-line block ×4, first 2 shown]
	v_pk_fma_f16 v83, v83, v93, v11
	s_wait_dscnt 0x1
	v_pk_fma_f16 v79, v4, v80, v79
	v_pk_fma_f16 v92, v4, v81, v95
	;; [unrolled: 1-line block ×13, first 2 shown]
	s_wait_dscnt 0x0
	v_pk_fma_f16 v114, v84, v80, v115
	v_pk_fma_f16 v115, v85, v80, v118
	;; [unrolled: 1-line block ×10, first 2 shown]
	v_and_b32_e32 v10, 0xffff, v90
	v_dual_lshrrev_b32 v11, 16, v90 :: v_dual_lshrrev_b32 v80, 16, v91
	v_and_b32_e32 v12, 0xffff, v91
	v_pk_fma_f16 v97, v5, v81, v97
	v_pk_fma_f16 v104, v7, v81, v104
	;; [unrolled: 1-line block ×4, first 2 shown]
	ds_load_2addr_b64 v[4:7], v13 offset0:128 offset1:160
	v_pk_fma_f16 v110, v86, v81, v110
	v_pk_fma_f16 v17, v87, v81, v17
	v_pk_fma_f16 v30, v85, v89, v30
	v_pk_fma_f16 v85, v86, v89, v82
	v_mul_u32_u24_e32 v86, 0x10001, v10
	v_mul_u32_u24_e32 v90, 0x10001, v11
	;; [unrolled: 1-line block ×3, first 2 shown]
	ds_load_2addr_b64 v[10:13], v13 offset0:192 offset1:224
	v_mul_u32_u24_e32 v116, 0x10001, v80
	v_pk_fma_f16 v117, v87, v89, v83
	ds_load_b128 v[80:83], v69 offset:992
	s_wait_dscnt 0x2
	v_pk_fma_f16 v79, v4, v86, v79
	v_pk_fma_f16 v96, v5, v86, v96
	;; [unrolled: 1-line block ×8, first 2 shown]
	s_wait_dscnt 0x1
	v_pk_fma_f16 v114, v10, v86, v114
	v_pk_fma_f16 v94, v10, v90, v94
	;; [unrolled: 1-line block ×13, first 2 shown]
	ds_load_b128 v[84:87], v69 offset:1008
	s_wait_dscnt 0x1
	v_and_b32_e32 v89, 0xffff, v80
	v_pk_fma_f16 v99, v5, v91, v99
	v_pk_fma_f16 v100, v5, v116, v100
	;; [unrolled: 1-line block ×8, first 2 shown]
	ds_load_2addr_b64 v[4:7], v14 offset1:32
	v_pk_fma_f16 v17, v13, v90, v17
	v_pk_fma_f16 v98, v13, v91, v88
	v_mul_u32_u24_e32 v119, 0x10001, v89
	ds_load_2addr_b64 v[88:91], v14 offset0:64 offset1:96
	v_lshrrev_b32_e32 v80, 16, v80
	v_and_b32_e32 v118, 0xffff, v81
	v_lshrrev_b32_e32 v81, 16, v81
	v_pk_fma_f16 v116, v13, v116, v117
	s_delay_alu instid0(VALU_DEP_4) | instskip(NEXT) | instid1(VALU_DEP_4)
	v_mul_u32_u24_e32 v80, 0x10001, v80
	v_mul_u32_u24_e32 v118, 0x10001, v118
	s_delay_alu instid0(VALU_DEP_4)
	v_mul_u32_u24_e32 v81, 0x10001, v81
	s_wait_dscnt 0x1
	v_pk_fma_f16 v79, v4, v119, v79
	v_pk_fma_f16 v92, v4, v80, v92
	;; [unrolled: 1-line block ×16, first 2 shown]
	s_wait_dscnt 0x0
	v_pk_fma_f16 v114, v88, v119, v114
	v_pk_fma_f16 v115, v89, v119, v115
	;; [unrolled: 1-line block ×4, first 2 shown]
	ds_load_2addr_b64 v[4:7], v14 offset0:128 offset1:160
	v_pk_fma_f16 v110, v90, v80, v110
	v_pk_fma_f16 v17, v91, v80, v17
	;; [unrolled: 1-line block ×6, first 2 shown]
	v_and_b32_e32 v10, 0xffff, v82
	v_lshrrev_b32_e32 v11, 16, v82
	v_pk_fma_f16 v105, v90, v119, v105
	v_pk_fma_f16 v30, v90, v118, v30
	;; [unrolled: 1-line block ×3, first 2 shown]
	v_and_b32_e32 v90, 0xffff, v83
	v_lshrrev_b32_e32 v83, 16, v83
	v_mul_u32_u24_e32 v113, 0x10001, v10
	v_mul_u32_u24_e32 v117, 0x10001, v11
	ds_load_2addr_b64 v[10:13], v14 offset0:192 offset1:224
	v_mul_u32_u24_e32 v14, 0x10001, v90
	v_mul_u32_u24_e32 v90, 0x10001, v83
	v_pk_fma_f16 v16, v91, v119, v16
	s_wait_dscnt 0x1
	v_pk_fma_f16 v79, v4, v113, v79
	v_pk_fma_f16 v92, v4, v117, v92
	;; [unrolled: 1-line block ×16, first 2 shown]
	ds_load_2addr_b64 v[4:7], v15 offset1:32
	v_pk_fma_f16 v98, v91, v118, v98
	v_pk_fma_f16 v91, v91, v81, v116
	s_wait_dscnt 0x1
	v_pk_fma_f16 v114, v10, v113, v114
	v_pk_fma_f16 v115, v11, v113, v115
	v_pk_fma_f16 v105, v12, v113, v105
	v_pk_fma_f16 v16, v13, v113, v16
	v_pk_fma_f16 v113, v10, v14, v80
	v_and_b32_e32 v80, 0xffff, v84
	v_lshrrev_b32_e32 v81, 16, v84
	v_pk_fma_f16 v94, v10, v117, v94
	v_pk_fma_f16 v10, v10, v90, v88
	;; [unrolled: 1-line block ×9, first 2 shown]
	v_and_b32_e32 v84, 0xffff, v85
	v_lshrrev_b32_e32 v85, 16, v85
	v_mul_u32_u24_e32 v98, 0x10001, v80
	v_mul_u32_u24_e32 v110, 0x10001, v81
	ds_load_2addr_b64 v[80:83], v15 offset0:64 offset1:96
	v_mul_u32_u24_e32 v84, 0x10001, v84
	v_mul_u32_u24_e32 v85, 0x10001, v85
	v_pk_fma_f16 v17, v13, v117, v17
	v_pk_fma_f16 v90, v13, v90, v91
	s_wait_dscnt 0x1
	v_pk_fma_f16 v79, v4, v98, v79
	v_pk_fma_f16 v91, v4, v110, v92
	;; [unrolled: 1-line block ×16, first 2 shown]
	ds_load_2addr_b64 v[4:7], v15 offset0:128 offset1:160
	s_wait_dscnt 0x1
	v_pk_fma_f16 v115, v81, v98, v115
	v_pk_fma_f16 v118, v82, v98, v105
	;; [unrolled: 1-line block ×10, first 2 shown]
	v_and_b32_e32 v81, 0xffff, v86
	v_dual_lshrrev_b32 v82, 16, v86 :: v_dual_lshrrev_b32 v86, 16, v87
	v_and_b32_e32 v84, 0xffff, v87
	v_pk_fma_f16 v114, v80, v98, v114
	v_pk_fma_f16 v94, v80, v110, v94
	;; [unrolled: 1-line block ×3, first 2 shown]
	ds_load_2addr_b64 v[10:13], v15 offset0:192 offset1:224
	s_wait_dscnt 0x0
	s_barrier_signal -1
	s_barrier_wait -1
	s_load_b32 s3, s[24:25], 0x4
	v_mul_u32_u24_e32 v15, 0x10001, v81
	v_mul_u32_u24_e32 v123, 0x10001, v82
	;; [unrolled: 1-line block ×4, first 2 shown]
	v_pk_fma_f16 v16, v83, v98, v16
	v_pk_fma_f16 v17, v83, v110, v17
	;; [unrolled: 1-line block ×19, first 2 shown]
	v_pk_add_f32 v[4:5], v[50:51], v[56:57]
	v_pk_add_f32 v[6:7], v[8:9], v[46:47]
	s_wait_kmcnt 0x0
	s_lshl_b32 s3, s3, 7
	v_pk_fma_f16 v108, v10, v15, v114
	v_pk_fma_f16 v100, v10, v123, v94
	v_pk_add_f32 v[4:5], v[54:55], v[4:5]
	v_pk_add_f32 v[6:7], v[22:23], v[6:7]
	v_pk_fma_f16 v92, v10, v124, v113
	v_pk_fma_f16 v81, v10, v86, v80
	;; [unrolled: 1-line block ×3, first 2 shown]
	v_pk_add_f32 v[4:5], v[48:49], v[4:5]
	v_pk_add_f32 v[6:7], v[20:21], v[6:7]
	v_pk_fma_f16 v101, v11, v123, v119
	v_pk_fma_f16 v93, v11, v124, v111
	;; [unrolled: 1-line block ×11, first 2 shown]
	v_pk_fma_f32 v[26:27], v[26:27], v[52:53], v[4:5]
	v_pk_fma_f32 v[28:29], v[28:29], v[18:19], v[6:7]
	s_add_co_i32 s4, s3, s4
	s_delay_alu instid0(SALU_CYCLE_1)
	s_cmp_ge_i32 s4, s28
	s_cbranch_scc1 .LBB0_23
; %bb.22:                               ;   in Loop: Header=BB0_17 Depth=1
	v_dual_mov_b32 v46, v0 :: v_dual_mov_b32 v49, v1
	v_dual_mov_b32 v48, v2 :: v_dual_mov_b32 v47, v3
	s_branch .LBB0_17
.LBB0_23:
	v_dual_mov_b32 v4, 32 :: v_dual_mov_b32 v5, v62
.LBB0_24:
	s_delay_alu instid0(VALU_DEP_1)
	v_cmp_lt_i32_e32 vcc_lo, v74, v4
	s_cmp_lg_u64 s[12:13], 0
	s_cselect_b32 s3, -1, 0
	s_cmp_eq_u32 s29, 0
	v_cndmask_b32_e32 v6, v5, v74, vcc_lo
	v_cmp_lt_i32_e32 vcc_lo, v75, v4
	s_cselect_b32 s4, -1, 0
	s_delay_alu instid0(SALU_CYCLE_1)
	s_and_b32 s3, s4, s3
	v_cndmask_b32_e32 v10, v5, v75, vcc_lo
	v_cmp_lt_i32_e32 vcc_lo, v76, v4
	v_dual_cndmask_b32 v14, v5, v76 :: v_dual_lshlrev_b32 v9, 2, v6
	ds_bpermute_b32 v6, v9, v28
	ds_bpermute_b32 v7, v9, v29
	;; [unrolled: 1-line block ×4, first 2 shown]
	v_cmp_lt_i32_e32 vcc_lo, v77, v4
	v_lshlrev_b32_e32 v13, 2, v10
	v_lshlrev_b32_e32 v14, 2, v14
	s_wait_dscnt 0x2
	v_pk_add_f32 v[6:7], v[28:29], v[6:7]
	s_wait_dscnt 0x0
	v_pk_add_f32 v[8:9], v[26:27], v[8:9]
	ds_bpermute_b32 v10, v13, v6
	ds_bpermute_b32 v11, v13, v7
	;; [unrolled: 1-line block ×4, first 2 shown]
	s_wait_dscnt 0x2
	v_pk_add_f32 v[6:7], v[6:7], v[10:11]
	s_wait_dscnt 0x0
	v_pk_add_f32 v[8:9], v[8:9], v[12:13]
	ds_bpermute_b32 v10, v14, v6
	ds_bpermute_b32 v11, v14, v7
	;; [unrolled: 1-line block ×4, first 2 shown]
	v_cndmask_b32_e32 v14, v5, v77, vcc_lo
	v_cmp_lt_i32_e32 vcc_lo, v78, v4
	s_delay_alu instid0(VALU_DEP_2)
	v_lshlrev_b32_e32 v14, 2, v14
	v_cndmask_b32_e32 v4, v5, v78, vcc_lo
	s_and_b32 vcc_lo, exec_lo, s3
	s_wait_dscnt 0x2
	v_pk_add_f32 v[6:7], v[6:7], v[10:11]
	s_wait_dscnt 0x0
	v_pk_add_f32 v[8:9], v[8:9], v[12:13]
	ds_bpermute_b32 v10, v14, v6
	ds_bpermute_b32 v11, v14, v7
	;; [unrolled: 1-line block ×4, first 2 shown]
	v_lshlrev_b32_e32 v14, 2, v4
	s_wait_dscnt 0x2
	v_pk_add_f32 v[4:5], v[6:7], v[10:11]
	s_wait_dscnt 0x0
	v_pk_add_f32 v[8:9], v[8:9], v[12:13]
	ds_bpermute_b32 v6, v14, v4
	ds_bpermute_b32 v7, v14, v5
	;; [unrolled: 1-line block ×4, first 2 shown]
	s_wait_dscnt 0x2
	v_pk_add_f32 v[6:7], v[4:5], v[6:7]
	s_wait_dscnt 0x0
	v_pk_add_f32 v[4:5], v[8:9], v[10:11]
	v_add_nc_u32_e32 v8, s33, v24
	s_cbranch_vccz .LBB0_26
; %bb.25:
	s_delay_alu instid0(VALU_DEP_1) | instskip(SKIP_1) | instid1(VALU_DEP_2)
	v_dual_ashrrev_i32 v9, 31, v8 :: v_dual_max_num_f32 v15, v1, v1
	v_dual_max_num_f32 v16, v2, v2 :: v_dual_max_num_f32 v17, v3, v3
	v_lshl_add_u64 v[10:11], v[8:9], 2, s[12:13]
	v_max_num_f32_e32 v9, v0, v0
	global_load_b128 v[10:13], v[10:11], off
	s_wait_loadcnt 0x0
	v_dual_max_num_f32 v14, v10, v10 :: v_dual_max_num_f32 v18, v11, v11
	v_dual_max_num_f32 v19, v12, v12 :: v_dual_max_num_f32 v20, v13, v13
	s_delay_alu instid0(VALU_DEP_2) | instskip(NEXT) | instid1(VALU_DEP_2)
	v_max_num_f32_e32 v14, v9, v14
	v_dual_max_num_f32 v15, v15, v18 :: v_dual_max_num_f32 v16, v16, v19
	s_delay_alu instid0(VALU_DEP_2) | instskip(NEXT) | instid1(VALU_DEP_2)
	v_dual_max_num_f32 v17, v17, v20 :: v_dual_sub_f32 v0, v0, v14
	v_dual_sub_f32 v9, v10, v14 :: v_dual_sub_f32 v1, v1, v15
	s_delay_alu instid0(VALU_DEP_3) | instskip(NEXT) | instid1(VALU_DEP_3)
	v_dual_sub_f32 v10, v11, v15 :: v_dual_sub_f32 v11, v2, v16
	v_dual_sub_f32 v13, v13, v17 :: v_dual_mul_f32 v2, 0x3fb8aa3b, v0
	v_dual_sub_f32 v12, v12, v16 :: v_dual_sub_f32 v18, v3, v17
	s_delay_alu instid0(VALU_DEP_3) | instskip(NEXT) | instid1(VALU_DEP_2)
	v_dual_mul_f32 v3, 0x3fb8aa3b, v9 :: v_dual_mul_f32 v20, 0x3fb8aa3b, v10
	v_dual_mul_f32 v19, 0x3fb8aa3b, v1 :: v_dual_mul_f32 v22, 0x3fb8aa3b, v12
	s_delay_alu instid0(VALU_DEP_4)
	v_fma_f32 v26, 0x3fb8aa3b, v0, -v2
	v_rndne_f32_e32 v27, v2
	v_dual_mul_f32 v21, 0x3fb8aa3b, v11 :: v_dual_mul_f32 v24, 0x3fb8aa3b, v13
	v_mul_f32_e32 v23, 0x3fb8aa3b, v18
	v_fma_f32 v28, 0x3fb8aa3b, v9, -v3
	v_rndne_f32_e32 v29, v3
	v_fma_f32 v30, 0x3fb8aa3b, v1, -v19
	v_rndne_f32_e32 v31, v19
	v_rndne_f32_e32 v33, v20
	s_delay_alu instid0(VALU_DEP_4)
	v_dual_fmac_f32 v26, 0x32a5705f, v0 :: v_dual_sub_f32 v3, v3, v29
	v_sub_f32_e32 v2, v2, v27
	v_fma_f32 v32, 0x3fb8aa3b, v10, -v20
	v_fma_f32 v34, 0x3fb8aa3b, v11, -v21
	v_rndne_f32_e32 v35, v21
	v_fma_f32 v36, 0x3fb8aa3b, v12, -v22
	v_dual_fmac_f32 v28, 0x32a5705f, v9 :: v_dual_sub_f32 v19, v19, v31
	s_delay_alu instid0(VALU_DEP_3) | instskip(SKIP_1) | instid1(VALU_DEP_3)
	v_dual_fmac_f32 v30, 0x32a5705f, v1 :: v_dual_sub_f32 v21, v21, v35
	v_dual_sub_f32 v20, v20, v33 :: v_dual_add_f32 v2, v2, v26
	v_dual_fmac_f32 v34, 0x32a5705f, v11 :: v_dual_add_f32 v3, v3, v28
	s_delay_alu instid0(VALU_DEP_3) | instskip(NEXT) | instid1(VALU_DEP_3)
	v_dual_fmac_f32 v36, 0x32a5705f, v12 :: v_dual_add_f32 v19, v19, v30
	v_exp_f32_e32 v2, v2
	v_cvt_i32_f32_e32 v27, v27
	v_rndne_f32_e32 v37, v22
	v_rndne_f32_e32 v39, v23
	v_fmac_f32_e32 v32, 0x32a5705f, v10
	v_exp_f32_e32 v3, v3
	v_exp_f32_e32 v19, v19
	v_cvt_i32_f32_e32 v29, v29
	v_cvt_i32_f32_e32 v31, v31
	v_ldexp_f32 v2, v2, v27
	v_cmp_ngt_f32_e32 vcc_lo, 0xc2ce8ed0, v0
	v_fma_f32 v38, 0x3fb8aa3b, v18, -v23
	v_fma_f32 v40, 0x3fb8aa3b, v13, -v24
	v_dual_sub_f32 v23, v23, v39 :: v_dual_sub_f32 v22, v22, v37
	v_add_f32_e32 v20, v20, v32
	v_ldexp_f32 v3, v3, v29
	v_ldexp_f32 v19, v19, v31
	v_cndmask_b32_e32 v2, 0, v2, vcc_lo
	v_cmp_ngt_f32_e32 vcc_lo, 0xc2ce8ed0, v9
	v_rndne_f32_e32 v41, v24
	v_dual_fmac_f32 v40, 0x32a5705f, v13 :: v_dual_add_f32 v21, v21, v34
	v_exp_f32_e32 v20, v20
	v_cvt_i32_f32_e32 v33, v33
	v_dual_fmac_f32 v38, 0x32a5705f, v18 :: v_dual_cndmask_b32 v3, 0, v3
	v_cmp_ngt_f32_e32 vcc_lo, 0xc2ce8ed0, v1
	v_dual_sub_f32 v24, v24, v41 :: v_dual_add_f32 v22, v22, v36
	v_exp_f32_e32 v21, v21
	v_cvt_i32_f32_e32 v35, v35
	v_ldexp_f32 v20, v20, v33
	v_cndmask_b32_e32 v19, 0, v19, vcc_lo
	v_cmp_ngt_f32_e32 vcc_lo, 0xc2ce8ed0, v10
	v_dual_add_f32 v23, v23, v38 :: v_dual_add_f32 v24, v24, v40
	v_exp_f32_e32 v22, v22
	v_cvt_i32_f32_e32 v37, v37
	v_ldexp_f32 v21, v21, v35
	v_cndmask_b32_e32 v20, 0, v20, vcc_lo
	v_cmp_ngt_f32_e32 vcc_lo, 0xc2ce8ed0, v11
	v_exp_f32_e32 v23, v23
	v_cvt_i32_f32_e32 v39, v39
	v_ldexp_f32 v22, v22, v37
	v_exp_f32_e32 v24, v24
	v_cndmask_b32_e32 v21, 0, v21, vcc_lo
	v_cmp_ngt_f32_e32 vcc_lo, 0xc2ce8ed0, v12
	v_cvt_i32_f32_e32 v41, v41
	v_ldexp_f32 v23, v23, v39
	v_cndmask_b32_e32 v22, 0, v22, vcc_lo
	v_cmp_ngt_f32_e32 vcc_lo, 0xc2ce8ed0, v18
	s_delay_alu instid0(VALU_DEP_4) | instskip(NEXT) | instid1(VALU_DEP_4)
	v_ldexp_f32 v24, v24, v41
	v_cndmask_b32_e32 v23, 0, v23, vcc_lo
	v_cmp_ngt_f32_e32 vcc_lo, 0xc2ce8ed0, v13
	s_delay_alu instid0(VALU_DEP_3) | instskip(SKIP_3) | instid1(VALU_DEP_2)
	v_cndmask_b32_e32 v24, 0, v24, vcc_lo
	v_cmp_nlt_f32_e32 vcc_lo, 0x42b17218, v0
	v_cndmask_b32_e32 v0, 0x7f800000, v2, vcc_lo
	v_cmp_nlt_f32_e32 vcc_lo, 0x42b17218, v9
	v_cvt_f16_f32_e32 v9, v0
	v_cndmask_b32_e32 v2, 0x7f800000, v3, vcc_lo
	v_cmp_nlt_f32_e32 vcc_lo, 0x42b17218, v1
	s_delay_alu instid0(VALU_DEP_3) | instskip(SKIP_4) | instid1(VALU_DEP_2)
	v_and_b32_e32 v9, 0xffff, v9
	v_cndmask_b32_e32 v1, 0x7f800000, v19, vcc_lo
	v_cmp_nlt_f32_e32 vcc_lo, 0x42b17218, v10
	v_cndmask_b32_e32 v3, 0x7f800000, v20, vcc_lo
	v_cmp_nlt_f32_e32 vcc_lo, 0x42b17218, v11
	v_pk_fma_f32 v[6:7], v[6:7], v[0:1], v[2:3]
	v_cndmask_b32_e32 v10, 0x7f800000, v21, vcc_lo
	v_cmp_nlt_f32_e32 vcc_lo, 0x42b17218, v12
	v_mul_u32_u24_e32 v3, 0x10001, v9
	s_delay_alu instid0(VALU_DEP_3)
	v_cvt_f16_f32_e32 v19, v10
	v_cndmask_b32_e32 v12, 0x7f800000, v22, vcc_lo
	v_cmp_nlt_f32_e32 vcc_lo, 0x42b17218, v18
	v_cvt_f16_f32_e32 v18, v1
	v_pk_mul_f16 v105, v105, v3
	v_and_b32_e32 v1, 0xffff, v19
	v_pk_mul_f16 v109, v109, v3
	v_cndmask_b32_e32 v11, 0x7f800000, v23, vcc_lo
	v_and_b32_e32 v0, 0xffff, v18
	v_cmp_nlt_f32_e32 vcc_lo, 0x42b17218, v13
	v_mul_u32_u24_e32 v1, 0x10001, v1
	v_pk_mul_f16 v107, v107, v3
	v_cvt_f16_f32_e32 v20, v11
	v_mul_u32_u24_e32 v0, 0x10001, v0
	v_cndmask_b32_e32 v13, 0x7f800000, v24, vcc_lo
	v_pk_mul_f16 v106, v106, v3
	v_pk_mul_f16 v108, v108, v3
	v_and_b32_e32 v2, 0xffff, v20
	v_pk_mul_f16 v112, v112, v3
	v_pk_mul_f16 v111, v111, v3
	;; [unrolled: 1-line block ×4, first 2 shown]
	v_mul_u32_u24_e32 v2, 0x10001, v2
	v_pk_mul_f16 v104, v104, v0
	v_pk_mul_f16 v98, v98, v0
	;; [unrolled: 1-line block ×23, first 2 shown]
	v_mov_b64_e32 v[0:1], v[14:15]
	v_mov_b64_e32 v[2:3], v[16:17]
	v_pk_fma_f32 v[4:5], v[4:5], v[10:11], v[12:13]
.LBB0_26:
	s_mov_b32 s3, exec_lo
	v_cmpx_gt_i32_e64 s22, v58
	s_cbranch_execz .LBB0_43
; %bb.27:
	s_load_b32 s0, s[0:1], 0xd4
	v_mov_b32_e32 v10, 1.0
	s_wait_kmcnt 0x0
	s_cmp_lg_u32 s0, 1
	s_cselect_b32 s1, -1, 0
	s_cmp_eq_u32 s0, 1
	s_cselect_b32 s3, -1, 0
	s_and_b32 vcc_lo, exec_lo, s1
	s_cbranch_vccnz .LBB0_29
; %bb.28:
	v_div_scale_f32 v9, null, v6, v6, 1.0
	s_delay_alu instid0(VALU_DEP_1) | instskip(SKIP_1) | instid1(TRANS32_DEP_1)
	v_rcp_f32_e32 v10, v9
	v_nop
	v_fma_f32 v11, -v9, v10, 1.0
	s_delay_alu instid0(VALU_DEP_1) | instskip(SKIP_1) | instid1(VALU_DEP_1)
	v_fmac_f32_e32 v10, v11, v10
	v_div_scale_f32 v11, vcc_lo, 1.0, v6, 1.0
	v_mul_f32_e32 v12, v11, v10
	s_delay_alu instid0(VALU_DEP_1) | instskip(NEXT) | instid1(VALU_DEP_1)
	v_fma_f32 v13, -v9, v12, v11
	v_fmac_f32_e32 v12, v13, v10
	s_delay_alu instid0(VALU_DEP_1) | instskip(NEXT) | instid1(VALU_DEP_1)
	v_fma_f32 v9, -v9, v12, v11
	v_div_fmas_f32 v9, v9, v10, v12
	s_delay_alu instid0(VALU_DEP_1)
	v_div_fixup_f32 v10, v9, v6, 1.0
.LBB0_29:
	v_mad_u32 v9, s2, s22, v58
	v_dual_lshrrev_b32 v23, 16, v112 :: v_dual_lshrrev_b32 v24, 16, v111
	v_cmp_eq_u32_e32 vcc_lo, 0, v25
	v_dual_mov_b32 v25, 0 :: v_dual_lshrrev_b32 v11, 16, v105
	v_dual_lshrrev_b32 v15, 16, v109 :: v_dual_lshrrev_b32 v17, 16, v107
	v_dual_lshrrev_b32 v19, 16, v106 :: v_dual_lshrrev_b32 v21, 16, v108
	v_cvt_f32_f16_e32 v27, v24
	v_mad_u32 v8, v9, s23, v8
	v_dual_lshrrev_b32 v29, 16, v110 :: v_dual_mov_b32 v31, v25
	v_cvt_f32_f16_e32 v12, v105
	v_cvt_f32_f16_e32 v14, v109
	;; [unrolled: 1-line block ×8, first 2 shown]
	v_mad_u32 v9, s0, v8, s29
	v_cvt_f32_f16_e32 v20, v108
	v_cvt_f32_f16_e32 v22, v112
	;; [unrolled: 1-line block ×7, first 2 shown]
	v_pk_mul_f32 v[12:13], v[10:11], v[12:13] op_sel_hi:[0,1]
	v_pk_mul_f32 v[14:15], v[10:11], v[14:15] op_sel_hi:[0,1]
	;; [unrolled: 1-line block ×3, first 2 shown]
	v_lshl_add_u32 v24, v9, 9, v59
	v_mov_b32_e32 v33, v25
	v_pk_mul_f32 v[18:19], v[10:11], v[18:19] op_sel_hi:[0,1]
	v_pk_mul_f32 v[20:21], v[10:11], v[20:21] op_sel_hi:[0,1]
	;; [unrolled: 1-line block ×3, first 2 shown]
	v_add_nc_u32_e32 v30, 0x80, v24
	v_add_nc_u32_e32 v32, 0x100, v24
	v_lshl_add_u64 v[34:35], v[24:25], 2, s[16:17]
	v_add_nc_u32_e32 v24, 0x180, v24
	s_and_b32 s1, vcc_lo, s1
	v_lshl_add_u64 v[30:31], v[30:31], 2, s[16:17]
	v_lshl_add_u64 v[32:33], v[32:33], 2, s[16:17]
	s_delay_alu instid0(VALU_DEP_3)
	v_lshl_add_u64 v[36:37], v[24:25], 2, s[16:17]
	v_pk_mul_f32 v[24:25], v[10:11], v[26:27] op_sel_hi:[0,1]
	v_pk_mul_f32 v[26:27], v[10:11], v[28:29] op_sel_hi:[0,1]
	s_clause 0x3
	global_store_b128 v[34:35], v[12:15], off
	global_store_b128 v[30:31], v[16:19], off
	;; [unrolled: 1-line block ×4, first 2 shown]
	s_wait_xcnt 0x0
	s_and_saveexec_b32 s2, s1
	s_cbranch_execz .LBB0_31
; %bb.30:
	v_dual_mov_b32 v10, v0 :: v_dual_mov_b32 v11, v6
	global_store_b64 v9, v[10:11], s[18:19] scale_offset
.LBB0_31:
	s_wait_xcnt 0x0
	s_or_b32 exec_lo, exec_lo, s2
	v_cndmask_b32_e64 v8, 0, 1, s3
	v_mov_b32_e32 v0, 1.0
	s_and_not1_b32 vcc_lo, exec_lo, s3
	s_cbranch_vccnz .LBB0_33
; %bb.32:
	v_div_scale_f32 v0, null, v7, v7, 1.0
	s_delay_alu instid0(VALU_DEP_1) | instskip(SKIP_1) | instid1(TRANS32_DEP_1)
	v_rcp_f32_e32 v6, v0
	v_nop
	v_fma_f32 v10, -v0, v6, 1.0
	s_delay_alu instid0(VALU_DEP_1) | instskip(SKIP_1) | instid1(VALU_DEP_1)
	v_fmac_f32_e32 v6, v10, v6
	v_div_scale_f32 v10, vcc_lo, 1.0, v7, 1.0
	v_mul_f32_e32 v11, v10, v6
	s_delay_alu instid0(VALU_DEP_1) | instskip(NEXT) | instid1(VALU_DEP_1)
	v_fma_f32 v12, -v0, v11, v10
	v_fmac_f32_e32 v11, v12, v6
	s_delay_alu instid0(VALU_DEP_1) | instskip(NEXT) | instid1(VALU_DEP_1)
	v_fma_f32 v0, -v0, v11, v10
	v_div_fmas_f32 v0, v0, v6, v11
	s_delay_alu instid0(VALU_DEP_1)
	v_div_fixup_f32 v0, v0, v7, 1.0
.LBB0_33:
	v_dual_add_nc_u32 v9, s0, v9 :: v_dual_mov_b32 v23, 0
	v_dual_lshrrev_b32 v6, 16, v97 :: v_dual_lshrrev_b32 v13, 16, v104
	v_cvt_f32_f16_e32 v10, v97
	s_delay_alu instid0(VALU_DEP_3) | instskip(SKIP_1) | instid1(VALU_DEP_4)
	v_lshl_add_u32 v22, v9, 9, v59
	v_lshrrev_b32_e32 v16, 16, v99
	v_cvt_f32_f16_e32 v11, v6
	v_lshrrev_b32_e32 v6, 16, v98
	v_cvt_f32_f16_e32 v12, v104
	v_dual_mov_b32 v15, v23 :: v_dual_add_nc_u32 v14, 0x80, v22
	v_dual_mov_b32 v19, v23 :: v_dual_add_nc_u32 v18, 0x100, v22
	v_cvt_f32_f16_e32 v13, v13
	v_lshrrev_b32_e32 v20, 16, v101
	s_delay_alu instid0(VALU_DEP_4)
	v_lshl_add_u64 v[28:29], v[14:15], 2, s[16:17]
	v_cvt_f32_f16_e32 v15, v6
	v_lshrrev_b32_e32 v6, 16, v100
	v_lshl_add_u64 v[30:31], v[18:19], 2, s[16:17]
	v_lshrrev_b32_e32 v32, 16, v103
	v_cvt_f32_f16_e32 v14, v98
	v_cvt_f32_f16_e32 v17, v16
	v_cvt_f32_f16_e32 v19, v6
	v_lshrrev_b32_e32 v6, 16, v102
	v_cvt_f32_f16_e32 v16, v99
	v_cvt_f32_f16_e32 v18, v100
	;; [unrolled: 1-line block ×4, first 2 shown]
	v_lshl_add_u64 v[26:27], v[22:23], 2, s[16:17]
	v_add_nc_u32_e32 v22, 0x180, v22
	v_cvt_f32_f16_e32 v25, v6
	v_cvt_f32_f16_e32 v24, v102
	;; [unrolled: 1-line block ×4, first 2 shown]
	v_pk_mul_f32 v[10:11], v[0:1], v[10:11] op_sel_hi:[0,1]
	v_pk_mul_f32 v[12:13], v[0:1], v[12:13] op_sel_hi:[0,1]
	v_pk_mul_f32 v[14:15], v[0:1], v[14:15] op_sel_hi:[0,1]
	v_pk_mul_f32 v[16:17], v[0:1], v[16:17] op_sel_hi:[0,1]
	v_pk_mul_f32 v[18:19], v[0:1], v[18:19] op_sel_hi:[0,1]
	v_pk_mul_f32 v[20:21], v[0:1], v[20:21] op_sel_hi:[0,1]
	v_lshl_add_u64 v[34:35], v[22:23], 2, s[16:17]
	v_pk_mul_f32 v[22:23], v[0:1], v[24:25] op_sel_hi:[0,1]
	v_pk_mul_f32 v[24:25], v[0:1], v[32:33] op_sel_hi:[0,1]
	s_clause 0x3
	global_store_b128 v[26:27], v[10:13], off
	global_store_b128 v[28:29], v[14:17], off
	;; [unrolled: 1-line block ×4, first 2 shown]
	s_wait_xcnt 0x0
	s_and_saveexec_b32 s2, s1
	s_cbranch_execz .LBB0_35
; %bb.34:
	v_mov_b32_e32 v6, v1
	global_store_b64 v9, v[6:7], s[18:19] scale_offset
.LBB0_35:
	s_wait_xcnt 0x0
	s_or_b32 exec_lo, exec_lo, s2
	v_cmp_ne_u32_e32 vcc_lo, 1, v8
	v_mov_b32_e32 v0, 1.0
	s_cbranch_vccnz .LBB0_37
; %bb.36:
	v_div_scale_f32 v0, null, v4, v4, 1.0
	s_delay_alu instid0(VALU_DEP_1) | instskip(SKIP_1) | instid1(TRANS32_DEP_1)
	v_rcp_f32_e32 v1, v0
	v_nop
	v_fma_f32 v6, -v0, v1, 1.0
	s_delay_alu instid0(VALU_DEP_1) | instskip(SKIP_1) | instid1(VALU_DEP_1)
	v_fmac_f32_e32 v1, v6, v1
	v_div_scale_f32 v6, vcc_lo, 1.0, v4, 1.0
	v_mul_f32_e32 v7, v6, v1
	s_delay_alu instid0(VALU_DEP_1) | instskip(NEXT) | instid1(VALU_DEP_1)
	v_fma_f32 v10, -v0, v7, v6
	v_fmac_f32_e32 v7, v10, v1
	s_delay_alu instid0(VALU_DEP_1) | instskip(NEXT) | instid1(VALU_DEP_1)
	v_fma_f32 v0, -v0, v7, v6
	v_div_fmas_f32 v0, v0, v1, v7
	s_delay_alu instid0(VALU_DEP_1)
	v_div_fixup_f32 v0, v0, v4, 1.0
.LBB0_37:
	v_dual_add_nc_u32 v1, s0, v9 :: v_dual_mov_b32 v7, 0
	v_dual_lshrrev_b32 v9, 16, v89 :: v_dual_lshrrev_b32 v13, 16, v96
	v_cvt_f32_f16_e32 v10, v89
	s_delay_alu instid0(VALU_DEP_3) | instskip(SKIP_1) | instid1(VALU_DEP_4)
	v_lshl_add_u32 v6, v1, 9, v59
	v_lshrrev_b32_e32 v16, 16, v91
	v_cvt_f32_f16_e32 v11, v9
	v_lshrrev_b32_e32 v9, 16, v90
	v_cvt_f32_f16_e32 v12, v96
	v_dual_mov_b32 v15, v7 :: v_dual_add_nc_u32 v14, 0x80, v6
	v_dual_mov_b32 v19, v7 :: v_dual_add_nc_u32 v18, 0x100, v6
	v_cvt_f32_f16_e32 v13, v13
	v_lshrrev_b32_e32 v20, 16, v93
	s_delay_alu instid0(VALU_DEP_4)
	v_lshl_add_u64 v[28:29], v[14:15], 2, s[16:17]
	v_cvt_f32_f16_e32 v15, v9
	v_lshrrev_b32_e32 v9, 16, v92
	v_lshl_add_u64 v[30:31], v[18:19], 2, s[16:17]
	v_lshrrev_b32_e32 v24, 16, v95
	v_cvt_f32_f16_e32 v14, v90
	v_cvt_f32_f16_e32 v17, v16
	;; [unrolled: 1-line block ×3, first 2 shown]
	v_lshrrev_b32_e32 v9, 16, v94
	v_cvt_f32_f16_e32 v16, v91
	v_cvt_f32_f16_e32 v18, v92
	;; [unrolled: 1-line block ×4, first 2 shown]
	v_lshl_add_u64 v[26:27], v[6:7], 2, s[16:17]
	v_add_nc_u32_e32 v6, 0x180, v6
	v_cvt_f32_f16_e32 v23, v9
	v_cvt_f32_f16_e32 v22, v94
	;; [unrolled: 1-line block ×4, first 2 shown]
	v_pk_mul_f32 v[10:11], v[0:1], v[10:11] op_sel_hi:[0,1]
	v_pk_mul_f32 v[12:13], v[0:1], v[12:13] op_sel_hi:[0,1]
	v_pk_mul_f32 v[14:15], v[0:1], v[14:15] op_sel_hi:[0,1]
	v_pk_mul_f32 v[16:17], v[0:1], v[16:17] op_sel_hi:[0,1]
	v_pk_mul_f32 v[18:19], v[0:1], v[18:19] op_sel_hi:[0,1]
	v_pk_mul_f32 v[20:21], v[0:1], v[20:21] op_sel_hi:[0,1]
	v_lshl_add_u64 v[6:7], v[6:7], 2, s[16:17]
	v_pk_mul_f32 v[22:23], v[0:1], v[22:23] op_sel_hi:[0,1]
	v_pk_mul_f32 v[24:25], v[0:1], v[24:25] op_sel_hi:[0,1]
	s_clause 0x3
	global_store_b128 v[26:27], v[10:13], off
	global_store_b128 v[28:29], v[14:17], off
	;; [unrolled: 1-line block ×4, first 2 shown]
	s_wait_xcnt 0x0
	s_and_saveexec_b32 s2, s1
	s_cbranch_execz .LBB0_39
; %bb.38:
	v_dual_mov_b32 v6, v2 :: v_dual_mov_b32 v7, v4
	global_store_b64 v1, v[6:7], s[18:19] scale_offset
.LBB0_39:
	s_wait_xcnt 0x0
	s_or_b32 exec_lo, exec_lo, s2
	v_cmp_ne_u32_e32 vcc_lo, 1, v8
	v_mov_b32_e32 v0, 1.0
	s_cbranch_vccnz .LBB0_41
; %bb.40:
	v_div_scale_f32 v0, null, v5, v5, 1.0
	s_delay_alu instid0(VALU_DEP_1) | instskip(SKIP_1) | instid1(TRANS32_DEP_1)
	v_rcp_f32_e32 v2, v0
	v_nop
	v_fma_f32 v4, -v0, v2, 1.0
	s_delay_alu instid0(VALU_DEP_1) | instskip(SKIP_1) | instid1(VALU_DEP_1)
	v_fmac_f32_e32 v2, v4, v2
	v_div_scale_f32 v4, vcc_lo, 1.0, v5, 1.0
	v_mul_f32_e32 v6, v4, v2
	s_delay_alu instid0(VALU_DEP_1) | instskip(NEXT) | instid1(VALU_DEP_1)
	v_fma_f32 v7, -v0, v6, v4
	v_fmac_f32_e32 v6, v7, v2
	s_delay_alu instid0(VALU_DEP_1) | instskip(NEXT) | instid1(VALU_DEP_1)
	v_fma_f32 v0, -v0, v6, v4
	v_div_fmas_f32 v0, v0, v2, v6
	s_delay_alu instid0(VALU_DEP_1)
	v_div_fixup_f32 v0, v0, v5, 1.0
.LBB0_41:
	v_dual_add_nc_u32 v1, s0, v1 :: v_dual_mov_b32 v19, 0
	v_dual_lshrrev_b32 v2, 16, v87 :: v_dual_lshrrev_b32 v4, 16, v88
	v_cvt_f32_f16_e32 v6, v87
	s_delay_alu instid0(VALU_DEP_3) | instskip(SKIP_1) | instid1(VALU_DEP_4)
	v_lshl_add_u32 v18, v1, 9, v59
	v_cvt_f32_f16_e32 v8, v88
	v_cvt_f32_f16_e32 v7, v2
	;; [unrolled: 1-line block ×3, first 2 shown]
	v_dual_lshrrev_b32 v2, 16, v82 :: v_dual_lshrrev_b32 v4, 16, v83
	v_dual_mov_b32 v11, v19 :: v_dual_add_nc_u32 v10, 0x80, v18
	v_dual_mov_b32 v15, v19 :: v_dual_add_nc_u32 v14, 0x100, v18
	s_delay_alu instid0(VALU_DEP_3) | instskip(SKIP_1) | instid1(VALU_DEP_4)
	v_cvt_f32_f16_e32 v13, v4
	v_lshrrev_b32_e32 v4, 16, v84
	v_lshl_add_u64 v[24:25], v[10:11], 2, s[16:17]
	v_cvt_f32_f16_e32 v11, v2
	v_lshrrev_b32_e32 v2, 16, v81
	v_lshl_add_u64 v[26:27], v[14:15], 2, s[16:17]
	v_cvt_f32_f16_e32 v17, v4
	v_lshrrev_b32_e32 v4, 16, v86
	v_cvt_f32_f16_e32 v10, v82
	v_cvt_f32_f16_e32 v15, v2
	v_lshrrev_b32_e32 v2, 16, v85
	v_cvt_f32_f16_e32 v12, v83
	v_cvt_f32_f16_e32 v14, v81
	;; [unrolled: 1-line block ×3, first 2 shown]
	v_lshl_add_u64 v[22:23], v[18:19], 2, s[16:17]
	v_add_nc_u32_e32 v18, 0x180, v18
	v_cvt_f32_f16_e32 v21, v2
	v_cvt_f32_f16_e32 v20, v85
	;; [unrolled: 1-line block ×4, first 2 shown]
	v_pk_mul_f32 v[6:7], v[0:1], v[6:7] op_sel_hi:[0,1]
	v_pk_mul_f32 v[8:9], v[0:1], v[8:9] op_sel_hi:[0,1]
	;; [unrolled: 1-line block ×6, first 2 shown]
	v_lshl_add_u64 v[30:31], v[18:19], 2, s[16:17]
	v_pk_mul_f32 v[18:19], v[0:1], v[20:21] op_sel_hi:[0,1]
	v_pk_mul_f32 v[20:21], v[0:1], v[28:29] op_sel_hi:[0,1]
	s_clause 0x3
	global_store_b128 v[22:23], v[6:9], off
	global_store_b128 v[24:25], v[10:13], off
	;; [unrolled: 1-line block ×4, first 2 shown]
	s_wait_xcnt 0x0
	s_and_b32 exec_lo, exec_lo, s1
	s_cbranch_execz .LBB0_43
; %bb.42:
	v_mov_b32_e32 v4, v3
	global_store_b64 v1, v[4:5], s[18:19] scale_offset
.LBB0_43:
	s_sendmsg sendmsg(MSG_DEALLOC_VGPRS)
	s_endpgm
	.section	.rodata,"a",@progbits
	.p2align	6, 0x0
	.amdhsa_kernel _ZL15flash_attn_tileILi576ELi512ELi2ELi16ELb0EEvPKcS1_S1_S1_S1_PKiPfP15HIP_vector_typeIfLj2EEffffjfiS5_IjLj3EEiiiiiiiiiiiliiliiiiil
		.amdhsa_group_segment_fixed_size 63488
		.amdhsa_private_segment_fixed_size 0
		.amdhsa_kernarg_size 464
		.amdhsa_user_sgpr_count 2
		.amdhsa_user_sgpr_dispatch_ptr 0
		.amdhsa_user_sgpr_queue_ptr 0
		.amdhsa_user_sgpr_kernarg_segment_ptr 1
		.amdhsa_user_sgpr_dispatch_id 0
		.amdhsa_user_sgpr_kernarg_preload_length 0
		.amdhsa_user_sgpr_kernarg_preload_offset 0
		.amdhsa_user_sgpr_private_segment_size 0
		.amdhsa_wavefront_size32 1
		.amdhsa_uses_dynamic_stack 0
		.amdhsa_enable_private_segment 0
		.amdhsa_system_sgpr_workgroup_id_x 1
		.amdhsa_system_sgpr_workgroup_id_y 1
		.amdhsa_system_sgpr_workgroup_id_z 1
		.amdhsa_system_sgpr_workgroup_info 0
		.amdhsa_system_vgpr_workitem_id 1
		.amdhsa_next_free_vgpr 179
		.amdhsa_next_free_sgpr 43
		.amdhsa_named_barrier_count 0
		.amdhsa_reserve_vcc 1
		.amdhsa_float_round_mode_32 0
		.amdhsa_float_round_mode_16_64 0
		.amdhsa_float_denorm_mode_32 3
		.amdhsa_float_denorm_mode_16_64 3
		.amdhsa_fp16_overflow 0
		.amdhsa_memory_ordered 1
		.amdhsa_forward_progress 1
		.amdhsa_inst_pref_size 255
		.amdhsa_round_robin_scheduling 0
		.amdhsa_exception_fp_ieee_invalid_op 0
		.amdhsa_exception_fp_denorm_src 0
		.amdhsa_exception_fp_ieee_div_zero 0
		.amdhsa_exception_fp_ieee_overflow 0
		.amdhsa_exception_fp_ieee_underflow 0
		.amdhsa_exception_fp_ieee_inexact 0
		.amdhsa_exception_int_div_zero 0
	.end_amdhsa_kernel
	.section	.text._ZL15flash_attn_tileILi576ELi512ELi2ELi16ELb0EEvPKcS1_S1_S1_S1_PKiPfP15HIP_vector_typeIfLj2EEffffjfiS5_IjLj3EEiiiiiiiiiiiliiliiiiil,"axG",@progbits,_ZL15flash_attn_tileILi576ELi512ELi2ELi16ELb0EEvPKcS1_S1_S1_S1_PKiPfP15HIP_vector_typeIfLj2EEffffjfiS5_IjLj3EEiiiiiiiiiiiliiliiiiil,comdat
.Lfunc_end0:
	.size	_ZL15flash_attn_tileILi576ELi512ELi2ELi16ELb0EEvPKcS1_S1_S1_S1_PKiPfP15HIP_vector_typeIfLj2EEffffjfiS5_IjLj3EEiiiiiiiiiiiliiliiiiil, .Lfunc_end0-_ZL15flash_attn_tileILi576ELi512ELi2ELi16ELb0EEvPKcS1_S1_S1_S1_PKiPfP15HIP_vector_typeIfLj2EEffffjfiS5_IjLj3EEiiiiiiiiiiiliiliiiiil
                                        ; -- End function
	.set _ZL15flash_attn_tileILi576ELi512ELi2ELi16ELb0EEvPKcS1_S1_S1_S1_PKiPfP15HIP_vector_typeIfLj2EEffffjfiS5_IjLj3EEiiiiiiiiiiiliiliiiiil.num_vgpr, 179
	.set _ZL15flash_attn_tileILi576ELi512ELi2ELi16ELb0EEvPKcS1_S1_S1_S1_PKiPfP15HIP_vector_typeIfLj2EEffffjfiS5_IjLj3EEiiiiiiiiiiiliiliiiiil.num_agpr, 0
	.set _ZL15flash_attn_tileILi576ELi512ELi2ELi16ELb0EEvPKcS1_S1_S1_S1_PKiPfP15HIP_vector_typeIfLj2EEffffjfiS5_IjLj3EEiiiiiiiiiiiliiliiiiil.numbered_sgpr, 43
	.set _ZL15flash_attn_tileILi576ELi512ELi2ELi16ELb0EEvPKcS1_S1_S1_S1_PKiPfP15HIP_vector_typeIfLj2EEffffjfiS5_IjLj3EEiiiiiiiiiiiliiliiiiil.num_named_barrier, 0
	.set _ZL15flash_attn_tileILi576ELi512ELi2ELi16ELb0EEvPKcS1_S1_S1_S1_PKiPfP15HIP_vector_typeIfLj2EEffffjfiS5_IjLj3EEiiiiiiiiiiiliiliiiiil.private_seg_size, 0
	.set _ZL15flash_attn_tileILi576ELi512ELi2ELi16ELb0EEvPKcS1_S1_S1_S1_PKiPfP15HIP_vector_typeIfLj2EEffffjfiS5_IjLj3EEiiiiiiiiiiiliiliiiiil.uses_vcc, 1
	.set _ZL15flash_attn_tileILi576ELi512ELi2ELi16ELb0EEvPKcS1_S1_S1_S1_PKiPfP15HIP_vector_typeIfLj2EEffffjfiS5_IjLj3EEiiiiiiiiiiiliiliiiiil.uses_flat_scratch, 0
	.set _ZL15flash_attn_tileILi576ELi512ELi2ELi16ELb0EEvPKcS1_S1_S1_S1_PKiPfP15HIP_vector_typeIfLj2EEffffjfiS5_IjLj3EEiiiiiiiiiiiliiliiiiil.has_dyn_sized_stack, 0
	.set _ZL15flash_attn_tileILi576ELi512ELi2ELi16ELb0EEvPKcS1_S1_S1_S1_PKiPfP15HIP_vector_typeIfLj2EEffffjfiS5_IjLj3EEiiiiiiiiiiiliiliiiiil.has_recursion, 0
	.set _ZL15flash_attn_tileILi576ELi512ELi2ELi16ELb0EEvPKcS1_S1_S1_S1_PKiPfP15HIP_vector_typeIfLj2EEffffjfiS5_IjLj3EEiiiiiiiiiiiliiliiiiil.has_indirect_call, 0
	.section	.AMDGPU.csdata,"",@progbits
; Kernel info:
; codeLenInByte = 58924
; TotalNumSgprs: 45
; NumVgprs: 179
; ScratchSize: 0
; MemoryBound: 0
; FloatMode: 240
; IeeeMode: 1
; LDSByteSize: 63488 bytes/workgroup (compile time only)
; SGPRBlocks: 0
; VGPRBlocks: 11
; NumSGPRsForWavesPerEU: 45
; NumVGPRsForWavesPerEU: 179
; NamedBarCnt: 0
; Occupancy: 5
; WaveLimiterHint : 1
; COMPUTE_PGM_RSRC2:SCRATCH_EN: 0
; COMPUTE_PGM_RSRC2:USER_SGPR: 2
; COMPUTE_PGM_RSRC2:TRAP_HANDLER: 0
; COMPUTE_PGM_RSRC2:TGID_X_EN: 1
; COMPUTE_PGM_RSRC2:TGID_Y_EN: 1
; COMPUTE_PGM_RSRC2:TGID_Z_EN: 1
; COMPUTE_PGM_RSRC2:TIDIG_COMP_CNT: 1
	.section	.text._ZL25flash_attn_mask_to_KV_maxILi2EEvPK7__half2Piiii,"axG",@progbits,_ZL25flash_attn_mask_to_KV_maxILi2EEvPK7__half2Piiii,comdat
	.globl	_ZL25flash_attn_mask_to_KV_maxILi2EEvPK7__half2Piiii ; -- Begin function _ZL25flash_attn_mask_to_KV_maxILi2EEvPK7__half2Piiii
	.p2align	8
	.type	_ZL25flash_attn_mask_to_KV_maxILi2EEvPK7__half2Piiii,@function
_ZL25flash_attn_mask_to_KV_maxILi2EEvPK7__half2Piiii: ; @_ZL25flash_attn_mask_to_KV_maxILi2EEvPK7__half2Piiii
; %bb.0:
	s_load_b128 s[4:7], s[0:1], 0x0
	s_mov_b32 s2, exec_lo
	v_cmpx_gt_u32_e32 32, v0
; %bb.1:
	v_dual_mov_b32 v2, 1 :: v_dual_lshlrev_b32 v1, 2, v0
	ds_store_b32 v1, v2
; %bb.2:
	s_or_b32 exec_lo, exec_lo, s2
	s_clause 0x1
	s_load_b96 s[8:10], s[0:1], 0x10
	s_load_b32 s11, s[0:1], 0x20
	s_wait_xcnt 0x0
	s_bfe_u32 s1, ttmp6, 0x4000c
	s_bfe_u32 s2, ttmp6, 0x40010
	s_add_co_i32 s1, s1, 1
	s_add_co_i32 s2, s2, 1
	s_and_b32 s0, ttmp6, 15
	s_bfe_u32 s3, ttmp6, 0x40004
	s_mul_i32 s1, ttmp9, s1
	s_mul_i32 s2, ttmp7, s2
	s_getreg_b32 s12, hwreg(HW_REG_IB_STS2, 6, 4)
	s_add_co_i32 s0, s0, s1
	s_add_co_i32 s3, s3, s2
	s_cmp_eq_u32 s12, 0
	v_dual_lshrrev_b32 v1, 3, v0 :: v_dual_bitop2_b32 v2, 31, v0 bitop3:0x40
	s_cselect_b32 s1, ttmp9, s0
	s_cselect_b32 s12, ttmp7, s3
	s_wait_dscnt 0x0
	s_barrier_signal -1
	s_wait_kmcnt 0x0
	s_mul_i32 s0, s1, s9
	s_mul_i32 s2, s10, s12
	s_lshl_b32 s0, s0, 1
	s_barrier_wait -1
	s_add_co_i32 s2, s2, s0
	v_cmp_eq_u32_e64 s0, 0, v2
	s_ashr_i32 s3, s2, 31
	v_lshlrev_b32_e32 v2, 2, v2
	s_lshl_b64 s[2:3], s[2:3], 2
	s_delay_alu instid0(SALU_CYCLE_1)
	s_add_nc_u64 s[2:3], s[4:5], s[2:3]
	s_lshl_b32 s5, s8, 8
	s_branch .LBB1_4
.LBB1_3:                                ;   in Loop: Header=BB1_4 Depth=1
	s_or_b32 exec_lo, exec_lo, s8
	s_wait_dscnt 0x0
	s_barrier_signal -1
	s_barrier_wait -1
	ds_load_b32 v3, v2
	s_wait_dscnt 0x0
	s_barrier_signal -1
	s_barrier_wait -1
	v_cmp_ne_u32_e32 vcc_lo, 0, v3
	s_cmp_lg_u32 vcc_lo, exec_lo
	s_cselect_b32 s8, -1, 0
	s_delay_alu instid0(SALU_CYCLE_1)
	s_and_b32 vcc_lo, exec_lo, s8
	s_cbranch_vccnz .LBB1_12
.LBB1_4:                                ; =>This Inner Loop Header: Depth=1
	s_mov_b32 s4, s5
	s_addk_co_i32 s5, 0xff00
	s_delay_alu instid0(SALU_CYCLE_1)
	s_cmp_lt_i32 s5, 0
	s_cbranch_scc1 .LBB1_11
; %bb.5:                                ;   in Loop: Header=BB1_4 Depth=1
	s_lshr_b32 s8, s5, 1
	s_delay_alu instid0(SALU_CYCLE_1) | instskip(SKIP_4) | instid1(VALU_DEP_2)
	v_add_nc_u32_e32 v3, s8, v0
	global_load_b32 v4, v3, s[2:3] scale_offset
	s_wait_loadcnt 0x0
	v_lshrrev_b32_e32 v5, 16, v4
	v_cmp_class_f16_e64 s8, v4, 0x204
	v_cmp_class_f16_e64 s10, v5, 0x204
	s_and_b32 s13, s8, s10
	s_mov_b32 s10, 0
	s_and_saveexec_b32 s8, s13
	s_cbranch_execz .LBB1_9
; %bb.6:                                ;   in Loop: Header=BB1_4 Depth=1
	v_add_nc_u32_e32 v3, s9, v3
	global_load_b32 v3, v3, s[2:3] scale_offset
	s_wait_loadcnt 0x0
	v_cmp_class_f16_e64 s14, v3, 0x204
	s_and_saveexec_b32 s13, s14
; %bb.7:                                ;   in Loop: Header=BB1_4 Depth=1
	v_lshrrev_b32_e32 v3, 16, v3
	s_delay_alu instid0(VALU_DEP_1)
	v_cmp_class_f16_e64 s10, v3, 0x204
	s_and_b32 s10, s10, exec_lo
; %bb.8:                                ;   in Loop: Header=BB1_4 Depth=1
	s_or_b32 exec_lo, exec_lo, s13
	s_delay_alu instid0(SALU_CYCLE_1)
	s_and_b32 s10, s10, exec_lo
.LBB1_9:                                ;   in Loop: Header=BB1_4 Depth=1
	s_or_b32 exec_lo, exec_lo, s8
	v_cndmask_b32_e64 v3, 0, 1, s10
	s_mov_b32 s13, exec_lo
	s_delay_alu instid0(VALU_DEP_1)
	v_cmp_ne_u32_e32 vcc_lo, 0, v3
	s_and_saveexec_b32 s8, s0
	s_cbranch_execz .LBB1_3
; %bb.10:                               ;   in Loop: Header=BB1_4 Depth=1
	s_cmp_eq_u32 vcc_lo, s13
	s_cselect_b32 s10, -1, 0
	s_delay_alu instid0(SALU_CYCLE_1)
	v_cndmask_b32_e64 v3, 0, 1, s10
	ds_store_b32 v1, v3
	s_branch .LBB1_3
.LBB1_11:                               ;   in Loop: Header=BB1_4 Depth=1
	s_cbranch_execz .LBB1_4
.LBB1_12:
	s_mov_b32 s0, exec_lo
	v_cmpx_eq_u32_e32 0, v0
	s_cbranch_execz .LBB1_14
; %bb.13:
	s_mul_i32 s0, s11, s12
	v_mov_b32_e32 v1, s4
	s_add_co_i32 s0, s0, s1
	s_delay_alu instid0(SALU_CYCLE_1)
	v_mov_b32_e32 v0, s0
	global_store_b32 v0, v1, s[6:7] scale_offset
.LBB1_14:
	s_endpgm
	.section	.rodata,"a",@progbits
	.p2align	6, 0x0
	.amdhsa_kernel _ZL25flash_attn_mask_to_KV_maxILi2EEvPK7__half2Piiii
		.amdhsa_group_segment_fixed_size 128
		.amdhsa_private_segment_fixed_size 0
		.amdhsa_kernarg_size 288
		.amdhsa_user_sgpr_count 2
		.amdhsa_user_sgpr_dispatch_ptr 0
		.amdhsa_user_sgpr_queue_ptr 0
		.amdhsa_user_sgpr_kernarg_segment_ptr 1
		.amdhsa_user_sgpr_dispatch_id 0
		.amdhsa_user_sgpr_kernarg_preload_length 0
		.amdhsa_user_sgpr_kernarg_preload_offset 0
		.amdhsa_user_sgpr_private_segment_size 0
		.amdhsa_wavefront_size32 1
		.amdhsa_uses_dynamic_stack 0
		.amdhsa_enable_private_segment 0
		.amdhsa_system_sgpr_workgroup_id_x 1
		.amdhsa_system_sgpr_workgroup_id_y 1
		.amdhsa_system_sgpr_workgroup_id_z 0
		.amdhsa_system_sgpr_workgroup_info 0
		.amdhsa_system_vgpr_workitem_id 0
		.amdhsa_next_free_vgpr 6
		.amdhsa_next_free_sgpr 15
		.amdhsa_named_barrier_count 0
		.amdhsa_reserve_vcc 1
		.amdhsa_float_round_mode_32 0
		.amdhsa_float_round_mode_16_64 0
		.amdhsa_float_denorm_mode_32 3
		.amdhsa_float_denorm_mode_16_64 3
		.amdhsa_fp16_overflow 0
		.amdhsa_memory_ordered 1
		.amdhsa_forward_progress 1
		.amdhsa_inst_pref_size 5
		.amdhsa_round_robin_scheduling 0
		.amdhsa_exception_fp_ieee_invalid_op 0
		.amdhsa_exception_fp_denorm_src 0
		.amdhsa_exception_fp_ieee_div_zero 0
		.amdhsa_exception_fp_ieee_overflow 0
		.amdhsa_exception_fp_ieee_underflow 0
		.amdhsa_exception_fp_ieee_inexact 0
		.amdhsa_exception_int_div_zero 0
	.end_amdhsa_kernel
	.section	.text._ZL25flash_attn_mask_to_KV_maxILi2EEvPK7__half2Piiii,"axG",@progbits,_ZL25flash_attn_mask_to_KV_maxILi2EEvPK7__half2Piiii,comdat
.Lfunc_end1:
	.size	_ZL25flash_attn_mask_to_KV_maxILi2EEvPK7__half2Piiii, .Lfunc_end1-_ZL25flash_attn_mask_to_KV_maxILi2EEvPK7__half2Piiii
                                        ; -- End function
	.set _ZL25flash_attn_mask_to_KV_maxILi2EEvPK7__half2Piiii.num_vgpr, 6
	.set _ZL25flash_attn_mask_to_KV_maxILi2EEvPK7__half2Piiii.num_agpr, 0
	.set _ZL25flash_attn_mask_to_KV_maxILi2EEvPK7__half2Piiii.numbered_sgpr, 15
	.set _ZL25flash_attn_mask_to_KV_maxILi2EEvPK7__half2Piiii.num_named_barrier, 0
	.set _ZL25flash_attn_mask_to_KV_maxILi2EEvPK7__half2Piiii.private_seg_size, 0
	.set _ZL25flash_attn_mask_to_KV_maxILi2EEvPK7__half2Piiii.uses_vcc, 1
	.set _ZL25flash_attn_mask_to_KV_maxILi2EEvPK7__half2Piiii.uses_flat_scratch, 0
	.set _ZL25flash_attn_mask_to_KV_maxILi2EEvPK7__half2Piiii.has_dyn_sized_stack, 0
	.set _ZL25flash_attn_mask_to_KV_maxILi2EEvPK7__half2Piiii.has_recursion, 0
	.set _ZL25flash_attn_mask_to_KV_maxILi2EEvPK7__half2Piiii.has_indirect_call, 0
	.section	.AMDGPU.csdata,"",@progbits
; Kernel info:
; codeLenInByte = 548
; TotalNumSgprs: 17
; NumVgprs: 6
; ScratchSize: 0
; MemoryBound: 0
; FloatMode: 240
; IeeeMode: 1
; LDSByteSize: 128 bytes/workgroup (compile time only)
; SGPRBlocks: 0
; VGPRBlocks: 0
; NumSGPRsForWavesPerEU: 17
; NumVGPRsForWavesPerEU: 6
; NamedBarCnt: 0
; Occupancy: 16
; WaveLimiterHint : 0
; COMPUTE_PGM_RSRC2:SCRATCH_EN: 0
; COMPUTE_PGM_RSRC2:USER_SGPR: 2
; COMPUTE_PGM_RSRC2:TRAP_HANDLER: 0
; COMPUTE_PGM_RSRC2:TGID_X_EN: 1
; COMPUTE_PGM_RSRC2:TGID_Y_EN: 1
; COMPUTE_PGM_RSRC2:TGID_Z_EN: 0
; COMPUTE_PGM_RSRC2:TIDIG_COMP_CNT: 0
	.section	.text._ZL33flash_attn_stream_k_fixup_uniformILi512ELi2ELi16EEvPfPK15HIP_vector_typeIfLj2EEiiiiiiS1_IjLj3EES5_S5_,"axG",@progbits,_ZL33flash_attn_stream_k_fixup_uniformILi512ELi2ELi16EEvPfPK15HIP_vector_typeIfLj2EEiiiiiiS1_IjLj3EES5_S5_,comdat
	.globl	_ZL33flash_attn_stream_k_fixup_uniformILi512ELi2ELi16EEvPfPK15HIP_vector_typeIfLj2EEiiiiiiS1_IjLj3EES5_S5_ ; -- Begin function _ZL33flash_attn_stream_k_fixup_uniformILi512ELi2ELi16EEvPfPK15HIP_vector_typeIfLj2EEiiiiiiS1_IjLj3EES5_S5_
	.p2align	8
	.type	_ZL33flash_attn_stream_k_fixup_uniformILi512ELi2ELi16EEvPfPK15HIP_vector_typeIfLj2EEiiiiiiS1_IjLj3EES5_S5_,@function
_ZL33flash_attn_stream_k_fixup_uniformILi512ELi2ELi16EEvPfPK15HIP_vector_typeIfLj2EEiiiiiiS1_IjLj3EES5_S5_: ; @_ZL33flash_attn_stream_k_fixup_uniformILi512ELi2ELi16EEvPfPK15HIP_vector_typeIfLj2EEiiiiiiS1_IjLj3EES5_S5_
; %bb.0:
	s_load_b256 s[4:11], s[0:1], 0x1c
	s_bfe_u32 s2, ttmp6, 0x40014
	s_lshr_b32 s3, ttmp7, 16
	s_add_co_i32 s2, s2, 1
	s_bfe_u32 s13, ttmp6, 0x40010
	s_mul_i32 s2, s3, s2
	s_bfe_u32 s12, ttmp6, 0x40008
	s_and_b32 s15, ttmp7, 0xffff
	s_add_co_i32 s13, s13, 1
	s_bfe_u32 s14, ttmp6, 0x4000c
	s_add_co_i32 s12, s12, s2
	s_mul_i32 s2, s15, s13
	s_bfe_u32 s13, ttmp6, 0x40004
	s_add_co_i32 s14, s14, 1
	s_add_co_i32 s13, s13, s2
	s_and_b32 s2, ttmp6, 15
	s_mul_i32 s14, ttmp9, s14
	s_getreg_b32 s20, hwreg(HW_REG_IB_STS2, 6, 4)
	s_add_co_i32 s2, s2, s14
	s_load_b128 s[16:19], s[0:1], 0x3c
	s_cmp_eq_u32 s20, 0
	s_cselect_b32 s14, ttmp9, s2
	s_cselect_b32 s13, s15, s13
	s_wait_kmcnt 0x0
	s_mul_hi_u32 s2, s7, s14
	s_cselect_b32 s12, s3, s12
	s_add_co_i32 s2, s14, s2
	s_delay_alu instid0(SALU_CYCLE_1) | instskip(NEXT) | instid1(SALU_CYCLE_1)
	s_lshr_b32 s7, s2, s8
	s_mul_i32 s2, s7, s9
	s_delay_alu instid0(SALU_CYCLE_1) | instskip(NEXT) | instid1(SALU_CYCLE_1)
	s_sub_co_i32 s8, s14, s2
	s_mul_hi_u32 s2, s8, s10
	s_delay_alu instid0(SALU_CYCLE_1) | instskip(SKIP_2) | instid1(SALU_CYCLE_1)
	s_add_co_i32 s9, s8, s2
	s_load_b64 s[2:3], s[0:1], 0x10
	s_lshr_b32 s15, s9, s11
	s_mul_i32 s9, s15, s16
	s_delay_alu instid0(SALU_CYCLE_1) | instskip(NEXT) | instid1(SALU_CYCLE_1)
	s_sub_co_i32 s8, s8, s9
	s_mul_hi_u32 s9, s8, s17
	s_delay_alu instid0(SALU_CYCLE_1) | instskip(NEXT) | instid1(SALU_CYCLE_1)
	s_add_co_i32 s9, s8, s9
	s_lshr_b32 s9, s9, s18
	s_delay_alu instid0(SALU_CYCLE_1) | instskip(SKIP_2) | instid1(SALU_CYCLE_1)
	s_mul_i32 s10, s9, s19
	s_lshl_b32 s17, s9, 4
	s_sub_co_i32 s16, s8, s10
	s_lshl_b32 s8, s16, 1
	s_delay_alu instid0(SALU_CYCLE_1) | instskip(SKIP_4) | instid1(SALU_CYCLE_1)
	s_add_co_i32 s8, s8, s13
	s_wait_kmcnt 0x0
	s_cmp_lt_i32 s8, s2
	s_cselect_b32 s8, -1, 0
	s_add_co_i32 s9, s17, s12
	s_cmp_lt_i32 s9, s5
	s_cselect_b32 s9, -1, 0
	s_delay_alu instid0(SALU_CYCLE_1) | instskip(NEXT) | instid1(SALU_CYCLE_1)
	s_and_b32 s8, s8, s9
	s_and_not1_b32 vcc_lo, exec_lo, s8
	s_cbranch_vccnz .LBB2_6
; %bb.1:
	s_mul_i32 s2, s7, s2
	s_load_b128 s[8:11], s[0:1], 0x0
	s_wait_xcnt 0x0
	s_add_co_i32 s0, s2, s13
	s_mul_i32 s15, s15, s5
	s_mul_i32 s0, s0, s3
	;; [unrolled: 1-line block ×3, first 2 shown]
	s_add_co_i32 s0, s0, s12
	s_lshl_b32 s1, s1, 10
	s_add_co_i32 s0, s0, s15
	s_mul_i32 s7, s6, s14
	s_add_co_i32 s0, s0, s17
	s_lshl_b32 s5, s13, 4
	s_lshl_b32 s0, s0, 9
	s_add_co_i32 s15, s7, s6
	s_add_co_i32 s1, s1, s0
	s_add_co_i32 s0, s5, s12
	v_or_b32_e32 v4, s1, v0
	s_lshl_b32 s1, s15, 5
	s_add_co_i32 s2, s15, -2
	s_add_co_i32 s0, s0, s1
	s_delay_alu instid0(SALU_CYCLE_1)
	s_sub_co_i32 s0, s0, 32
	s_wait_kmcnt 0x0
	global_load_b32 v3, v4, s[8:9] scale_offset
	s_ashr_i32 s1, s0, 31
	v_ashrrev_i32_e32 v5, 31, v4
	s_lshl_b64 s[0:1], s[0:1], 3
	s_cmp_lt_i32 s2, s7
	s_add_nc_u64 s[0:1], s[10:11], s[0:1]
	s_load_b32 s16, s[0:1], 0x4
	s_cbranch_scc1 .LBB2_4
; %bb.2:
	s_wait_xcnt 0x0
	s_load_b32 s0, s[0:1], 0x0
	s_add_co_i32 s14, s14, 1
	s_lshl_b32 s3, s13, 13
	s_wait_xcnt 0x0
	s_mul_i32 s1, s6, s14
	s_lshl_b32 s6, s12, 9
	s_lshl_b32 s13, s1, 14
	s_add_co_i32 s6, s6, s3
	s_lshl_b32 s1, s1, 5
	s_add_co_i32 s6, s6, s13
	s_lshl_b32 s2, s4, 7
	s_wait_kmcnt 0x0
	v_dual_mov_b32 v2, s16 :: v_dual_bitop2_b32 v0, s6, v0 bitop3:0x54
	s_add_co_i32 s1, s12, s1
	s_lshl_b32 s4, s4, 5
	s_ashr_i32 s3, s2, 31
	s_add_co_i32 s1, s1, s4
	v_add_nc_u32_e32 v0, 0xffff8000, v0
	s_lshl_b64 s[2:3], s[2:3], 2
	s_add_co_i32 s4, s1, s5
	s_add_nc_u64 s[2:3], s[10:11], s[2:3]
	s_add_co_i32 s1, s15, -1
	s_sub_co_i32 s4, s4, 64
.LBB2_3:                                ; =>This Inner Loop Header: Depth=1
	global_load_b32 v7, v0, s[2:3] scale_offset
	s_ashr_i32 s5, s4, 31
	v_max_num_f32_e64 v1, s0, s0
	s_lshl_b64 s[12:13], s[4:5], 3
	s_delay_alu instid0(SALU_CYCLE_1) | instskip(SKIP_1) | instid1(VALU_DEP_1)
	s_add_nc_u64 s[12:13], s[10:11], s[12:13]
	s_load_b64 s[12:13], s[12:13], 0x0
	v_readfirstlane_b32 s5, v1
	v_add_nc_u32_e32 v0, 0xffffc000, v0
	s_wait_kmcnt 0x0
	v_max_num_f32_e64 v1, s12, s12
	s_delay_alu instid0(VALU_DEP_1) | instskip(SKIP_1) | instid1(SALU_CYCLE_3)
	v_readfirstlane_b32 s6, v1
	s_max_num_f32 s5, s5, s6
	s_sub_f32 s0, s0, s5
	s_sub_f32 s6, s12, s5
	s_delay_alu instid0(SALU_CYCLE_2) | instskip(NEXT) | instid1(SALU_CYCLE_2)
	s_mul_f32 s12, s0, 0x3fb8aa3b
	s_mul_f32 s14, s6, 0x3fb8aa3b
	s_delay_alu instid0(SALU_CYCLE_2)
	s_xor_b32 s15, s12, 0x80000000
	s_rndne_f32 s16, s12
	s_fmamk_f32 s15, s0, 0x3fb8aa3b, s15
	s_cmp_nlt_f32 s0, 0xc2ce8ed0
	s_rndne_f32 s17, s14
	s_sub_f32 s12, s12, s16
	s_fmamk_f32 s15, s0, 0x32a5705f, s15
	s_cselect_b32 vcc_lo, -1, 0
	s_cmp_ngt_f32 s0, 0x42b17218
	s_delay_alu instid0(SALU_CYCLE_1) | instskip(SKIP_2) | instid1(SALU_CYCLE_1)
	s_add_f32 s12, s12, s15
	s_cvt_i32_f32 s15, s16
	s_sub_f32 s16, s14, s17
	v_s_exp_f32 s12, s12
	v_nop
	s_delay_alu instid0(TRANS32_DEP_1) | instskip(SKIP_1) | instid1(VALU_DEP_1)
	v_ldexp_f32 v1, s12, s15
	s_cvt_i32_f32 s12, s17
	v_cndmask_b32_e32 v1, 0, v1, vcc_lo
	s_cselect_b32 vcc_lo, -1, 0
	s_cmp_ge_f32 s0, 0xc1a00000
	s_delay_alu instid0(VALU_DEP_1)
	v_cndmask_b32_e32 v1, 0x7f800000, v1, vcc_lo
	s_cselect_b32 vcc_lo, -1, 0
	s_xor_b32 s0, s14, 0x80000000
	s_cmp_nlt_f32 s6, 0xc2ce8ed0
	s_fmamk_f32 s0, s6, 0x3fb8aa3b, s0
	v_cndmask_b32_e32 v10, 0, v1, vcc_lo
	s_delay_alu instid0(SALU_CYCLE_2) | instskip(NEXT) | instid1(SALU_CYCLE_3)
	s_fmamk_f32 s0, s6, 0x32a5705f, s0
	s_add_f32 s0, s16, s0
	s_delay_alu instid0(SALU_CYCLE_3) | instskip(SKIP_1) | instid1(TRANS32_DEP_1)
	v_s_exp_f32 s0, s0
	v_nop
	v_ldexp_f32 v6, s0, s12
	s_cselect_b32 s0, -1, 0
	s_cmp_ngt_f32 s6, 0x42b17218
	s_delay_alu instid0(VALU_DEP_1) | instskip(SKIP_2) | instid1(VALU_DEP_1)
	v_cndmask_b32_e64 v6, 0, v6, s0
	s_cselect_b32 s0, -1, 0
	s_cmp_ge_f32 s6, 0xc1a00000
	v_cndmask_b32_e64 v8, 0x7f800000, v6, s0
	s_cselect_b32 s0, -1, 0
	v_mov_b32_e32 v6, s13
	s_add_co_i32 s1, s1, -1
	s_sub_co_i32 s4, s4, 32
	v_cndmask_b32_e64 v8, 0, v8, s0
	s_cmp_le_i32 s1, s7
	s_mov_b32 s0, s5
	s_wait_loadcnt 0x0
	s_delay_alu instid0(VALU_DEP_1) | instskip(NEXT) | instid1(VALU_DEP_1)
	v_pk_mul_f32 v[6:7], v[6:7], v[8:9] op_sel_hi:[1,0]
	v_pk_fma_f32 v[2:3], v[2:3], v[10:11], v[6:7] op_sel_hi:[1,0,1]
	s_cbranch_scc0 .LBB2_3
	s_branch .LBB2_5
.LBB2_4:
	s_wait_kmcnt 0x0
	v_mov_b32_e32 v2, s16
.LBB2_5:
	v_lshl_add_u64 v[0:1], v[4:5], 2, s[8:9]
	s_wait_loadcnt 0x0
	s_delay_alu instid0(VALU_DEP_2) | instskip(NEXT) | instid1(VALU_DEP_1)
	v_div_scale_f32 v4, null, v2, v2, v3
	v_rcp_f32_e32 v5, v4
	v_nop
	s_delay_alu instid0(TRANS32_DEP_1) | instskip(NEXT) | instid1(VALU_DEP_1)
	v_fma_f32 v6, -v4, v5, 1.0
	v_fmac_f32_e32 v5, v6, v5
	v_div_scale_f32 v6, vcc_lo, v3, v2, v3
	s_delay_alu instid0(VALU_DEP_1) | instskip(NEXT) | instid1(VALU_DEP_1)
	v_mul_f32_e32 v7, v6, v5
	v_fma_f32 v8, -v4, v7, v6
	s_delay_alu instid0(VALU_DEP_1) | instskip(NEXT) | instid1(VALU_DEP_1)
	v_fmac_f32_e32 v7, v8, v5
	v_fma_f32 v4, -v4, v7, v6
	s_delay_alu instid0(VALU_DEP_1) | instskip(NEXT) | instid1(VALU_DEP_1)
	v_div_fmas_f32 v4, v4, v5, v7
	v_div_fixup_f32 v2, v4, v2, v3
	global_store_b32 v[0:1], v2, off
.LBB2_6:
	s_endpgm
	.section	.rodata,"a",@progbits
	.p2align	6, 0x0
	.amdhsa_kernel _ZL33flash_attn_stream_k_fixup_uniformILi512ELi2ELi16EEvPfPK15HIP_vector_typeIfLj2EEiiiiiiS1_IjLj3EES5_S5_
		.amdhsa_group_segment_fixed_size 0
		.amdhsa_private_segment_fixed_size 0
		.amdhsa_kernarg_size 76
		.amdhsa_user_sgpr_count 2
		.amdhsa_user_sgpr_dispatch_ptr 0
		.amdhsa_user_sgpr_queue_ptr 0
		.amdhsa_user_sgpr_kernarg_segment_ptr 1
		.amdhsa_user_sgpr_dispatch_id 0
		.amdhsa_user_sgpr_kernarg_preload_length 0
		.amdhsa_user_sgpr_kernarg_preload_offset 0
		.amdhsa_user_sgpr_private_segment_size 0
		.amdhsa_wavefront_size32 1
		.amdhsa_uses_dynamic_stack 0
		.amdhsa_enable_private_segment 0
		.amdhsa_system_sgpr_workgroup_id_x 1
		.amdhsa_system_sgpr_workgroup_id_y 1
		.amdhsa_system_sgpr_workgroup_id_z 1
		.amdhsa_system_sgpr_workgroup_info 0
		.amdhsa_system_vgpr_workitem_id 0
		.amdhsa_next_free_vgpr 12
		.amdhsa_next_free_sgpr 21
		.amdhsa_named_barrier_count 0
		.amdhsa_reserve_vcc 1
		.amdhsa_float_round_mode_32 0
		.amdhsa_float_round_mode_16_64 0
		.amdhsa_float_denorm_mode_32 3
		.amdhsa_float_denorm_mode_16_64 3
		.amdhsa_fp16_overflow 0
		.amdhsa_memory_ordered 1
		.amdhsa_forward_progress 1
		.amdhsa_inst_pref_size 9
		.amdhsa_round_robin_scheduling 0
		.amdhsa_exception_fp_ieee_invalid_op 0
		.amdhsa_exception_fp_denorm_src 0
		.amdhsa_exception_fp_ieee_div_zero 0
		.amdhsa_exception_fp_ieee_overflow 0
		.amdhsa_exception_fp_ieee_underflow 0
		.amdhsa_exception_fp_ieee_inexact 0
		.amdhsa_exception_int_div_zero 0
	.end_amdhsa_kernel
	.section	.text._ZL33flash_attn_stream_k_fixup_uniformILi512ELi2ELi16EEvPfPK15HIP_vector_typeIfLj2EEiiiiiiS1_IjLj3EES5_S5_,"axG",@progbits,_ZL33flash_attn_stream_k_fixup_uniformILi512ELi2ELi16EEvPfPK15HIP_vector_typeIfLj2EEiiiiiiS1_IjLj3EES5_S5_,comdat
.Lfunc_end2:
	.size	_ZL33flash_attn_stream_k_fixup_uniformILi512ELi2ELi16EEvPfPK15HIP_vector_typeIfLj2EEiiiiiiS1_IjLj3EES5_S5_, .Lfunc_end2-_ZL33flash_attn_stream_k_fixup_uniformILi512ELi2ELi16EEvPfPK15HIP_vector_typeIfLj2EEiiiiiiS1_IjLj3EES5_S5_
                                        ; -- End function
	.set _ZL33flash_attn_stream_k_fixup_uniformILi512ELi2ELi16EEvPfPK15HIP_vector_typeIfLj2EEiiiiiiS1_IjLj3EES5_S5_.num_vgpr, 12
	.set _ZL33flash_attn_stream_k_fixup_uniformILi512ELi2ELi16EEvPfPK15HIP_vector_typeIfLj2EEiiiiiiS1_IjLj3EES5_S5_.num_agpr, 0
	.set _ZL33flash_attn_stream_k_fixup_uniformILi512ELi2ELi16EEvPfPK15HIP_vector_typeIfLj2EEiiiiiiS1_IjLj3EES5_S5_.numbered_sgpr, 21
	.set _ZL33flash_attn_stream_k_fixup_uniformILi512ELi2ELi16EEvPfPK15HIP_vector_typeIfLj2EEiiiiiiS1_IjLj3EES5_S5_.num_named_barrier, 0
	.set _ZL33flash_attn_stream_k_fixup_uniformILi512ELi2ELi16EEvPfPK15HIP_vector_typeIfLj2EEiiiiiiS1_IjLj3EES5_S5_.private_seg_size, 0
	.set _ZL33flash_attn_stream_k_fixup_uniformILi512ELi2ELi16EEvPfPK15HIP_vector_typeIfLj2EEiiiiiiS1_IjLj3EES5_S5_.uses_vcc, 1
	.set _ZL33flash_attn_stream_k_fixup_uniformILi512ELi2ELi16EEvPfPK15HIP_vector_typeIfLj2EEiiiiiiS1_IjLj3EES5_S5_.uses_flat_scratch, 0
	.set _ZL33flash_attn_stream_k_fixup_uniformILi512ELi2ELi16EEvPfPK15HIP_vector_typeIfLj2EEiiiiiiS1_IjLj3EES5_S5_.has_dyn_sized_stack, 0
	.set _ZL33flash_attn_stream_k_fixup_uniformILi512ELi2ELi16EEvPfPK15HIP_vector_typeIfLj2EEiiiiiiS1_IjLj3EES5_S5_.has_recursion, 0
	.set _ZL33flash_attn_stream_k_fixup_uniformILi512ELi2ELi16EEvPfPK15HIP_vector_typeIfLj2EEiiiiiiS1_IjLj3EES5_S5_.has_indirect_call, 0
	.section	.AMDGPU.csdata,"",@progbits
; Kernel info:
; codeLenInByte = 1092
; TotalNumSgprs: 23
; NumVgprs: 12
; ScratchSize: 0
; MemoryBound: 0
; FloatMode: 240
; IeeeMode: 1
; LDSByteSize: 0 bytes/workgroup (compile time only)
; SGPRBlocks: 0
; VGPRBlocks: 0
; NumSGPRsForWavesPerEU: 23
; NumVGPRsForWavesPerEU: 12
; NamedBarCnt: 0
; Occupancy: 16
; WaveLimiterHint : 0
; COMPUTE_PGM_RSRC2:SCRATCH_EN: 0
; COMPUTE_PGM_RSRC2:USER_SGPR: 2
; COMPUTE_PGM_RSRC2:TRAP_HANDLER: 0
; COMPUTE_PGM_RSRC2:TGID_X_EN: 1
; COMPUTE_PGM_RSRC2:TGID_Y_EN: 1
; COMPUTE_PGM_RSRC2:TGID_Z_EN: 1
; COMPUTE_PGM_RSRC2:TIDIG_COMP_CNT: 0
	.section	.text._ZL33flash_attn_stream_k_fixup_generalILi512ELi2ELi16EEvPfPK15HIP_vector_typeIfLj2EEiiiiS1_IjLj3EES5_S5_S5_,"axG",@progbits,_ZL33flash_attn_stream_k_fixup_generalILi512ELi2ELi16EEvPfPK15HIP_vector_typeIfLj2EEiiiiS1_IjLj3EES5_S5_S5_,comdat
	.globl	_ZL33flash_attn_stream_k_fixup_generalILi512ELi2ELi16EEvPfPK15HIP_vector_typeIfLj2EEiiiiS1_IjLj3EES5_S5_S5_ ; -- Begin function _ZL33flash_attn_stream_k_fixup_generalILi512ELi2ELi16EEvPfPK15HIP_vector_typeIfLj2EEiiiiS1_IjLj3EES5_S5_S5_
	.p2align	8
	.type	_ZL33flash_attn_stream_k_fixup_generalILi512ELi2ELi16EEvPfPK15HIP_vector_typeIfLj2EEiiiiS1_IjLj3EES5_S5_S5_,@function
_ZL33flash_attn_stream_k_fixup_generalILi512ELi2ELi16EEvPfPK15HIP_vector_typeIfLj2EEiiiiS1_IjLj3EES5_S5_S5_: ; @_ZL33flash_attn_stream_k_fixup_generalILi512ELi2ELi16EEvPfPK15HIP_vector_typeIfLj2EEiiiiS1_IjLj3EES5_S5_S5_
; %bb.0:
	s_clause 0x1
	s_load_b128 s[4:7], s[0:1], 0x10
	s_load_b32 s16, s[0:1], 0x50
	s_bfe_u32 s2, ttmp6, 0x4000c
	s_and_b32 s3, ttmp6, 15
	s_add_co_i32 s2, s2, 1
	s_getreg_b32 s15, hwreg(HW_REG_IB_STS2, 6, 4)
	s_mul_i32 s2, ttmp9, s2
	s_mov_b32 s17, 0
	s_add_co_i32 s3, s3, s2
	s_cmp_eq_u32 s15, 0
	s_cselect_b32 s2, ttmp9, s3
	s_delay_alu instid0(SALU_CYCLE_1) | instskip(SKIP_3) | instid1(SALU_CYCLE_1)
	s_ashr_i32 s3, s2, 31
	s_wait_kmcnt 0x0
	s_ashr_i32 s19, s7, 31
	s_mov_b32 s18, s7
	s_mul_u64 s[8:9], s[18:19], s[2:3]
	s_delay_alu instid0(SALU_CYCLE_1) | instskip(NEXT) | instid1(SALU_CYCLE_1)
	s_and_b64 s[10:11], s[8:9], 0xffffffff00000000
	s_cmp_lg_u64 s[10:11], 0
	s_cbranch_scc0 .LBB3_21
; %bb.1:
	s_add_nc_u64 s[10:11], s[16:17], 0
	s_mov_b32 s23, s17
	s_xor_b64 s[10:11], s[10:11], 0
	s_mov_b32 s27, s17
	s_cvt_f32_u32 s3, s10
	s_cvt_f32_u32 s7, s11
	s_sub_nc_u64 s[20:21], 0, s[10:11]
	s_delay_alu instid0(SALU_CYCLE_2) | instskip(NEXT) | instid1(SALU_CYCLE_3)
	s_fmamk_f32 s3, s7, 0x4f800000, s3
	v_s_rcp_f32 s3, s3
	s_delay_alu instid0(TRANS32_DEP_1) | instskip(NEXT) | instid1(SALU_CYCLE_3)
	s_mul_f32 s3, s3, 0x5f7ffffc
	s_mul_f32 s7, s3, 0x2f800000
	s_delay_alu instid0(SALU_CYCLE_3) | instskip(NEXT) | instid1(SALU_CYCLE_3)
	s_trunc_f32 s7, s7
	s_fmamk_f32 s3, s7, 0xcf800000, s3
	s_cvt_u32_f32 s13, s7
	s_delay_alu instid0(SALU_CYCLE_2) | instskip(NEXT) | instid1(SALU_CYCLE_3)
	s_cvt_u32_f32 s12, s3
	s_mul_u64 s[24:25], s[20:21], s[12:13]
	s_delay_alu instid0(SALU_CYCLE_1)
	s_mul_hi_u32 s29, s12, s25
	s_mul_i32 s28, s12, s25
	s_mul_hi_u32 s22, s12, s24
	s_mul_i32 s7, s13, s24
	s_add_nc_u64 s[22:23], s[22:23], s[28:29]
	s_mul_hi_u32 s3, s13, s24
	s_mul_hi_u32 s14, s13, s25
	s_add_co_u32 s7, s22, s7
	s_add_co_ci_u32 s26, s23, s3
	s_mul_i32 s24, s13, s25
	s_add_co_ci_u32 s25, s14, 0
	s_delay_alu instid0(SALU_CYCLE_1) | instskip(SKIP_3) | instid1(SALU_CYCLE_1)
	s_add_nc_u64 s[22:23], s[26:27], s[24:25]
	s_mov_b32 s25, s17
	s_add_co_u32 s12, s12, s22
	s_cselect_b32 s3, -1, 0
	s_cmp_lg_u32 s3, 0
	s_add_co_ci_u32 s13, s13, s23
	s_mov_b32 s23, s17
	s_mul_u64 s[20:21], s[20:21], s[12:13]
	s_delay_alu instid0(SALU_CYCLE_1)
	s_mul_hi_u32 s27, s12, s21
	s_mul_i32 s26, s12, s21
	s_mul_hi_u32 s22, s12, s20
	s_mul_i32 s7, s13, s20
	s_add_nc_u64 s[22:23], s[22:23], s[26:27]
	s_mul_hi_u32 s3, s13, s20
	s_mul_hi_u32 s14, s13, s21
	s_add_co_u32 s7, s22, s7
	s_add_co_ci_u32 s24, s23, s3
	s_mul_i32 s20, s13, s21
	s_add_co_ci_u32 s21, s14, 0
	s_mov_b32 s23, s17
	s_add_nc_u64 s[20:21], s[24:25], s[20:21]
	s_delay_alu instid0(SALU_CYCLE_1) | instskip(SKIP_1) | instid1(SALU_CYCLE_1)
	s_add_co_u32 s3, s12, s20
	s_cselect_b32 s7, -1, 0
	s_cmp_lg_u32 s7, 0
	s_add_co_ci_u32 s7, s13, s21
	s_ashr_i32 s12, s9, 31
	s_delay_alu instid0(SALU_CYCLE_1) | instskip(NEXT) | instid1(SALU_CYCLE_1)
	s_mov_b32 s13, s12
	s_add_nc_u64 s[20:21], s[8:9], s[12:13]
	s_delay_alu instid0(SALU_CYCLE_1) | instskip(NEXT) | instid1(SALU_CYCLE_1)
	s_xor_b64 s[20:21], s[20:21], s[12:13]
	s_mul_hi_u32 s27, s20, s7
	s_mul_i32 s26, s20, s7
	s_mul_hi_u32 s22, s20, s3
	s_mul_hi_u32 s14, s21, s3
	s_mul_i32 s3, s21, s3
	s_add_nc_u64 s[22:23], s[22:23], s[26:27]
	s_mul_hi_u32 s9, s21, s7
	s_add_co_u32 s3, s22, s3
	s_add_co_ci_u32 s24, s23, s14
	s_mul_i32 s26, s21, s7
	s_add_co_ci_u32 s27, s9, 0
	s_delay_alu instid0(SALU_CYCLE_1) | instskip(NEXT) | instid1(SALU_CYCLE_1)
	s_add_nc_u64 s[22:23], s[24:25], s[26:27]
	s_and_b64 s[24:25], s[22:23], 0xffffffff00000000
	s_delay_alu instid0(SALU_CYCLE_1) | instskip(NEXT) | instid1(SALU_CYCLE_1)
	s_or_b32 s24, s24, s22
	s_mul_u64 s[22:23], s[10:11], s[24:25]
	s_add_nc_u64 s[26:27], s[24:25], 1
	s_sub_co_u32 s3, s20, s22
	s_cselect_b32 s7, -1, 0
	s_sub_co_i32 s9, s21, s23
	s_cmp_lg_u32 s7, 0
	s_add_nc_u64 s[28:29], s[24:25], 2
	s_sub_co_ci_u32 s9, s9, s11
	s_sub_co_u32 s14, s3, s10
	s_cselect_b32 s20, -1, 0
	s_delay_alu instid0(SALU_CYCLE_1) | instskip(SKIP_1) | instid1(SALU_CYCLE_1)
	s_cmp_lg_u32 s20, 0
	s_sub_co_ci_u32 s9, s9, 0
	s_cmp_ge_u32 s9, s11
	s_cselect_b32 s20, -1, 0
	s_cmp_ge_u32 s14, s10
	s_cselect_b32 s14, -1, 0
	s_cmp_eq_u32 s9, s11
	s_cselect_b32 s9, s14, s20
	s_delay_alu instid0(SALU_CYCLE_1) | instskip(SKIP_4) | instid1(SALU_CYCLE_1)
	s_cmp_lg_u32 s9, 0
	s_cselect_b32 s9, s28, s26
	s_cselect_b32 s14, s29, s27
	s_cmp_lg_u32 s7, 0
	s_sub_co_ci_u32 s7, s21, s23
	s_cmp_ge_u32 s7, s11
	s_cselect_b32 s20, -1, 0
	s_cmp_ge_u32 s3, s10
	s_cselect_b32 s3, -1, 0
	s_cmp_eq_u32 s7, s11
	s_cselect_b32 s3, s3, s20
	s_delay_alu instid0(SALU_CYCLE_1) | instskip(SKIP_4) | instid1(SALU_CYCLE_1)
	s_cmp_lg_u32 s3, 0
	s_mov_b32 s3, s17
	s_cselect_b32 s11, s14, s25
	s_cselect_b32 s10, s9, s24
	s_xor_b64 s[12:13], s[12:13], 0
	s_xor_b64 s[10:11], s[10:11], s[12:13]
	s_delay_alu instid0(SALU_CYCLE_1)
	s_sub_nc_u64 s[20:21], s[10:11], s[12:13]
	s_and_not1_b32 vcc_lo, exec_lo, s3
	s_cbranch_vccnz .LBB3_3
.LBB3_2:
	v_cvt_f32_u32_e32 v1, s16
	s_sub_co_i32 s7, 0, s16
	s_mov_b32 s21, 0
	s_delay_alu instid0(VALU_DEP_1) | instskip(SKIP_1) | instid1(TRANS32_DEP_1)
	v_rcp_iflag_f32_e32 v1, v1
	v_nop
	v_mul_f32_e32 v1, 0x4f7ffffe, v1
	s_delay_alu instid0(VALU_DEP_1) | instskip(NEXT) | instid1(VALU_DEP_1)
	v_cvt_u32_f32_e32 v1, v1
	v_readfirstlane_b32 s3, v1
	s_mul_i32 s7, s7, s3
	s_delay_alu instid0(SALU_CYCLE_1) | instskip(NEXT) | instid1(SALU_CYCLE_1)
	s_mul_hi_u32 s7, s3, s7
	s_add_co_i32 s3, s3, s7
	s_delay_alu instid0(SALU_CYCLE_1) | instskip(NEXT) | instid1(SALU_CYCLE_1)
	s_mul_hi_u32 s3, s8, s3
	s_mul_i32 s7, s3, s16
	s_delay_alu instid0(SALU_CYCLE_1)
	s_sub_co_i32 s7, s8, s7
	s_add_co_i32 s8, s3, 1
	s_sub_co_i32 s9, s7, s16
	s_cmp_ge_u32 s7, s16
	s_cselect_b32 s3, s8, s3
	s_cselect_b32 s7, s9, s7
	s_add_co_i32 s8, s3, 1
	s_cmp_ge_u32 s7, s16
	s_cselect_b32 s20, s8, s3
.LBB3_3:
	s_add_co_i32 s8, s2, 1
	s_delay_alu instid0(SALU_CYCLE_1) | instskip(NEXT) | instid1(SALU_CYCLE_1)
	s_ashr_i32 s9, s8, 31
	s_mul_u64 s[8:9], s[18:19], s[8:9]
	s_delay_alu instid0(SALU_CYCLE_1) | instskip(NEXT) | instid1(SALU_CYCLE_1)
	s_and_b64 s[10:11], s[8:9], 0xffffffff00000000
	s_cmp_lg_u64 s[10:11], 0
	s_cbranch_scc0 .LBB3_22
; %bb.4:
	s_add_nc_u64 s[10:11], s[16:17], 0
	s_delay_alu instid0(SALU_CYCLE_1) | instskip(SKIP_4) | instid1(SALU_CYCLE_2)
	s_xor_b64 s[12:13], s[10:11], 0
	s_mov_b32 s11, 0
	s_cvt_f32_u32 s3, s12
	s_cvt_f32_u32 s7, s13
	s_sub_nc_u64 s[24:25], 0, s[12:13]
	s_fmamk_f32 s3, s7, 0x4f800000, s3
	s_delay_alu instid0(SALU_CYCLE_3) | instskip(NEXT) | instid1(TRANS32_DEP_1)
	v_s_rcp_f32 s3, s3
	s_mul_f32 s3, s3, 0x5f7ffffc
	s_delay_alu instid0(SALU_CYCLE_3) | instskip(NEXT) | instid1(SALU_CYCLE_3)
	s_mul_f32 s7, s3, 0x2f800000
	s_trunc_f32 s7, s7
	s_delay_alu instid0(SALU_CYCLE_3) | instskip(SKIP_1) | instid1(SALU_CYCLE_2)
	s_fmamk_f32 s3, s7, 0xcf800000, s3
	s_cvt_u32_f32 s23, s7
	s_cvt_u32_f32 s22, s3
	s_delay_alu instid0(SALU_CYCLE_3) | instskip(NEXT) | instid1(SALU_CYCLE_1)
	s_mul_u64 s[26:27], s[24:25], s[22:23]
	s_mul_hi_u32 s29, s22, s27
	s_mul_i32 s28, s22, s27
	s_mul_hi_u32 s10, s22, s26
	s_mul_i32 s7, s23, s26
	s_add_nc_u64 s[28:29], s[10:11], s[28:29]
	s_mul_hi_u32 s3, s23, s26
	s_mul_hi_u32 s14, s23, s27
	s_add_co_u32 s7, s28, s7
	s_add_co_ci_u32 s10, s29, s3
	s_mul_i32 s26, s23, s27
	s_add_co_ci_u32 s27, s14, 0
	s_delay_alu instid0(SALU_CYCLE_1) | instskip(NEXT) | instid1(SALU_CYCLE_1)
	s_add_nc_u64 s[26:27], s[10:11], s[26:27]
	s_add_co_u32 s22, s22, s26
	s_cselect_b32 s3, -1, 0
	s_delay_alu instid0(SALU_CYCLE_1) | instskip(SKIP_1) | instid1(SALU_CYCLE_1)
	s_cmp_lg_u32 s3, 0
	s_add_co_ci_u32 s23, s23, s27
	s_mul_u64 s[24:25], s[24:25], s[22:23]
	s_delay_alu instid0(SALU_CYCLE_1)
	s_mul_hi_u32 s27, s22, s25
	s_mul_i32 s26, s22, s25
	s_mul_hi_u32 s10, s22, s24
	s_mul_i32 s7, s23, s24
	s_add_nc_u64 s[26:27], s[10:11], s[26:27]
	s_mul_hi_u32 s3, s23, s24
	s_mul_hi_u32 s14, s23, s25
	s_add_co_u32 s7, s26, s7
	s_add_co_ci_u32 s10, s27, s3
	s_mul_i32 s24, s23, s25
	s_add_co_ci_u32 s25, s14, 0
	s_delay_alu instid0(SALU_CYCLE_1) | instskip(NEXT) | instid1(SALU_CYCLE_1)
	s_add_nc_u64 s[24:25], s[10:11], s[24:25]
	s_add_co_u32 s3, s22, s24
	s_cselect_b32 s7, -1, 0
	s_delay_alu instid0(SALU_CYCLE_1) | instskip(SKIP_2) | instid1(SALU_CYCLE_1)
	s_cmp_lg_u32 s7, 0
	s_add_co_ci_u32 s7, s23, s25
	s_ashr_i32 s22, s9, 31
	s_mov_b32 s23, s22
	s_delay_alu instid0(SALU_CYCLE_1) | instskip(NEXT) | instid1(SALU_CYCLE_1)
	s_add_nc_u64 s[24:25], s[8:9], s[22:23]
	s_xor_b64 s[24:25], s[24:25], s[22:23]
	s_delay_alu instid0(SALU_CYCLE_1)
	s_mul_hi_u32 s27, s24, s7
	s_mul_i32 s26, s24, s7
	s_mul_hi_u32 s10, s24, s3
	s_mul_hi_u32 s14, s25, s3
	s_mul_i32 s3, s25, s3
	s_add_nc_u64 s[26:27], s[10:11], s[26:27]
	s_mul_hi_u32 s9, s25, s7
	s_add_co_u32 s3, s26, s3
	s_add_co_ci_u32 s10, s27, s14
	s_mul_i32 s28, s25, s7
	s_add_co_ci_u32 s29, s9, 0
	s_delay_alu instid0(SALU_CYCLE_1) | instskip(NEXT) | instid1(SALU_CYCLE_1)
	s_add_nc_u64 s[26:27], s[10:11], s[28:29]
	s_and_b64 s[28:29], s[26:27], 0xffffffff00000000
	s_delay_alu instid0(SALU_CYCLE_1) | instskip(NEXT) | instid1(SALU_CYCLE_1)
	s_or_b32 s28, s28, s26
	s_mul_u64 s[26:27], s[12:13], s[28:29]
	s_add_nc_u64 s[30:31], s[28:29], 1
	s_sub_co_u32 s3, s24, s26
	s_cselect_b32 s7, -1, 0
	s_sub_co_i32 s9, s25, s27
	s_cmp_lg_u32 s7, 0
	s_add_nc_u64 s[34:35], s[28:29], 2
	s_sub_co_ci_u32 s9, s9, s13
	s_sub_co_u32 s10, s3, s12
	s_cselect_b32 s14, -1, 0
	s_delay_alu instid0(SALU_CYCLE_1) | instskip(SKIP_1) | instid1(SALU_CYCLE_1)
	s_cmp_lg_u32 s14, 0
	s_sub_co_ci_u32 s9, s9, 0
	s_cmp_ge_u32 s9, s13
	s_cselect_b32 s14, -1, 0
	s_cmp_ge_u32 s10, s12
	s_cselect_b32 s10, -1, 0
	s_cmp_eq_u32 s9, s13
	s_cselect_b32 s9, s10, s14
	s_delay_alu instid0(SALU_CYCLE_1) | instskip(SKIP_4) | instid1(SALU_CYCLE_1)
	s_cmp_lg_u32 s9, 0
	s_cselect_b32 s9, s34, s30
	s_cselect_b32 s10, s35, s31
	s_cmp_lg_u32 s7, 0
	s_sub_co_ci_u32 s7, s25, s27
	s_cmp_ge_u32 s7, s13
	s_cselect_b32 s14, -1, 0
	s_cmp_ge_u32 s3, s12
	s_cselect_b32 s3, -1, 0
	s_cmp_eq_u32 s7, s13
	s_cselect_b32 s3, s3, s14
	s_delay_alu instid0(SALU_CYCLE_1) | instskip(SKIP_3) | instid1(SALU_CYCLE_1)
	s_cmp_lg_u32 s3, 0
	s_cselect_b32 s13, s10, s29
	s_cselect_b32 s12, s9, s28
	s_xor_b64 s[22:23], s[22:23], 0
	s_xor_b64 s[12:13], s[12:13], s[22:23]
	s_delay_alu instid0(SALU_CYCLE_1)
	s_sub_nc_u64 s[24:25], s[12:13], s[22:23]
	s_load_b96 s[12:14], s[0:1], 0x44
	s_cbranch_execnz .LBB3_6
.LBB3_5:
	v_cvt_f32_u32_e32 v1, s16
	s_sub_co_i32 s7, 0, s16
	s_delay_alu instid0(VALU_DEP_1) | instskip(SKIP_1) | instid1(TRANS32_DEP_1)
	v_rcp_iflag_f32_e32 v1, v1
	v_nop
	v_mul_f32_e32 v1, 0x4f7ffffe, v1
	s_delay_alu instid0(VALU_DEP_1) | instskip(NEXT) | instid1(VALU_DEP_1)
	v_cvt_u32_f32_e32 v1, v1
	v_readfirstlane_b32 s3, v1
	s_mul_i32 s7, s7, s3
	s_delay_alu instid0(SALU_CYCLE_1) | instskip(NEXT) | instid1(SALU_CYCLE_1)
	s_mul_hi_u32 s7, s3, s7
	s_add_co_i32 s3, s3, s7
	s_delay_alu instid0(SALU_CYCLE_1) | instskip(NEXT) | instid1(SALU_CYCLE_1)
	s_mul_hi_u32 s3, s8, s3
	s_mul_i32 s7, s3, s16
	s_delay_alu instid0(SALU_CYCLE_1)
	s_sub_co_i32 s7, s8, s7
	s_add_co_i32 s8, s3, 1
	s_sub_co_i32 s9, s7, s16
	s_cmp_ge_u32 s7, s16
	s_cselect_b32 s3, s8, s3
	s_cselect_b32 s7, s9, s7
	s_add_co_i32 s8, s3, 1
	s_cmp_ge_u32 s7, s16
	s_cselect_b32 s24, s8, s3
.LBB3_6:
	s_delay_alu instid0(SALU_CYCLE_1)
	s_cmp_eq_u32 s20, s24
	s_mov_b64 s[8:9], 0xffffffff
	s_cselect_b32 s3, -1, 0
	s_and_b64 s[8:9], s[20:21], s[8:9]
	s_mov_b32 s23, 0
	s_wait_kmcnt 0x0
	s_mov_b32 s22, s12
	s_mov_b32 s25, s23
	s_mul_u64 s[10:11], s[8:9], s[22:23]
	s_delay_alu instid0(SALU_CYCLE_1) | instskip(SKIP_2) | instid1(SALU_CYCLE_1)
	s_add_co_i32 s7, s11, s20
	s_mul_u64 s[10:11], s[24:25], s[22:23]
	s_lshr_b32 s12, s7, s13
	s_mul_i32 s7, s12, s14
	s_delay_alu instid0(SALU_CYCLE_1) | instskip(SKIP_2) | instid1(SALU_CYCLE_1)
	s_cmp_eq_u32 s7, s20
	s_cselect_b32 s7, -1, 0
	s_add_co_i32 s10, s11, s24
	s_lshr_b32 s10, s10, s13
	s_delay_alu instid0(SALU_CYCLE_1)
	s_cmp_eq_u32 s12, s10
	s_mul_i32 s10, s10, s14
	s_cselect_b32 s11, -1, 0
	s_cmp_lg_u32 s10, s24
	s_cselect_b32 s10, -1, 0
	s_or_b32 s3, s3, s7
	s_and_b32 s10, s11, s10
	s_delay_alu instid0(SALU_CYCLE_1) | instskip(NEXT) | instid1(SALU_CYCLE_1)
	s_or_b32 s3, s3, s10
	s_and_b32 vcc_lo, exec_lo, s3
	s_cbranch_vccnz .LBB3_24
; %bb.7:
	s_load_b256 s[24:31], s[0:1], 0x20
	s_bfe_u32 s7, ttmp6, 0x40014
	s_bfe_u32 s33, ttmp6, 0x40010
	s_lshr_b32 s3, ttmp7, 16
	s_add_co_i32 s7, s7, 1
	s_and_b32 s21, ttmp7, 0xffff
	s_add_co_i32 s33, s33, 1
	s_bfe_u32 s10, ttmp6, 0x40008
	s_mul_i32 s7, s3, s7
	s_bfe_u32 s34, ttmp6, 0x40004
	s_mul_i32 s33, s21, s33
	s_mov_b32 s11, s23
	s_add_co_i32 s35, s10, s7
	s_add_co_i32 s34, s34, s33
	s_cmp_eq_u32 s15, 0
	s_cselect_b32 s7, s21, s34
	s_cselect_b32 s3, s3, s35
	s_wait_kmcnt 0x0
	s_mov_b32 s10, s24
	s_delay_alu instid0(SALU_CYCLE_1) | instskip(NEXT) | instid1(SALU_CYCLE_1)
	s_mul_u64 s[8:9], s[8:9], s[10:11]
	s_add_co_i32 s8, s9, s20
	s_load_b32 s9, s[0:1], 0x40
	s_lshr_b32 s8, s8, s25
	s_delay_alu instid0(SALU_CYCLE_1) | instskip(NEXT) | instid1(SALU_CYCLE_1)
	s_mul_i32 s10, s8, s26
	s_sub_co_i32 s10, s20, s10
	s_delay_alu instid0(SALU_CYCLE_1) | instskip(NEXT) | instid1(SALU_CYCLE_1)
	s_mul_hi_u32 s11, s10, s27
	s_add_co_i32 s11, s10, s11
	s_delay_alu instid0(SALU_CYCLE_1) | instskip(NEXT) | instid1(SALU_CYCLE_1)
	s_lshr_b32 s15, s11, s28
	s_mul_i32 s11, s15, s29
	s_delay_alu instid0(SALU_CYCLE_1) | instskip(NEXT) | instid1(SALU_CYCLE_1)
	s_sub_co_i32 s10, s10, s11
	s_mul_hi_u32 s11, s10, s30
	s_delay_alu instid0(SALU_CYCLE_1) | instskip(NEXT) | instid1(SALU_CYCLE_1)
	s_add_co_i32 s11, s10, s11
	s_lshr_b32 s26, s11, s31
	s_mov_b32 s11, s23
	s_wait_kmcnt 0x0
	s_mul_i32 s9, s26, s9
	s_delay_alu instid0(SALU_CYCLE_1) | instskip(NEXT) | instid1(SALU_CYCLE_1)
	s_sub_co_i32 s10, s10, s9
	s_mul_u64 s[24:25], s[10:11], s[22:23]
	s_lshl_b32 s24, s26, 4
	s_add_co_i32 s9, s10, s25
	s_delay_alu instid0(SALU_CYCLE_1) | instskip(NEXT) | instid1(SALU_CYCLE_1)
	s_lshr_b32 s21, s9, s13
	s_lshl_b32 s9, s21, 1
	s_delay_alu instid0(SALU_CYCLE_1) | instskip(NEXT) | instid1(SALU_CYCLE_1)
	s_add_co_i32 s9, s9, s7
	s_cmp_lt_i32 s9, s4
	s_cselect_b32 s9, -1, 0
	s_add_co_i32 s10, s24, s3
	s_delay_alu instid0(SALU_CYCLE_1) | instskip(SKIP_1) | instid1(SALU_CYCLE_1)
	s_cmp_lt_i32 s10, s6
	s_cselect_b32 s10, -1, 0
	s_and_b32 s9, s9, s10
	s_delay_alu instid0(SALU_CYCLE_1)
	s_and_not1_b32 vcc_lo, exec_lo, s9
	s_cbranch_vccnz .LBB3_24
; %bb.8:
	s_mul_i32 s4, s8, s4
	s_load_b128 s[8:11], s[0:1], 0x0
	s_wait_xcnt 0x0
	s_add_co_i32 s0, s4, s7
	s_mul_i32 s15, s15, s6
	s_mul_i32 s0, s0, s5
	;; [unrolled: 1-line block ×3, first 2 shown]
	s_add_co_i32 s0, s0, s3
	s_lshl_b32 s1, s1, 10
	s_add_co_i32 s0, s0, s15
	s_lshl_b32 s15, s7, 4
	s_add_co_i32 s0, s0, s24
	s_add_co_i32 s15, s15, s3
	s_lshl_b32 s0, s0, 9
	v_lshl_or_b32 v6, s15, 9, v0
	s_add_co_i32 s1, s1, s0
	v_cvt_f32_u32_e32 v4, s16
	v_or_b32_e32 v2, s1, v0
	s_add_nc_u64 s[0:1], s[16:17], 0
	s_lshl_b32 s24, s16, 7
	s_xor_b64 s[6:7], s[0:1], 0
	s_lshl_b32 s0, s2, 5
	s_cvt_f32_u32 s3, s6
	s_add_co_i32 s0, s15, s0
	s_cvt_f32_u32 s4, s7
	s_ashr_i32 s1, s0, 31
	v_rcp_iflag_f32_e32 v4, v4
	s_lshl_b64 s[0:1], s[0:1], 3
	s_fmamk_f32 s3, s4, 0x4f800000, s3
	s_wait_kmcnt 0x0
	s_add_nc_u64 s[0:1], s[10:11], s[0:1]
	s_mov_b32 s25, 0
	s_load_b64 s[28:29], s[0:1], 0x0
	v_s_rcp_f32 s3, s3
	s_wait_xcnt 0x0
	s_lshl_b64 s[0:1], s[24:25], 2
	s_add_co_i32 s36, s2, -1
	s_add_nc_u64 s[26:27], s[10:11], s[0:1]
	s_sub_nc_u64 s[34:35], 0, s[6:7]
	v_mul_f32_e32 v4, 0x4f7ffffe, v4
	s_delay_alu instid0(TRANS32_DEP_1) | instskip(NEXT) | instid1(VALU_DEP_1)
	s_mul_f32 s3, s3, 0x5f7ffffc
	v_cvt_u32_f32_e32 v7, v4
	s_delay_alu instid0(SALU_CYCLE_2) | instskip(NEXT) | instid1(SALU_CYCLE_3)
	s_mul_f32 s4, s3, 0x2f800000
	s_trunc_f32 s4, s4
	s_wait_kmcnt 0x0
	v_mov_b32_e32 v0, s29
	global_load_b32 v1, v2, s[8:9] scale_offset
	v_ashrrev_i32_e32 v3, 31, v2
	s_fmamk_f32 s0, s4, 0xcf800000, s3
	s_cvt_u32_f32 s31, s4
	s_wait_xcnt 0x0
	s_delay_alu instid0(VALU_DEP_1)
	v_lshl_add_u64 v[2:3], v[2:3], 2, s[8:9]
	s_cvt_u32_f32 s30, s0
	s_mov_b64 s[8:9], 0xffffffff
.LBB3_9:                                ; =>This Inner Loop Header: Depth=1
	s_ashr_i32 s37, s36, 31
                                        ; implicit-def: $sgpr40_sgpr41
	s_delay_alu instid0(SALU_CYCLE_1) | instskip(NEXT) | instid1(SALU_CYCLE_1)
	s_mul_u64 s[0:1], s[36:37], s[18:19]
	s_and_b64 s[2:3], s[0:1], 0xffffffff00000000
	s_delay_alu instid0(SALU_CYCLE_1)
	s_cmp_lg_u64 s[2:3], 0
	s_mov_b32 s2, -1
	s_cbranch_scc0 .LBB3_11
; %bb.10:                               ;   in Loop: Header=BB3_9 Depth=1
	s_mul_u64 s[2:3], s[34:35], s[30:31]
	s_delay_alu instid0(SALU_CYCLE_1)
	s_mul_hi_u32 s5, s30, s3
	s_mul_i32 s4, s30, s3
	s_mul_hi_u32 s24, s30, s2
	s_mul_hi_u32 s17, s31, s2
	s_add_nc_u64 s[4:5], s[24:25], s[4:5]
	s_mul_i32 s2, s31, s2
	s_mul_hi_u32 s21, s31, s3
	s_add_co_u32 s2, s4, s2
	s_add_co_ci_u32 s24, s5, s17
	s_add_co_ci_u32 s5, s21, 0
	s_mul_i32 s4, s31, s3
	s_delay_alu instid0(SALU_CYCLE_1) | instskip(NEXT) | instid1(SALU_CYCLE_1)
	s_add_nc_u64 s[2:3], s[24:25], s[4:5]
	s_add_co_u32 s2, s30, s2
	s_cselect_b32 s4, -1, 0
	s_delay_alu instid0(SALU_CYCLE_1) | instskip(SKIP_1) | instid1(SALU_CYCLE_1)
	s_cmp_lg_u32 s4, 0
	s_add_co_ci_u32 s3, s31, s3
	s_mul_u64 s[4:5], s[34:35], s[2:3]
	s_delay_alu instid0(SALU_CYCLE_1)
	s_mul_hi_u32 s39, s2, s5
	s_mul_i32 s38, s2, s5
	s_mul_hi_u32 s24, s2, s4
	s_mul_hi_u32 s17, s3, s4
	s_mul_i32 s4, s3, s4
	s_add_nc_u64 s[38:39], s[24:25], s[38:39]
	s_mul_hi_u32 s21, s3, s5
	s_add_co_u32 s4, s38, s4
	s_add_co_ci_u32 s24, s39, s17
	s_mul_i32 s4, s3, s5
	s_add_co_ci_u32 s5, s21, 0
	s_delay_alu instid0(SALU_CYCLE_1) | instskip(NEXT) | instid1(SALU_CYCLE_1)
	s_add_nc_u64 s[4:5], s[24:25], s[4:5]
	s_add_co_u32 s17, s2, s4
	s_cselect_b32 s2, -1, 0
	s_delay_alu instid0(SALU_CYCLE_1) | instskip(SKIP_2) | instid1(SALU_CYCLE_1)
	s_cmp_lg_u32 s2, 0
	s_add_co_ci_u32 s21, s3, s5
	s_ashr_i32 s2, s1, 31
	s_mov_b32 s3, s2
	s_delay_alu instid0(SALU_CYCLE_1) | instskip(NEXT) | instid1(SALU_CYCLE_1)
	s_add_nc_u64 s[4:5], s[0:1], s[2:3]
	s_xor_b64 s[4:5], s[4:5], s[2:3]
	s_delay_alu instid0(SALU_CYCLE_1)
	s_mul_hi_u32 s39, s4, s21
	s_mul_i32 s38, s4, s21
	s_mul_hi_u32 s24, s4, s17
	s_mul_hi_u32 s29, s5, s17
	s_mul_i32 s17, s5, s17
	s_add_nc_u64 s[38:39], s[24:25], s[38:39]
	s_mul_hi_u32 s1, s5, s21
	s_add_co_u32 s17, s38, s17
	s_add_co_ci_u32 s24, s39, s29
	s_mul_i32 s40, s5, s21
	s_add_co_ci_u32 s41, s1, 0
	s_delay_alu instid0(SALU_CYCLE_1) | instskip(NEXT) | instid1(SALU_CYCLE_1)
	s_add_nc_u64 s[38:39], s[24:25], s[40:41]
	s_and_b64 s[40:41], s[38:39], 0xffffffff00000000
	s_delay_alu instid0(SALU_CYCLE_1) | instskip(NEXT) | instid1(SALU_CYCLE_1)
	s_or_b32 s40, s40, s38
	s_mul_u64 s[38:39], s[6:7], s[40:41]
	s_add_nc_u64 s[42:43], s[40:41], 1
	s_sub_co_u32 s1, s4, s38
	s_cselect_b32 s4, -1, 0
	s_sub_co_i32 s17, s5, s39
	s_cmp_lg_u32 s4, 0
	s_add_nc_u64 s[44:45], s[40:41], 2
	s_sub_co_ci_u32 s17, s17, s7
	s_sub_co_u32 s21, s1, s6
	s_cselect_b32 s24, -1, 0
	s_delay_alu instid0(SALU_CYCLE_1) | instskip(SKIP_1) | instid1(SALU_CYCLE_1)
	s_cmp_lg_u32 s24, 0
	s_sub_co_ci_u32 s17, s17, 0
	s_cmp_ge_u32 s17, s7
	s_cselect_b32 s24, -1, 0
	s_cmp_ge_u32 s21, s6
	s_cselect_b32 s21, -1, 0
	s_cmp_eq_u32 s17, s7
	s_cselect_b32 s17, s21, s24
	s_delay_alu instid0(SALU_CYCLE_1) | instskip(SKIP_4) | instid1(SALU_CYCLE_1)
	s_cmp_lg_u32 s17, 0
	s_cselect_b32 s17, s44, s42
	s_cselect_b32 s21, s45, s43
	s_cmp_lg_u32 s4, 0
	s_sub_co_ci_u32 s4, s5, s39
	s_cmp_ge_u32 s4, s7
	s_cselect_b32 s5, -1, 0
	s_cmp_ge_u32 s1, s6
	s_cselect_b32 s1, -1, 0
	s_cmp_eq_u32 s4, s7
	s_cselect_b32 s1, s1, s5
	s_delay_alu instid0(SALU_CYCLE_1) | instskip(SKIP_3) | instid1(SALU_CYCLE_1)
	s_cmp_lg_u32 s1, 0
	s_cselect_b32 s5, s21, s41
	s_cselect_b32 s4, s17, s40
	s_xor_b64 s[2:3], s[2:3], 0
	s_xor_b64 s[4:5], s[4:5], s[2:3]
	s_delay_alu instid0(SALU_CYCLE_1)
	s_sub_nc_u64 s[40:41], s[4:5], s[2:3]
	s_mov_b32 s2, 0
.LBB3_11:                               ;   in Loop: Header=BB3_9 Depth=1
	s_delay_alu instid0(SALU_CYCLE_1)
	s_and_not1_b32 vcc_lo, exec_lo, s2
	s_cbranch_vccnz .LBB3_13
; %bb.12:                               ;   in Loop: Header=BB3_9 Depth=1
	v_readfirstlane_b32 s1, v7
	s_sub_co_i32 s2, 0, s16
	s_delay_alu instid0(SALU_CYCLE_1) | instskip(NEXT) | instid1(SALU_CYCLE_1)
	s_mul_i32 s2, s2, s1
	s_mul_hi_u32 s2, s1, s2
	s_delay_alu instid0(SALU_CYCLE_1) | instskip(NEXT) | instid1(SALU_CYCLE_1)
	s_add_co_i32 s1, s1, s2
	s_mul_hi_u32 s1, s0, s1
	s_delay_alu instid0(SALU_CYCLE_1) | instskip(NEXT) | instid1(SALU_CYCLE_1)
	s_mul_i32 s2, s1, s16
	s_sub_co_i32 s0, s0, s2
	s_add_co_i32 s2, s1, 1
	s_sub_co_i32 s3, s0, s16
	s_cmp_ge_u32 s0, s16
	s_cselect_b32 s1, s2, s1
	s_cselect_b32 s0, s3, s0
	s_add_co_i32 s2, s1, 1
	s_cmp_ge_u32 s0, s16
	s_cselect_b32 s24, s2, s1
	s_delay_alu instid0(SALU_CYCLE_1)
	s_mov_b64 s[40:41], s[24:25]
.LBB3_13:                               ;   in Loop: Header=BB3_9 Depth=1
	s_delay_alu instid0(SALU_CYCLE_1)
	s_cmp_lg_u32 s20, s40
	s_mov_b32 s0, -1
                                        ; implicit-def: $vgpr4_vgpr5
                                        ; implicit-def: $sgpr24
                                        ; implicit-def: $sgpr17
                                        ; implicit-def: $sgpr21
                                        ; implicit-def: $sgpr29
	s_cbranch_scc0 .LBB3_18
; %bb.14:                               ;   in Loop: Header=BB3_9 Depth=1
	s_add_co_i32 s0, s36, s16
	v_max_num_f32_e64 v4, s28, s28
	s_lshl_b32 s0, s0, 5
	s_mov_b32 s29, s20
	s_add_co_i32 s0, s0, s15
	s_load_b64 s[38:39], s[10:11], s0 offset:0x0 scale_offset
	s_wait_xcnt 0x0
	v_readfirstlane_b32 s0, v4
	s_wait_kmcnt 0x0
	v_max_num_f32_e64 v5, s38, s38
	s_delay_alu instid0(VALU_DEP_1) | instskip(SKIP_1) | instid1(SALU_CYCLE_3)
	v_readfirstlane_b32 s1, v5
	s_max_num_f32 s17, s0, s1
	s_sub_f32 s33, s28, s17
	s_sub_f32 s37, s38, s17
	s_delay_alu instid0(SALU_CYCLE_2)
	s_cmp_nlt_f32 s33, 0xc2ce8ed0
	s_cselect_b32 s1, -1, 0
	s_cmp_ngt_f32 s33, 0x42b17218
	s_cselect_b32 s2, -1, 0
	s_cmp_ge_f32 s33, 0xc1a00000
	s_cselect_b32 s0, -1, 0
	s_cmp_nlt_f32 s37, 0xc2ce8ed0
	s_cselect_b32 s3, -1, 0
	s_cmp_ngt_f32 s37, 0x42b17218
	s_cselect_b32 s4, -1, 0
	s_cmp_ge_f32 s37, 0xc1a00000
	s_cselect_b32 s5, -1, 0
	s_and_b64 s[42:43], s[40:41], s[8:9]
	s_delay_alu instid0(SALU_CYCLE_1) | instskip(NEXT) | instid1(SALU_CYCLE_1)
	s_mul_u64 s[42:43], s[42:43], s[22:23]
	s_add_co_i32 s21, s43, s40
	s_delay_alu instid0(SALU_CYCLE_1) | instskip(NEXT) | instid1(SALU_CYCLE_1)
	s_lshr_b32 s21, s21, s13
	s_mul_i32 s24, s21, s14
	s_delay_alu instid0(SALU_CYCLE_1) | instskip(SKIP_3) | instid1(SALU_CYCLE_1)
	s_cmp_eq_u32 s24, s40
	s_cselect_b32 s24, -1, 0
	s_cmp_lt_u32 s21, s12
	s_cselect_b32 s21, -1, 0
	s_or_b32 s21, s21, s24
	s_mov_b32 s24, -1
	s_and_b32 vcc_lo, exec_lo, s21
	s_mov_b32 s21, s36
	s_cbranch_vccnz .LBB3_16
; %bb.15:                               ;   in Loop: Header=BB3_9 Depth=1
	s_add_co_i32 s21, s36, -1
	s_mov_b32 s24, 0
	s_mov_b32 s29, s40
.LBB3_16:                               ;   in Loop: Header=BB3_9 Depth=1
	v_lshl_add_u32 v4, s36, 14, v6
	s_mul_f32 s40, s33, 0x3fb8aa3b
	s_mul_f32 s38, s37, 0x3fb8aa3b
	s_delay_alu instid0(SALU_CYCLE_2)
	s_xor_b32 s42, s40, 0x80000000
	global_load_b32 v5, v4, s[26:27] scale_offset
	s_fmamk_f32 s42, s33, 0x3fb8aa3b, s42
	s_rndne_f32 s44, s40
	s_xor_b32 s41, s38, 0x80000000
	s_rndne_f32 s43, s38
	s_fmamk_f32 s33, s33, 0x32a5705f, s42
	s_sub_f32 s40, s40, s44
	s_fmamk_f32 s41, s37, 0x3fb8aa3b, s41
	s_sub_f32 s38, s38, s43
	s_delay_alu instid0(SALU_CYCLE_1) | instskip(NEXT) | instid1(SALU_CYCLE_1)
	s_add_f32 s33, s40, s33
	s_fmamk_f32 s37, s37, 0x32a5705f, s41
	s_cvt_i32_f32 s40, s44
	s_delay_alu instid0(SALU_CYCLE_1) | instskip(NEXT) | instid1(SALU_CYCLE_1)
	v_s_exp_f32 s33, s33
	s_add_f32 s37, s38, s37
	s_cvt_i32_f32 s38, s43
	s_delay_alu instid0(SALU_CYCLE_2) | instskip(NEXT) | instid1(TRANS32_DEP_2)
	v_s_exp_f32 s37, s37
	v_ldexp_f32 v8, s33, s40
	s_wait_xcnt 0x0
	s_delay_alu instid0(TRANS32_DEP_1) | instskip(NEXT) | instid1(VALU_DEP_2)
	v_ldexp_f32 v4, s37, s38
	v_cndmask_b32_e64 v8, 0, v8, s1
	s_delay_alu instid0(VALU_DEP_1) | instskip(NEXT) | instid1(VALU_DEP_1)
	v_cndmask_b32_e64 v9, 0x7f800000, v8, s2
	v_dual_cndmask_b32 v4, 0, v4, s3 :: v_dual_cndmask_b32 v10, 0, v9, s0
	s_delay_alu instid0(VALU_DEP_1) | instskip(NEXT) | instid1(VALU_DEP_1)
	v_cndmask_b32_e64 v4, 0x7f800000, v4, s4
	v_dual_cndmask_b32 v8, 0, v4, s5 :: v_dual_mov_b32 v4, s39
	s_wait_loadcnt 0x0
	s_delay_alu instid0(VALU_DEP_1) | instskip(NEXT) | instid1(VALU_DEP_1)
	v_pk_mul_f32 v[4:5], v[4:5], v[8:9] op_sel_hi:[1,0]
	v_pk_fma_f32 v[4:5], v[0:1], v[10:11], v[4:5] op_sel_hi:[1,0,1]
	s_cbranch_execz .LBB3_19
.LBB3_17:                               ;   in Loop: Header=BB3_9 Depth=1
	s_and_not1_b32 vcc_lo, exec_lo, s24
	s_cbranch_vccnz .LBB3_20
	s_branch .LBB3_23
.LBB3_18:                               ;   in Loop: Header=BB3_9 Depth=1
	s_and_not1_b32 vcc_lo, exec_lo, s0
	s_cbranch_vccnz .LBB3_17
.LBB3_19:                               ;   in Loop: Header=BB3_9 Depth=1
	s_wait_loadcnt 0x0
	v_mov_b64_e32 v[4:5], v[0:1]
	s_add_co_i32 s21, s36, -1
	s_mov_b32 s29, s20
	s_mov_b32 s17, s28
	s_cbranch_execz .LBB3_23
.LBB3_20:                               ;   in Loop: Header=BB3_9 Depth=1
	s_wait_loadcnt 0x0
	s_delay_alu instid0(VALU_DEP_1)
	v_mov_b64_e32 v[0:1], v[4:5]
	s_mov_b32 s20, s29
	s_mov_b32 s36, s21
	;; [unrolled: 1-line block ×3, first 2 shown]
	s_branch .LBB3_9
.LBB3_21:
                                        ; implicit-def: $sgpr20_sgpr21
	s_branch .LBB3_2
.LBB3_22:
                                        ; implicit-def: $sgpr24_sgpr25
	s_load_b96 s[12:14], s[0:1], 0x44
	s_branch .LBB3_5
.LBB3_23:
	s_delay_alu instid0(VALU_DEP_1) | instskip(SKIP_1) | instid1(VALU_DEP_1)
	v_div_scale_f32 v0, null, v4, v4, v5
	s_wait_loadcnt 0x0
	v_rcp_f32_e32 v1, v0
	v_nop
	s_delay_alu instid0(TRANS32_DEP_1) | instskip(NEXT) | instid1(VALU_DEP_1)
	v_fma_f32 v6, -v0, v1, 1.0
	v_fmac_f32_e32 v1, v6, v1
	v_div_scale_f32 v6, vcc_lo, v5, v4, v5
	s_delay_alu instid0(VALU_DEP_1) | instskip(NEXT) | instid1(VALU_DEP_1)
	v_mul_f32_e32 v7, v6, v1
	v_fma_f32 v8, -v0, v7, v6
	s_delay_alu instid0(VALU_DEP_1) | instskip(NEXT) | instid1(VALU_DEP_1)
	v_fmac_f32_e32 v7, v8, v1
	v_fma_f32 v0, -v0, v7, v6
	s_delay_alu instid0(VALU_DEP_1) | instskip(NEXT) | instid1(VALU_DEP_1)
	v_div_fmas_f32 v0, v0, v1, v7
	v_div_fixup_f32 v0, v0, v4, v5
	global_store_b32 v[2:3], v0, off
.LBB3_24:
	s_endpgm
	.section	.rodata,"a",@progbits
	.p2align	6, 0x0
	.amdhsa_kernel _ZL33flash_attn_stream_k_fixup_generalILi512ELi2ELi16EEvPfPK15HIP_vector_typeIfLj2EEiiiiS1_IjLj3EES5_S5_S5_
		.amdhsa_group_segment_fixed_size 0
		.amdhsa_private_segment_fixed_size 0
		.amdhsa_kernarg_size 336
		.amdhsa_user_sgpr_count 2
		.amdhsa_user_sgpr_dispatch_ptr 0
		.amdhsa_user_sgpr_queue_ptr 0
		.amdhsa_user_sgpr_kernarg_segment_ptr 1
		.amdhsa_user_sgpr_dispatch_id 0
		.amdhsa_user_sgpr_kernarg_preload_length 0
		.amdhsa_user_sgpr_kernarg_preload_offset 0
		.amdhsa_user_sgpr_private_segment_size 0
		.amdhsa_wavefront_size32 1
		.amdhsa_uses_dynamic_stack 0
		.amdhsa_enable_private_segment 0
		.amdhsa_system_sgpr_workgroup_id_x 1
		.amdhsa_system_sgpr_workgroup_id_y 1
		.amdhsa_system_sgpr_workgroup_id_z 1
		.amdhsa_system_sgpr_workgroup_info 0
		.amdhsa_system_vgpr_workitem_id 0
		.amdhsa_next_free_vgpr 12
		.amdhsa_next_free_sgpr 46
		.amdhsa_named_barrier_count 0
		.amdhsa_reserve_vcc 1
		.amdhsa_float_round_mode_32 0
		.amdhsa_float_round_mode_16_64 0
		.amdhsa_float_denorm_mode_32 3
		.amdhsa_float_denorm_mode_16_64 3
		.amdhsa_fp16_overflow 0
		.amdhsa_memory_ordered 1
		.amdhsa_forward_progress 1
		.amdhsa_inst_pref_size 27
		.amdhsa_round_robin_scheduling 0
		.amdhsa_exception_fp_ieee_invalid_op 0
		.amdhsa_exception_fp_denorm_src 0
		.amdhsa_exception_fp_ieee_div_zero 0
		.amdhsa_exception_fp_ieee_overflow 0
		.amdhsa_exception_fp_ieee_underflow 0
		.amdhsa_exception_fp_ieee_inexact 0
		.amdhsa_exception_int_div_zero 0
	.end_amdhsa_kernel
	.section	.text._ZL33flash_attn_stream_k_fixup_generalILi512ELi2ELi16EEvPfPK15HIP_vector_typeIfLj2EEiiiiS1_IjLj3EES5_S5_S5_,"axG",@progbits,_ZL33flash_attn_stream_k_fixup_generalILi512ELi2ELi16EEvPfPK15HIP_vector_typeIfLj2EEiiiiS1_IjLj3EES5_S5_S5_,comdat
.Lfunc_end3:
	.size	_ZL33flash_attn_stream_k_fixup_generalILi512ELi2ELi16EEvPfPK15HIP_vector_typeIfLj2EEiiiiS1_IjLj3EES5_S5_S5_, .Lfunc_end3-_ZL33flash_attn_stream_k_fixup_generalILi512ELi2ELi16EEvPfPK15HIP_vector_typeIfLj2EEiiiiS1_IjLj3EES5_S5_S5_
                                        ; -- End function
	.set _ZL33flash_attn_stream_k_fixup_generalILi512ELi2ELi16EEvPfPK15HIP_vector_typeIfLj2EEiiiiS1_IjLj3EES5_S5_S5_.num_vgpr, 12
	.set _ZL33flash_attn_stream_k_fixup_generalILi512ELi2ELi16EEvPfPK15HIP_vector_typeIfLj2EEiiiiS1_IjLj3EES5_S5_S5_.num_agpr, 0
	.set _ZL33flash_attn_stream_k_fixup_generalILi512ELi2ELi16EEvPfPK15HIP_vector_typeIfLj2EEiiiiS1_IjLj3EES5_S5_S5_.numbered_sgpr, 46
	.set _ZL33flash_attn_stream_k_fixup_generalILi512ELi2ELi16EEvPfPK15HIP_vector_typeIfLj2EEiiiiS1_IjLj3EES5_S5_S5_.num_named_barrier, 0
	.set _ZL33flash_attn_stream_k_fixup_generalILi512ELi2ELi16EEvPfPK15HIP_vector_typeIfLj2EEiiiiS1_IjLj3EES5_S5_S5_.private_seg_size, 0
	.set _ZL33flash_attn_stream_k_fixup_generalILi512ELi2ELi16EEvPfPK15HIP_vector_typeIfLj2EEiiiiS1_IjLj3EES5_S5_S5_.uses_vcc, 1
	.set _ZL33flash_attn_stream_k_fixup_generalILi512ELi2ELi16EEvPfPK15HIP_vector_typeIfLj2EEiiiiS1_IjLj3EES5_S5_S5_.uses_flat_scratch, 0
	.set _ZL33flash_attn_stream_k_fixup_generalILi512ELi2ELi16EEvPfPK15HIP_vector_typeIfLj2EEiiiiS1_IjLj3EES5_S5_S5_.has_dyn_sized_stack, 0
	.set _ZL33flash_attn_stream_k_fixup_generalILi512ELi2ELi16EEvPfPK15HIP_vector_typeIfLj2EEiiiiS1_IjLj3EES5_S5_S5_.has_recursion, 0
	.set _ZL33flash_attn_stream_k_fixup_generalILi512ELi2ELi16EEvPfPK15HIP_vector_typeIfLj2EEiiiiS1_IjLj3EES5_S5_S5_.has_indirect_call, 0
	.section	.AMDGPU.csdata,"",@progbits
; Kernel info:
; codeLenInByte = 3360
; TotalNumSgprs: 48
; NumVgprs: 12
; ScratchSize: 0
; MemoryBound: 0
; FloatMode: 240
; IeeeMode: 1
; LDSByteSize: 0 bytes/workgroup (compile time only)
; SGPRBlocks: 0
; VGPRBlocks: 0
; NumSGPRsForWavesPerEU: 48
; NumVGPRsForWavesPerEU: 12
; NamedBarCnt: 0
; Occupancy: 16
; WaveLimiterHint : 0
; COMPUTE_PGM_RSRC2:SCRATCH_EN: 0
; COMPUTE_PGM_RSRC2:USER_SGPR: 2
; COMPUTE_PGM_RSRC2:TRAP_HANDLER: 0
; COMPUTE_PGM_RSRC2:TGID_X_EN: 1
; COMPUTE_PGM_RSRC2:TGID_Y_EN: 1
; COMPUTE_PGM_RSRC2:TGID_Z_EN: 1
; COMPUTE_PGM_RSRC2:TIDIG_COMP_CNT: 0
	.section	.text._ZL26flash_attn_combine_resultsILi512EEvPKfPK15HIP_vector_typeIfLj2EEPfi,"axG",@progbits,_ZL26flash_attn_combine_resultsILi512EEvPKfPK15HIP_vector_typeIfLj2EEPfi,comdat
	.globl	_ZL26flash_attn_combine_resultsILi512EEvPKfPK15HIP_vector_typeIfLj2EEPfi ; -- Begin function _ZL26flash_attn_combine_resultsILi512EEvPKfPK15HIP_vector_typeIfLj2EEPfi
	.p2align	8
	.type	_ZL26flash_attn_combine_resultsILi512EEvPKfPK15HIP_vector_typeIfLj2EEPfi,@function
_ZL26flash_attn_combine_resultsILi512EEvPKfPK15HIP_vector_typeIfLj2EEPfi: ; @_ZL26flash_attn_combine_resultsILi512EEvPKfPK15HIP_vector_typeIfLj2EEPfi
; %bb.0:
	s_clause 0x2
	s_load_b128 s[4:7], s[0:1], 0x0
	s_load_b96 s[8:10], s[0:1], 0x10
	s_load_b64 s[2:3], s[0:1], 0x20
	s_bfe_u32 s11, ttmp6, 0x4000c
	s_wait_xcnt 0x0
	s_and_b32 s0, ttmp6, 15
	s_add_co_i32 s11, s11, 1
	s_and_b32 s12, ttmp7, 0xffff
	s_mul_i32 s1, ttmp9, s11
	s_bfe_u32 s11, ttmp6, 0x40010
	s_bfe_u32 s13, ttmp6, 0x40014
	s_add_co_i32 s11, s11, 1
	s_add_co_i32 s0, s0, s1
	s_mul_i32 s1, s12, s11
	s_bfe_u32 s11, ttmp6, 0x40004
	s_lshr_b32 s14, ttmp7, 16
	s_add_co_i32 s13, s13, 1
	s_add_co_i32 s11, s11, s1
	s_mul_i32 s1, s14, s13
	s_bfe_u32 s13, ttmp6, 0x40008
	s_getreg_b32 s15, hwreg(HW_REG_IB_STS2, 6, 4)
	s_add_co_i32 s13, s13, s1
	s_cmp_eq_u32 s15, 0
	v_mov_b32_e32 v2, v0
	s_cselect_b32 s1, s14, s13
	s_cselect_b32 s0, ttmp9, s0
	s_wait_kmcnt 0x0
	s_mul_i32 s1, s2, s1
	s_cselect_b32 s2, s12, s11
	s_add_co_i32 s0, s1, s0
	s_lshl_b32 s12, s10, 1
	s_mul_i32 s11, s0, s3
	s_mov_b32 s13, exec_lo
	s_add_co_i32 s11, s11, s2
	s_delay_alu instid0(SALU_CYCLE_1)
	s_mul_i32 s2, s11, s10
	v_cmpx_gt_i32_e64 s12, v0
	s_cbranch_execz .LBB4_13
; %bb.1:
	v_xad_u32 v1, v0, -1, s12
	s_ashr_i32 s3, s2, 31
	s_mov_b32 s0, -1
	s_mov_b32 s14, exec_lo
	s_delay_alu instid0(VALU_DEP_1)
	v_cmpx_lt_u32_e32 0x1ff, v1
	s_cbranch_execz .LBB4_10
; %bb.2:
	v_lshrrev_b32_e32 v6, 9, v1
	v_or_b32_e32 v1, 0x200, v0
	s_lshl_b64 s[0:1], s[2:3], 3
	v_mov_b32_e32 v4, 0
	s_add_nc_u64 s[0:1], s[6:7], s[0:1]
	v_add_nc_u32_e32 v2, -1, v6
	s_delay_alu instid0(VALU_DEP_1) | instskip(SKIP_1) | instid1(VALU_DEP_2)
	v_lshrrev_b32_e32 v3, 1, v2
	v_cmp_lt_u32_e32 vcc_lo, 13, v2
	v_add_nc_u32_e32 v7, 1, v3
	v_mov_b64_e32 v[2:3], v[0:1]
	s_and_saveexec_b32 s15, vcc_lo
	s_cbranch_execz .LBB4_6
; %bb.3:
	v_mov_b64_e32 v[2:3], v[0:1]
	v_dual_mov_b32 v5, 0 :: v_dual_bitop2_b32 v8, -8, v7 bitop3:0x40
	v_lshl_add_u32 v9, v0, 2, 0
	s_mov_b32 s16, 0
	s_mov_b32 s17, 0
.LBB4_4:                                ; =>This Inner Loop Header: Depth=1
	s_delay_alu instid0(VALU_DEP_2) | instskip(NEXT) | instid1(VALU_DEP_4)
	v_dual_mov_b32 v4, v2 :: v_dual_mov_b32 v11, v5
	v_dual_mov_b32 v13, v5 :: v_dual_add_nc_u32 v10, 0x400, v3
	v_dual_mov_b32 v15, v5 :: v_dual_add_nc_u32 v12, 0x800, v3
	s_delay_alu instid0(VALU_DEP_3) | instskip(SKIP_1) | instid1(VALU_DEP_4)
	v_lshl_add_u64 v[24:25], v[4:5], 2, s[0:1]
	v_dual_mov_b32 v4, v3 :: v_dual_add_nc_u32 v8, -8, v8
	v_lshl_add_u64 v[10:11], v[10:11], 2, s[0:1]
	v_dual_mov_b32 v17, v5 :: v_dual_add_nc_u32 v14, 0xc00, v3
	s_delay_alu instid0(VALU_DEP_3)
	v_lshl_add_u64 v[26:27], v[4:5], 2, s[0:1]
	v_add_nc_u32_e32 v4, 0x400, v2
	global_load_b32 v1, v[24:25], off
	v_lshl_add_u64 v[12:13], v[12:13], 2, s[0:1]
	v_dual_mov_b32 v19, v5 :: v_dual_add_nc_u32 v16, 0x1000, v3
	global_load_b32 v28, v[26:27], off
	s_wait_xcnt 0x1
	v_lshl_add_u64 v[24:25], v[4:5], 2, s[0:1]
	v_add_nc_u32_e32 v4, 0x800, v2
	s_clause 0x1
	global_load_b32 v29, v[24:25], off
	global_load_b32 v30, v[10:11], off
	s_wait_xcnt 0x2
	v_lshl_add_u64 v[26:27], v[4:5], 2, s[0:1]
	v_add_nc_u32_e32 v4, 0xc00, v2
	s_clause 0x1
	global_load_b32 v24, v[26:27], off
	global_load_b32 v25, v[12:13], off
	s_wait_xcnt 0x2
	v_lshl_add_u64 v[10:11], v[4:5], 2, s[0:1]
	v_add_nc_u32_e32 v4, 0x1000, v2
	v_lshl_add_u64 v[14:15], v[14:15], 2, s[0:1]
	s_clause 0x1
	global_load_b32 v26, v[10:11], off
	global_load_b32 v27, v[14:15], off
	s_wait_xcnt 0x2
	v_lshl_add_u64 v[12:13], v[4:5], 2, s[0:1]
	v_add_nc_u32_e32 v4, 0x1400, v2
	v_dual_mov_b32 v21, v5 :: v_dual_add_nc_u32 v18, 0x1400, v3
	v_lshl_add_u64 v[16:17], v[16:17], 2, s[0:1]
	v_dual_mov_b32 v23, v5 :: v_dual_add_nc_u32 v20, 0x1800, v3
	s_wait_xcnt 0x1
	v_lshl_add_u64 v[10:11], v[4:5], 2, s[0:1]
	v_add_nc_u32_e32 v4, 0x1800, v2
	s_clause 0x1
	global_load_b32 v14, v[12:13], off
	global_load_b32 v15, v[16:17], off
	v_add_nc_u32_e32 v22, 0x1c00, v3
	v_lshl_add_u64 v[18:19], v[18:19], 2, s[0:1]
	v_lshl_add_u64 v[20:21], v[20:21], 2, s[0:1]
	s_wait_xcnt 0x1
	v_lshl_add_u64 v[12:13], v[4:5], 2, s[0:1]
	v_add_nc_u32_e32 v4, 0x1c00, v2
	s_clause 0x1
	global_load_b32 v16, v[10:11], off
	global_load_b32 v17, v[18:19], off
	v_lshl_add_u64 v[22:23], v[22:23], 2, s[0:1]
	s_add_co_i32 s17, s17, 16
	v_cmp_eq_u32_e32 vcc_lo, 0, v8
	s_wait_xcnt 0x1
	v_lshl_add_u64 v[10:11], v[4:5], 2, s[0:1]
	s_clause 0x3
	global_load_b32 v18, v[12:13], off
	global_load_b32 v19, v[20:21], off
	;; [unrolled: 1-line block ×4, first 2 shown]
	v_dual_mov_b32 v4, s17 :: v_dual_add_nc_u32 v3, 0x2000, v3
	v_add_nc_u32_e32 v2, 0x2000, v2
	s_or_b32 s16, vcc_lo, s16
	s_wait_loadcnt 0xe
	ds_store_2addr_stride64_b32 v9, v1, v28 offset1:8
	s_wait_loadcnt 0xc
	ds_store_2addr_stride64_b32 v9, v29, v30 offset0:16 offset1:24
	s_wait_loadcnt 0xa
	ds_store_2addr_stride64_b32 v9, v24, v25 offset0:32 offset1:40
	;; [unrolled: 2-line block ×7, first 2 shown]
	v_add_nc_u32_e32 v9, 0x8000, v9
	s_wait_xcnt 0x0
	s_and_not1_b32 exec_lo, exec_lo, s16
	s_cbranch_execnz .LBB4_4
; %bb.5:
	s_or_b32 exec_lo, exec_lo, s16
.LBB4_6:
	s_delay_alu instid0(SALU_CYCLE_1) | instskip(SKIP_3) | instid1(VALU_DEP_1)
	s_or_b32 exec_lo, exec_lo, s15
	v_and_b32_e32 v1, 7, v7
	s_mov_b32 s16, 0
	s_mov_b32 s15, exec_lo
	v_cmpx_ne_u32_e32 0, v1
	s_cbranch_execz .LBB4_9
; %bb.7:
	v_lshlrev_b32_e32 v5, 2, v0
	s_delay_alu instid0(VALU_DEP_1) | instskip(NEXT) | instid1(VALU_DEP_1)
	v_lshl_or_b32 v4, v4, 11, v5
	v_dual_mov_b32 v5, 0 :: v_dual_add_nc_u32 v7, 0, v4
.LBB4_8:                                ; =>This Inner Loop Header: Depth=1
	v_dual_mov_b32 v4, v2 :: v_dual_add_nc_u32 v1, -1, v1
	v_add_nc_u32_e32 v2, 0x400, v2
	s_delay_alu instid0(VALU_DEP_2) | instskip(SKIP_1) | instid1(VALU_DEP_4)
	v_lshl_add_u64 v[8:9], v[4:5], 2, s[0:1]
	v_dual_mov_b32 v4, v3 :: v_dual_add_nc_u32 v3, 0x400, v3
	v_cmp_eq_u32_e32 vcc_lo, 0, v1
	s_delay_alu instid0(VALU_DEP_2)
	v_lshl_add_u64 v[10:11], v[4:5], 2, s[0:1]
	s_clause 0x1
	global_load_b32 v4, v[8:9], off
	global_load_b32 v12, v[10:11], off
	s_or_b32 s16, vcc_lo, s16
	s_wait_loadcnt 0x0
	ds_store_2addr_stride64_b32 v7, v4, v12 offset1:8
	v_add_nc_u32_e32 v7, 0x1000, v7
	s_and_not1_b32 exec_lo, exec_lo, s16
	s_cbranch_execnz .LBB4_8
.LBB4_9:
	s_or_b32 exec_lo, exec_lo, s15
	v_add_nc_u32_e32 v1, 1, v6
	s_delay_alu instid0(VALU_DEP_1) | instskip(NEXT) | instid1(VALU_DEP_1)
	v_and_b32_e32 v2, 0xfffffe, v1
	v_cmp_ne_u32_e32 vcc_lo, v1, v2
	v_lshl_or_b32 v2, v2, 9, v0
	s_or_not1_b32 s0, vcc_lo, exec_lo
.LBB4_10:
	s_or_b32 exec_lo, exec_lo, s14
	s_delay_alu instid0(SALU_CYCLE_1)
	s_and_b32 exec_lo, exec_lo, s0
	s_cbranch_execz .LBB4_13
; %bb.11:
	v_mov_b32_e32 v3, 0
	s_lshl_b64 s[0:1], s[2:3], 3
	v_lshl_add_u32 v1, v2, 2, 0
	s_add_nc_u64 s[0:1], s[6:7], s[0:1]
	s_delay_alu instid0(VALU_DEP_2) | instid1(SALU_CYCLE_1)
	v_lshl_add_u64 v[4:5], v[2:3], 2, s[0:1]
	s_mov_b32 s0, 0
.LBB4_12:                               ; =>This Inner Loop Header: Depth=1
	global_load_b32 v3, v[4:5], off
	v_add_nc_u32_e32 v2, 0x200, v2
	s_wait_xcnt 0x0
	v_add_nc_u64_e32 v[4:5], 0x800, v[4:5]
	s_delay_alu instid0(VALU_DEP_2)
	v_cmp_le_i32_e32 vcc_lo, s12, v2
	s_or_b32 s0, vcc_lo, s0
	s_wait_loadcnt 0x0
	ds_store_b32 v1, v3
	v_add_nc_u32_e32 v1, 0x800, v1
	s_and_not1_b32 exec_lo, exec_lo, s0
	s_cbranch_execnz .LBB4_12
.LBB4_13:
	s_or_b32 exec_lo, exec_lo, s13
	v_mov_b32_e32 v1, 0
	s_wait_dscnt 0x0
	s_barrier_signal -1
	s_barrier_wait -1
	ds_load_b32 v1, v1
	s_cmp_lt_i32 s10, 2
	s_wait_dscnt 0x0
	v_readfirstlane_b32 s3, v1
	s_cbranch_scc1 .LBB4_21
; %bb.14:
	s_cmp_eq_u32 s10, 2
	s_cbranch_scc1 .LBB4_18
; %bb.15:
	v_dual_mov_b32 v3, s3 :: v_dual_mov_b32 v4, s3
	s_add_co_i32 s1, s10, -1
	s_add_co_i32 s7, 0, 8
	s_and_b32 s3, s1, -2
	s_mov_b32 s6, 2
.LBB4_16:                               ; =>This Inner Loop Header: Depth=1
	v_dual_mov_b32 v1, s7 :: v_dual_mov_b32 v2, v3
	s_cmp_lg_u32 s3, s6
	s_cselect_b32 s12, -1, 0
	ds_load_2addr_b32 v[6:7], v1 offset1:2
	v_dual_mov_b32 v1, v4 :: v_dual_max_num_f32 v5, v2, v2
	s_delay_alu instid0(VALU_DEP_1)
	v_max_num_f32_e32 v3, v1, v1
	s_wait_dscnt 0x0
	v_cmp_u_f32_e32 vcc_lo, v7, v7
	v_max_num_f32_e32 v7, v7, v7
	v_cndmask_b32_e64 v4, 0, 1, vcc_lo
	v_cmp_u_f32_e32 vcc_lo, v6, v6
	v_max_num_f32_e32 v6, v6, v6
	s_delay_alu instid0(VALU_DEP_3) | instskip(SKIP_1) | instid1(VALU_DEP_3)
	v_readfirstlane_b32 s0, v4
	v_cndmask_b32_e64 v8, 0, 1, vcc_lo
	v_dual_max_num_f32 v4, v3, v7 :: v_dual_max_num_f32 v3, v5, v6
	s_lshl_b32 s0, s0, 1
	s_delay_alu instid0(VALU_DEP_2) | instskip(SKIP_1) | instid1(SALU_CYCLE_1)
	v_readfirstlane_b32 s13, v8
	s_or_b32 s0, s13, s0
	s_and_b32 s13, s0, 3
	s_delay_alu instid0(SALU_CYCLE_1)
	s_cmp_lg_u32 s13, 0
	s_cselect_b32 s0, -1, 0
	s_cmp_eq_u32 s13, 0
	s_cselect_b32 s13, -1, 0
	s_add_co_i32 s6, s6, 2
	s_and_b32 s12, s13, s12
	s_add_co_i32 s7, s7, 16
	s_and_b32 vcc_lo, exec_lo, s12
	s_cbranch_vccnz .LBB4_16
; %bb.17:
	v_dual_cndmask_b32 v2, v3, v2, s0 :: v_dual_cndmask_b32 v1, v4, v1, s0
	s_add_co_i32 s6, s6, -4
	s_and_b32 s7, s0, exec_lo
	s_cselect_b32 s6, s6, s1
	s_delay_alu instid0(VALU_DEP_1) | instskip(SKIP_3) | instid1(VALU_DEP_1)
	v_dual_max_num_f32 v2, v2, v2 :: v_dual_max_num_f32 v1, v1, v1
	s_or_b32 s6, s6, 1
	s_cmp_lg_u32 s1, s3
	s_cselect_b32 s1, -1, 0
	v_readfirstlane_b32 s7, v2
	v_readfirstlane_b32 s12, v1
	s_or_b32 s0, s1, s0
	s_max_num_f32 s3, s7, s12
	s_and_b32 vcc_lo, exec_lo, s0
	s_cbranch_vccnz .LBB4_19
	s_branch .LBB4_21
.LBB4_18:
	s_mov_b32 s6, 1
	s_cbranch_execz .LBB4_21
.LBB4_19:
	s_lshl_b32 s1, s6, 3
	s_sub_co_i32 s0, s10, s6
	s_add_co_i32 s1, s1, 0
.LBB4_20:                               ; =>This Inner Loop Header: Depth=1
	s_delay_alu instid0(SALU_CYCLE_1) | instskip(NEXT) | instid1(SALU_CYCLE_1)
	v_mov_b32_e32 v1, s1
	v_max_num_f32_e64 v2, s3, s3
	s_add_co_i32 s0, s0, -1
	s_add_co_i32 s1, s1, 8
	s_cmp_eq_u32 s0, 0
	ds_load_b32 v1, v1
	v_readfirstlane_b32 s3, v2
	s_wait_dscnt 0x0
	v_max_num_f32_e32 v1, v1, v1
	s_delay_alu instid0(VALU_DEP_1)
	v_readfirstlane_b32 s6, v1
	s_max_num_f32 s3, s3, s6
	s_cbranch_scc0 .LBB4_20
.LBB4_21:
	s_cmp_lt_i32 s10, 1
	s_cbranch_scc1 .LBB4_26
; %bb.22:
	s_lshl_b32 s0, s2, 9
	s_delay_alu instid0(SALU_CYCLE_1) | instskip(NEXT) | instid1(SALU_CYCLE_1)
	s_ashr_i32 s1, s0, 31
	s_lshl_b64 s[0:1], s[0:1], 2
	s_cmp_lt_u32 s10, 8
	s_add_nc_u64 s[0:1], s[4:5], s[0:1]
	s_cbranch_scc1 .LBB4_27
; %bb.23:
	v_mov_b32_e32 v2, 0
	v_or_b32_e32 v1, 0xe00, v0
	s_and_b32 s2, s10, 0x7ffffff8
	s_mov_b32 s4, 0
	s_mov_b32 s5, 0
	v_mov_b32_e32 v3, v2
.LBB4_24:                               ; =>This Inner Loop Header: Depth=1
	v_add_nc_u32_e32 v4, 0xfffff200, v1
	v_add_nc_u32_e32 v6, 0xfffff400, v1
	s_clause 0x1
	global_load_b32 v5, v4, s[0:1] scale_offset
	global_load_b32 v7, v6, s[0:1] scale_offset
	s_wait_xcnt 0x1
	v_add_nc_u32_e32 v4, 0xfffff600, v1
	s_wait_xcnt 0x0
	v_add_nc_u32_e32 v6, 0xfffff800, v1
	s_clause 0x1
	global_load_b32 v9, v4, s[0:1] scale_offset
	global_load_b32 v27, v6, s[0:1] scale_offset
	s_wait_xcnt 0x1
	v_add_nc_u32_e32 v4, 0xfffffa00, v1
	s_wait_xcnt 0x0
	v_add_nc_u32_e32 v6, 0xfffffc00, v1
	global_load_b32 v29, v4, s[0:1] scale_offset
	s_wait_xcnt 0x0
	v_add_nc_u32_e32 v4, 0xfffffe00, v1
	s_clause 0x2
	global_load_b32 v31, v6, s[0:1] scale_offset
	global_load_b32 v33, v4, s[0:1] scale_offset
	global_load_b32 v35, v1, s[0:1] scale_offset
	s_wait_xcnt 0x1
	v_mov_b32_e32 v4, s5
	ds_load_2addr_b64 v[10:13], v4 offset1:1
	ds_load_2addr_b64 v[14:17], v4 offset0:2 offset1:3
	ds_load_2addr_b64 v[18:21], v4 offset0:4 offset1:5
	ds_load_2addr_b64 v[22:25], v4 offset0:6 offset1:7
	s_wait_xcnt 0x0
	v_add_nc_u32_e32 v1, 0x1000, v1
	s_wait_dscnt 0x3
	v_readfirstlane_b32 s6, v10
	v_readfirstlane_b32 s7, v12
	s_wait_dscnt 0x2
	v_readfirstlane_b32 s12, v14
	v_dual_mov_b32 v4, v11 :: v_dual_mov_b32 v8, v15
	s_sub_f32 s6, s6, s3
	s_sub_f32 s7, s7, s3
	;; [unrolled: 1-line block ×3, first 2 shown]
	v_readfirstlane_b32 s13, v16
	s_mul_f32 s18, s6, 0x3fb8aa3b
	s_mul_f32 s19, s7, 0x3fb8aa3b
	;; [unrolled: 1-line block ×3, first 2 shown]
	s_wait_dscnt 0x1
	v_readfirstlane_b32 s14, v18
	s_xor_b32 s26, s18, 0x80000000
	s_rndne_f32 s27, s18
	s_fmamk_f32 s26, s6, 0x3fb8aa3b, s26
	s_cmp_nlt_f32 s6, 0xc2ce8ed0
	s_rndne_f32 s28, s19
	s_sub_f32 s18, s18, s27
	s_fmamk_f32 s26, s6, 0x32a5705f, s26
	s_cvt_i32_f32 s27, s27
	s_cselect_b32 vcc_lo, -1, 0
	s_cmp_ngt_f32 s6, 0x42b17218
	s_add_f32 s18, s18, s26
	s_sub_f32 s36, s19, s28
	s_cvt_i32_f32 s28, s28
	s_rndne_f32 s29, s20
	v_s_exp_f32 s18, s18
	s_sub_f32 s13, s13, s3
	s_sub_f32 s14, s14, s3
	;; [unrolled: 1-line block ×3, first 2 shown]
	s_cvt_i32_f32 s29, s29
	s_mul_f32 s21, s13, 0x3fb8aa3b
	s_mul_f32 s22, s14, 0x3fb8aa3b
	v_readfirstlane_b32 s15, v20
	v_ldexp_f32 v10, s18, s27
	s_rndne_f32 s30, s21
	s_rndne_f32 s31, s22
	s_wait_dscnt 0x0
	v_readfirstlane_b32 s16, v22
	s_sub_f32 s15, s15, s3
	v_cndmask_b32_e32 v10, 0, v10, vcc_lo
	s_cselect_b32 vcc_lo, -1, 0
	s_xor_b32 s6, s19, 0x80000000
	s_cmp_nlt_f32 s7, 0xc2ce8ed0
	s_fmamk_f32 s6, s7, 0x3fb8aa3b, s6
	v_cndmask_b32_e32 v10, 0x7f800000, v10, vcc_lo
	s_sub_f32 s38, s21, s30
	s_cselect_b32 vcc_lo, -1, 0
	s_fmamk_f32 s6, s7, 0x32a5705f, s6
	s_cmp_ngt_f32 s7, 0x42b17218
	s_cvt_i32_f32 s30, s30
	s_sub_f32 s39, s22, s31
	s_add_f32 s6, s36, s6
	s_cvt_i32_f32 s31, s31
	s_mul_f32 s23, s15, 0x3fb8aa3b
	s_sub_f32 s16, s16, s3
	v_s_exp_f32 s6, s6
	v_readfirstlane_b32 s17, v24
	s_rndne_f32 s33, s23
	s_mul_f32 s24, s16, 0x3fb8aa3b
	v_dual_mov_b32 v6, v13 :: v_dual_mov_b32 v26, v17
	v_mov_b32_e32 v28, v19
	s_sub_f32 s40, s23, s33
	s_delay_alu instid0(TRANS32_DEP_1)
	v_ldexp_f32 v11, s6, s28
	s_cvt_i32_f32 s33, s33
	s_rndne_f32 s34, s24
	s_sub_f32 s17, s17, s3
	v_dual_mov_b32 v30, v21 :: v_dual_mov_b32 v32, v23
	v_cndmask_b32_e32 v11, 0, v11, vcc_lo
	s_cselect_b32 vcc_lo, -1, 0
	s_xor_b32 s6, s20, 0x80000000
	s_cmp_nlt_f32 s12, 0xc2ce8ed0
	s_fmamk_f32 s6, s12, 0x3fb8aa3b, s6
	v_cndmask_b32_e32 v12, 0x7f800000, v11, vcc_lo
	s_sub_f32 s41, s24, s34
	s_cselect_b32 vcc_lo, -1, 0
	s_fmamk_f32 s6, s12, 0x32a5705f, s6
	s_cmp_ngt_f32 s12, 0x42b17218
	s_cvt_i32_f32 s34, s34
	s_mul_f32 s25, s17, 0x3fb8aa3b
	s_add_f32 s6, s37, s6
	v_mov_b32_e32 v34, v25
	s_delay_alu instid0(SALU_CYCLE_1) | instskip(NEXT) | instid1(SALU_CYCLE_1)
	s_rndne_f32 s35, s25
	v_s_exp_f32 s6, s6
	s_delay_alu instid0(SALU_CYCLE_2) | instskip(SKIP_2) | instid1(TRANS32_DEP_1)
	s_sub_f32 s42, s25, s35
	s_cvt_i32_f32 s35, s35
	v_nop
	v_ldexp_f32 v11, s6, s29
	s_delay_alu instid0(VALU_DEP_1)
	v_cndmask_b32_e32 v11, 0, v11, vcc_lo
	s_cselect_b32 vcc_lo, -1, 0
	s_xor_b32 s6, s21, 0x80000000
	s_cmp_nlt_f32 s13, 0xc2ce8ed0
	s_fmamk_f32 s6, s13, 0x3fb8aa3b, s6
	v_cndmask_b32_e32 v14, 0x7f800000, v11, vcc_lo
	s_cselect_b32 vcc_lo, -1, 0
	s_delay_alu instid0(SALU_CYCLE_1) | instskip(SKIP_1) | instid1(SALU_CYCLE_2)
	s_fmamk_f32 s6, s13, 0x32a5705f, s6
	s_cmp_ngt_f32 s13, 0x42b17218
	s_add_f32 s6, s38, s6
	s_delay_alu instid0(SALU_CYCLE_3) | instskip(SKIP_1) | instid1(TRANS32_DEP_1)
	v_s_exp_f32 s6, s6
	v_nop
	v_ldexp_f32 v11, s6, s30
	s_delay_alu instid0(VALU_DEP_1)
	v_cndmask_b32_e32 v11, 0, v11, vcc_lo
	s_cselect_b32 vcc_lo, -1, 0
	s_xor_b32 s6, s22, 0x80000000
	s_cmp_nlt_f32 s14, 0xc2ce8ed0
	s_fmamk_f32 s6, s14, 0x3fb8aa3b, s6
	v_cndmask_b32_e32 v16, 0x7f800000, v11, vcc_lo
	s_cselect_b32 vcc_lo, -1, 0
	s_delay_alu instid0(SALU_CYCLE_1) | instskip(SKIP_1) | instid1(SALU_CYCLE_2)
	s_fmamk_f32 s6, s14, 0x32a5705f, s6
	s_cmp_ngt_f32 s14, 0x42b17218
	s_add_f32 s6, s39, s6
	s_delay_alu instid0(SALU_CYCLE_3) | instskip(SKIP_1) | instid1(TRANS32_DEP_1)
	v_s_exp_f32 s6, s6
	;; [unrolled: 16-line block ×4, first 2 shown]
	v_nop
	v_ldexp_f32 v11, s6, s34
	s_delay_alu instid0(VALU_DEP_1) | instskip(SKIP_4) | instid1(SALU_CYCLE_3)
	v_cndmask_b32_e32 v11, 0, v11, vcc_lo
	s_cselect_b32 vcc_lo, -1, 0
	s_xor_b32 s6, s25, 0x80000000
	s_cmp_nlt_f32 s17, 0xc2ce8ed0
	s_fmamk_f32 s6, s17, 0x3fb8aa3b, s6
	s_fmamk_f32 s6, s17, 0x32a5705f, s6
	s_delay_alu instid0(SALU_CYCLE_3) | instskip(NEXT) | instid1(SALU_CYCLE_3)
	s_add_f32 s6, s42, s6
	v_s_exp_f32 s6, s6
	s_wait_loadcnt 0x7
	v_pk_fma_f32 v[2:3], v[10:11], v[4:5], v[2:3] op_sel_hi:[0,1,1]
	s_delay_alu instid0(TRANS32_DEP_1)
	v_ldexp_f32 v5, s6, s35
	v_cndmask_b32_e32 v4, 0x7f800000, v11, vcc_lo
	s_cselect_b32 vcc_lo, -1, 0
	s_cmp_ngt_f32 s17, 0x42b17218
	s_wait_loadcnt 0x6
	v_pk_fma_f32 v[2:3], v[12:13], v[6:7], v[2:3] op_sel_hi:[0,1,1]
	v_cndmask_b32_e32 v5, 0, v5, vcc_lo
	s_cselect_b32 vcc_lo, -1, 0
	s_add_co_i32 s4, s4, 8
	s_wait_loadcnt 0x5
	v_pk_fma_f32 v[2:3], v[14:15], v[8:9], v[2:3] op_sel_hi:[0,1,1]
	v_cndmask_b32_e32 v6, 0x7f800000, v5, vcc_lo
	s_add_co_i32 s5, s5, 64
	s_cmp_eq_u32 s2, s4
	s_wait_loadcnt 0x4
	v_pk_fma_f32 v[2:3], v[16:17], v[26:27], v[2:3] op_sel_hi:[0,1,1]
	s_wait_loadcnt 0x3
	s_delay_alu instid0(VALU_DEP_1) | instskip(SKIP_1) | instid1(VALU_DEP_1)
	v_pk_fma_f32 v[2:3], v[18:19], v[28:29], v[2:3] op_sel_hi:[0,1,1]
	s_wait_loadcnt 0x2
	v_pk_fma_f32 v[2:3], v[20:21], v[30:31], v[2:3] op_sel_hi:[0,1,1]
	s_wait_loadcnt 0x1
	s_delay_alu instid0(VALU_DEP_1) | instskip(SKIP_1) | instid1(VALU_DEP_1)
	v_pk_fma_f32 v[2:3], v[4:5], v[32:33], v[2:3] op_sel_hi:[0,1,1]
	s_wait_loadcnt 0x0
	v_pk_fma_f32 v[2:3], v[6:7], v[34:35], v[2:3] op_sel_hi:[0,1,1]
	s_cbranch_scc0 .LBB4_24
; %bb.25:
	s_and_b32 s4, s10, 7
	s_delay_alu instid0(SALU_CYCLE_1)
	s_cmp_eq_u32 s4, 0
	s_cbranch_scc0 .LBB4_28
	s_branch .LBB4_30
.LBB4_26:
	v_mov_b32_e32 v1, 0x7fc00000
	s_branch .LBB4_31
.LBB4_27:
	v_mov_b64_e32 v[2:3], 0
	s_mov_b32 s2, 0
	s_and_b32 s4, s10, 7
	s_delay_alu instid0(SALU_CYCLE_1)
	s_cmp_eq_u32 s4, 0
	s_cbranch_scc1 .LBB4_30
.LBB4_28:
	v_lshl_or_b32 v1, s2, 9, v0
	s_lshl_b32 s2, s2, 3
	s_delay_alu instid0(SALU_CYCLE_1)
	s_add_co_i32 s2, s2, 0
.LBB4_29:                               ; =>This Inner Loop Header: Depth=1
	global_load_b32 v5, v1, s[0:1] scale_offset
	s_wait_xcnt 0x0
	v_dual_mov_b32 v4, s2 :: v_dual_add_nc_u32 v1, 0x200, v1
	ds_load_b64 v[6:7], v4
	s_wait_dscnt 0x0
	v_readfirstlane_b32 s5, v6
	s_sub_f32 s5, s5, s3
	s_delay_alu instid0(SALU_CYCLE_3) | instskip(NEXT) | instid1(SALU_CYCLE_3)
	s_mul_f32 s6, s5, 0x3fb8aa3b
	s_xor_b32 s7, s6, 0x80000000
	s_rndne_f32 s10, s6
	s_fmamk_f32 s7, s5, 0x3fb8aa3b, s7
	s_cmp_nlt_f32 s5, 0xc2ce8ed0
	s_delay_alu instid0(SALU_CYCLE_1) | instskip(NEXT) | instid1(SALU_CYCLE_1)
	s_sub_f32 s6, s6, s10
	s_fmamk_f32 s7, s5, 0x32a5705f, s7
	s_cselect_b32 vcc_lo, -1, 0
	s_cmp_ngt_f32 s5, 0x42b17218
	s_delay_alu instid0(SALU_CYCLE_1) | instskip(SKIP_1) | instid1(SALU_CYCLE_2)
	s_add_f32 s6, s6, s7
	s_cvt_i32_f32 s7, s10
	v_s_exp_f32 s6, s6
	v_nop
	s_delay_alu instid0(TRANS32_DEP_1) | instid1(SALU_CYCLE_1)
	v_ldexp_f32 v4, s6, s7
	s_delay_alu instid0(VALU_DEP_1) | instskip(SKIP_3) | instid1(VALU_DEP_1)
	v_dual_cndmask_b32 v6, 0, v4, vcc_lo :: v_dual_mov_b32 v4, v7
	s_cselect_b32 vcc_lo, -1, 0
	s_add_co_i32 s4, s4, -1
	s_add_co_i32 s2, s2, 8
	v_cndmask_b32_e32 v6, 0x7f800000, v6, vcc_lo
	s_cmp_lg_u32 s4, 0
	s_wait_loadcnt 0x0
	s_delay_alu instid0(VALU_DEP_1)
	v_pk_fma_f32 v[2:3], v[6:7], v[4:5], v[2:3] op_sel_hi:[0,1,1]
	s_cbranch_scc1 .LBB4_29
.LBB4_30:
	s_delay_alu instid0(VALU_DEP_1) | instskip(NEXT) | instid1(VALU_DEP_1)
	v_div_scale_f32 v1, null, v2, v2, v3
	v_rcp_f32_e32 v4, v1
	v_nop
	s_delay_alu instid0(TRANS32_DEP_1) | instskip(NEXT) | instid1(VALU_DEP_1)
	v_fma_f32 v5, -v1, v4, 1.0
	v_fmac_f32_e32 v4, v5, v4
	v_div_scale_f32 v5, vcc_lo, v3, v2, v3
	s_delay_alu instid0(VALU_DEP_1) | instskip(NEXT) | instid1(VALU_DEP_1)
	v_mul_f32_e32 v6, v5, v4
	v_fma_f32 v7, -v1, v6, v5
	s_delay_alu instid0(VALU_DEP_1) | instskip(NEXT) | instid1(VALU_DEP_1)
	v_fmac_f32_e32 v6, v7, v4
	v_fma_f32 v1, -v1, v6, v5
	s_delay_alu instid0(VALU_DEP_1) | instskip(NEXT) | instid1(VALU_DEP_1)
	v_div_fmas_f32 v1, v1, v4, v6
	v_div_fixup_f32 v1, v1, v2, v3
.LBB4_31:
	s_lshl_b32 s0, s11, 9
	s_delay_alu instid0(SALU_CYCLE_1) | instskip(NEXT) | instid1(SALU_CYCLE_1)
	s_ashr_i32 s1, s0, 31
	s_lshl_b64 s[0:1], s[0:1], 2
	s_delay_alu instid0(SALU_CYCLE_1)
	s_add_nc_u64 s[0:1], s[8:9], s[0:1]
	global_store_b32 v0, v1, s[0:1] scale_offset
	s_endpgm
	.section	.rodata,"a",@progbits
	.p2align	6, 0x0
	.amdhsa_kernel _ZL26flash_attn_combine_resultsILi512EEvPKfPK15HIP_vector_typeIfLj2EEPfi
		.amdhsa_group_segment_fixed_size 0
		.amdhsa_private_segment_fixed_size 0
		.amdhsa_kernarg_size 288
		.amdhsa_user_sgpr_count 2
		.amdhsa_user_sgpr_dispatch_ptr 0
		.amdhsa_user_sgpr_queue_ptr 0
		.amdhsa_user_sgpr_kernarg_segment_ptr 1
		.amdhsa_user_sgpr_dispatch_id 0
		.amdhsa_user_sgpr_kernarg_preload_length 0
		.amdhsa_user_sgpr_kernarg_preload_offset 0
		.amdhsa_user_sgpr_private_segment_size 0
		.amdhsa_wavefront_size32 1
		.amdhsa_uses_dynamic_stack 0
		.amdhsa_enable_private_segment 0
		.amdhsa_system_sgpr_workgroup_id_x 1
		.amdhsa_system_sgpr_workgroup_id_y 1
		.amdhsa_system_sgpr_workgroup_id_z 1
		.amdhsa_system_sgpr_workgroup_info 0
		.amdhsa_system_vgpr_workitem_id 0
		.amdhsa_next_free_vgpr 36
		.amdhsa_next_free_sgpr 43
		.amdhsa_named_barrier_count 0
		.amdhsa_reserve_vcc 1
		.amdhsa_float_round_mode_32 0
		.amdhsa_float_round_mode_16_64 0
		.amdhsa_float_denorm_mode_32 3
		.amdhsa_float_denorm_mode_16_64 3
		.amdhsa_fp16_overflow 0
		.amdhsa_memory_ordered 1
		.amdhsa_forward_progress 1
		.amdhsa_inst_pref_size 29
		.amdhsa_round_robin_scheduling 0
		.amdhsa_exception_fp_ieee_invalid_op 0
		.amdhsa_exception_fp_denorm_src 0
		.amdhsa_exception_fp_ieee_div_zero 0
		.amdhsa_exception_fp_ieee_overflow 0
		.amdhsa_exception_fp_ieee_underflow 0
		.amdhsa_exception_fp_ieee_inexact 0
		.amdhsa_exception_int_div_zero 0
	.end_amdhsa_kernel
	.section	.text._ZL26flash_attn_combine_resultsILi512EEvPKfPK15HIP_vector_typeIfLj2EEPfi,"axG",@progbits,_ZL26flash_attn_combine_resultsILi512EEvPKfPK15HIP_vector_typeIfLj2EEPfi,comdat
.Lfunc_end4:
	.size	_ZL26flash_attn_combine_resultsILi512EEvPKfPK15HIP_vector_typeIfLj2EEPfi, .Lfunc_end4-_ZL26flash_attn_combine_resultsILi512EEvPKfPK15HIP_vector_typeIfLj2EEPfi
                                        ; -- End function
	.set _ZL26flash_attn_combine_resultsILi512EEvPKfPK15HIP_vector_typeIfLj2EEPfi.num_vgpr, 36
	.set _ZL26flash_attn_combine_resultsILi512EEvPKfPK15HIP_vector_typeIfLj2EEPfi.num_agpr, 0
	.set _ZL26flash_attn_combine_resultsILi512EEvPKfPK15HIP_vector_typeIfLj2EEPfi.numbered_sgpr, 43
	.set _ZL26flash_attn_combine_resultsILi512EEvPKfPK15HIP_vector_typeIfLj2EEPfi.num_named_barrier, 0
	.set _ZL26flash_attn_combine_resultsILi512EEvPKfPK15HIP_vector_typeIfLj2EEPfi.private_seg_size, 0
	.set _ZL26flash_attn_combine_resultsILi512EEvPKfPK15HIP_vector_typeIfLj2EEPfi.uses_vcc, 1
	.set _ZL26flash_attn_combine_resultsILi512EEvPKfPK15HIP_vector_typeIfLj2EEPfi.uses_flat_scratch, 0
	.set _ZL26flash_attn_combine_resultsILi512EEvPKfPK15HIP_vector_typeIfLj2EEPfi.has_dyn_sized_stack, 0
	.set _ZL26flash_attn_combine_resultsILi512EEvPKfPK15HIP_vector_typeIfLj2EEPfi.has_recursion, 0
	.set _ZL26flash_attn_combine_resultsILi512EEvPKfPK15HIP_vector_typeIfLj2EEPfi.has_indirect_call, 0
	.section	.AMDGPU.csdata,"",@progbits
; Kernel info:
; codeLenInByte = 3600
; TotalNumSgprs: 45
; NumVgprs: 36
; ScratchSize: 0
; MemoryBound: 0
; FloatMode: 240
; IeeeMode: 1
; LDSByteSize: 0 bytes/workgroup (compile time only)
; SGPRBlocks: 0
; VGPRBlocks: 2
; NumSGPRsForWavesPerEU: 45
; NumVGPRsForWavesPerEU: 36
; NamedBarCnt: 0
; Occupancy: 16
; WaveLimiterHint : 0
; COMPUTE_PGM_RSRC2:SCRATCH_EN: 0
; COMPUTE_PGM_RSRC2:USER_SGPR: 2
; COMPUTE_PGM_RSRC2:TRAP_HANDLER: 0
; COMPUTE_PGM_RSRC2:TGID_X_EN: 1
; COMPUTE_PGM_RSRC2:TGID_Y_EN: 1
; COMPUTE_PGM_RSRC2:TGID_Z_EN: 1
; COMPUTE_PGM_RSRC2:TIDIG_COMP_CNT: 0
	.section	.text._ZL15flash_attn_tileILi576ELi512ELi1ELi16ELb0EEvPKcS1_S1_S1_S1_PKiPfP15HIP_vector_typeIfLj2EEffffjfiS5_IjLj3EEiiiiiiiiiiiliiliiiiil,"axG",@progbits,_ZL15flash_attn_tileILi576ELi512ELi1ELi16ELb0EEvPKcS1_S1_S1_S1_PKiPfP15HIP_vector_typeIfLj2EEffffjfiS5_IjLj3EEiiiiiiiiiiiliiliiiiil,comdat
	.globl	_ZL15flash_attn_tileILi576ELi512ELi1ELi16ELb0EEvPKcS1_S1_S1_S1_PKiPfP15HIP_vector_typeIfLj2EEffffjfiS5_IjLj3EEiiiiiiiiiiiliiliiiiil ; -- Begin function _ZL15flash_attn_tileILi576ELi512ELi1ELi16ELb0EEvPKcS1_S1_S1_S1_PKiPfP15HIP_vector_typeIfLj2EEffffjfiS5_IjLj3EEiiiiiiiiiiiliiliiiiil
	.p2align	8
	.type	_ZL15flash_attn_tileILi576ELi512ELi1ELi16ELb0EEvPKcS1_S1_S1_S1_PKiPfP15HIP_vector_typeIfLj2EEffffjfiS5_IjLj3EEiiiiiiiiiiiliiliiiiil,@function
_ZL15flash_attn_tileILi576ELi512ELi1ELi16ELb0EEvPKcS1_S1_S1_S1_PKiPfP15HIP_vector_typeIfLj2EEffffjfiS5_IjLj3EEiiiiiiiiiiiliiliiiiil: ; @_ZL15flash_attn_tileILi576ELi512ELi1ELi16ELb0EEvPKcS1_S1_S1_S1_PKiPfP15HIP_vector_typeIfLj2EEffffjfiS5_IjLj3EEiiiiiiiiiiiliiliiiiil
; %bb.0:
	s_clause 0x1
	s_load_b128 s[20:23], s[0:1], 0x5c
	s_load_b64 s[30:31], s[0:1], 0x80
	s_bfe_u32 s5, ttmp6, 0x40014
	s_lshr_b32 s4, ttmp7, 16
	s_add_co_i32 s5, s5, 1
	s_bfe_u32 s6, ttmp6, 0x40008
	s_mul_i32 s5, s4, s5
	s_getreg_b32 s24, hwreg(HW_REG_IB_STS2, 6, 4)
	s_add_co_i32 s6, s6, s5
	s_load_b64 s[36:37], s[0:1], 0xb8
	s_mov_b64 s[34:35], 0
	s_wait_kmcnt 0x0
	s_ashr_i32 s2, s23, 31
	s_delay_alu instid0(SALU_CYCLE_1) | instskip(NEXT) | instid1(SALU_CYCLE_1)
	s_lshr_b32 s2, s2, 28
	s_add_co_i32 s2, s23, s2
	s_delay_alu instid0(SALU_CYCLE_1) | instskip(NEXT) | instid1(SALU_CYCLE_1)
	s_ashr_i32 s2, s2, 4
	s_cvt_f32_u32 s3, s2
	s_sub_co_i32 s7, 0, s2
	s_delay_alu instid0(SALU_CYCLE_2) | instskip(SKIP_1) | instid1(TRANS32_DEP_1)
	v_rcp_iflag_f32_e32 v1, s3
	v_nop
	v_readfirstlane_b32 s3, v1
	s_mul_f32 s3, s3, 0x4f7ffffe
	s_delay_alu instid0(SALU_CYCLE_3) | instskip(NEXT) | instid1(SALU_CYCLE_3)
	s_cvt_u32_f32 s3, s3
	s_mul_i32 s7, s7, s3
	s_delay_alu instid0(SALU_CYCLE_1) | instskip(NEXT) | instid1(SALU_CYCLE_1)
	s_mul_hi_u32 s7, s3, s7
	s_add_co_i32 s3, s3, s7
	s_cmp_eq_u32 s24, 0
	s_cselect_b32 s4, s4, s6
	s_delay_alu instid0(SALU_CYCLE_1) | instskip(NEXT) | instid1(SALU_CYCLE_1)
	s_mul_hi_u32 s3, s4, s3
	s_mul_i32 s5, s3, s2
	s_add_co_i32 s6, s3, 1
	s_sub_co_i32 s5, s4, s5
	s_delay_alu instid0(SALU_CYCLE_1)
	s_sub_co_i32 s7, s5, s2
	s_cmp_ge_u32 s5, s2
	s_cselect_b32 s3, s6, s3
	s_cselect_b32 s5, s7, s5
	s_add_co_i32 s6, s3, 1
	s_cmp_ge_u32 s5, s2
	s_cselect_b32 s28, s6, s3
	s_abs_i32 s2, s31
	s_abs_i32 s7, s23
	s_cvt_f32_u32 s3, s2
	s_sub_co_i32 s5, 0, s2
	s_lshl_b32 s4, s4, 4
	s_mul_i32 s6, s28, s23
	v_rcp_iflag_f32_e32 v1, s3
	s_sub_co_i32 s33, s4, s6
	s_xor_b32 s4, s23, s31
	s_delay_alu instid0(SALU_CYCLE_1) | instskip(SKIP_1) | instid1(TRANS32_DEP_1)
	s_ashr_i32 s25, s4, 31
	v_nop
	v_readfirstlane_b32 s3, v1
	s_mul_f32 s3, s3, 0x4f7ffffe
	s_delay_alu instid0(SALU_CYCLE_3) | instskip(NEXT) | instid1(SALU_CYCLE_3)
	s_cvt_u32_f32 s3, s3
	s_mul_i32 s5, s5, s3
	s_delay_alu instid0(SALU_CYCLE_1) | instskip(NEXT) | instid1(SALU_CYCLE_1)
	s_mul_hi_u32 s5, s3, s5
	s_add_co_i32 s3, s3, s5
	s_delay_alu instid0(SALU_CYCLE_1) | instskip(NEXT) | instid1(SALU_CYCLE_1)
	s_mul_hi_u32 s3, s7, s3
	s_mul_i32 s5, s3, s2
	s_delay_alu instid0(SALU_CYCLE_1)
	s_sub_co_i32 s4, s7, s5
	s_add_co_i32 s5, s3, 1
	s_sub_co_i32 s6, s4, s2
	s_cmp_ge_u32 s4, s2
	s_cselect_b32 s3, s5, s3
	s_cselect_b32 s4, s6, s4
	s_add_co_i32 s5, s3, 1
	s_cmp_ge_u32 s4, s2
	s_cselect_b32 s2, s5, s3
	s_load_b512 s[4:19], s[0:1], 0x0
	s_xor_b32 s2, s2, s25
	s_mov_b32 s3, 0
	s_sub_co_i32 s29, s2, s25
	s_delay_alu instid0(SALU_CYCLE_1) | instskip(NEXT) | instid1(SALU_CYCLE_1)
	s_abs_i32 s38, s29
	s_cvt_f32_u32 s2, s38
	s_delay_alu instid0(SALU_CYCLE_3) | instskip(SKIP_1) | instid1(TRANS32_DEP_1)
	v_rcp_iflag_f32_e32 v1, s2
	v_nop
	v_readfirstlane_b32 s39, v1
	s_wait_kmcnt 0x0
	s_cmp_eq_u64 s[10:11], 0
	s_cbranch_scc1 .LBB5_2
; %bb.1:
	s_abs_i32 s2, s36
	s_abs_i32 s31, s28
	s_cvt_f32_u32 s25, s2
	s_sub_co_i32 s26, 0, s2
	s_delay_alu instid0(SALU_CYCLE_2) | instskip(SKIP_1) | instid1(TRANS32_DEP_1)
	v_rcp_iflag_f32_e32 v1, s25
	v_nop
	v_readfirstlane_b32 s25, v1
	s_mul_f32 s25, s25, 0x4f7ffffe
	s_delay_alu instid0(SALU_CYCLE_3) | instskip(NEXT) | instid1(SALU_CYCLE_3)
	s_cvt_u32_f32 s25, s25
	s_mul_i32 s26, s26, s25
	s_delay_alu instid0(SALU_CYCLE_1) | instskip(NEXT) | instid1(SALU_CYCLE_1)
	s_mul_hi_u32 s26, s25, s26
	s_add_co_i32 s25, s25, s26
	s_load_b64 s[26:27], s[0:1], 0xc8
	s_mul_hi_u32 s25, s31, s25
	s_delay_alu instid0(SALU_CYCLE_1) | instskip(NEXT) | instid1(SALU_CYCLE_1)
	s_mul_i32 s25, s25, s2
	s_sub_co_i32 s25, s31, s25
	s_ashr_i32 s31, s28, 31
	s_sub_co_i32 s34, s25, s2
	s_cmp_ge_u32 s25, s2
	s_cselect_b32 s25, s34, s25
	s_delay_alu instid0(SALU_CYCLE_1) | instskip(SKIP_2) | instid1(SALU_CYCLE_1)
	s_sub_co_i32 s34, s25, s2
	s_cmp_ge_u32 s25, s2
	s_cselect_b32 s2, s34, s25
	s_xor_b32 s2, s2, s31
	s_delay_alu instid0(SALU_CYCLE_1) | instskip(NEXT) | instid1(SALU_CYCLE_1)
	s_sub_co_i32 s34, s2, s31
	s_ashr_i32 s35, s34, 31
	s_wait_kmcnt 0x0
	s_mul_u64 s[26:27], s[26:27], s[34:35]
	s_delay_alu instid0(SALU_CYCLE_1)
	s_add_nc_u64 s[34:35], s[10:11], s[26:27]
.LBB5_2:
	s_bfe_u32 s2, ttmp6, 0x4000c
	v_dual_lshrrev_b32 v1, 10, v0 :: v_dual_mov_b32 v3, 0
	s_add_co_i32 s2, s2, 1
	s_and_b32 s10, ttmp6, 15
	s_mul_i32 s2, ttmp9, s2
	s_delay_alu instid0(VALU_DEP_1)
	v_bfe_u32 v1, v1, 3, 7
	s_add_co_i32 s10, s10, s2
	s_cmp_eq_u32 s24, 0
	v_bfe_u32 v6, v0, 10, 10
	s_cselect_b32 s25, ttmp9, s10
	s_clause 0x1
	s_load_b96 s[40:42], s[0:1], 0x70
	s_load_b32 s2, s[0:1], 0x40
	v_add_nc_u32_e32 v38, s25, v1
	v_mul_u32_u24_e32 v40, 0x900, v6
	v_dual_mov_b32 v13, v3 :: v_dual_lshlrev_b32 v8, 1, v6
	s_delay_alu instid0(VALU_DEP_3) | instskip(NEXT) | instid1(VALU_DEP_1)
	v_mul_hi_u32 v1, s20, v38
	v_dual_add_nc_u32 v1, v38, v1 :: v_dual_bitop2_b32 v12, 14, v8 bitop3:0x40
	s_wait_kmcnt 0x0
	s_mul_i32 s20, s33, s41
	s_ashr_i32 s11, s41, 31
	s_mov_b32 s10, s41
	v_lshrrev_b32_e32 v1, s21, v1
	s_ashr_i32 s41, s40, 31
	s_lshr_b64 s[10:11], s[10:11], 2
	s_lshr_b64 s[26:27], s[40:41], 2
	s_ashr_i32 s21, s20, 31
	v_mul_lo_u32 v1, v1, s22
	v_mul_u64_e32 v[10:11], s[10:11], v[12:13]
	v_and_b32_e32 v13, 0x3ff, v0
	s_delay_alu instid0(VALU_DEP_1) | instskip(SKIP_2) | instid1(VALU_DEP_3)
	v_dual_lshlrev_b32 v0, 4, v13 :: v_dual_lshlrev_b32 v7, 3, v13
	v_cmp_gt_u32_e32 vcc_lo, 16, v13
	v_dual_mov_b32 v1, v3 :: v_dual_sub_nc_u32 v2, v38, v1
	v_mad_u32_u24 v9, 0x900, v6, v7
	s_delay_alu instid0(VALU_DEP_2) | instskip(SKIP_1) | instid1(SALU_CYCLE_1)
	v_mul_u64_e32 v[4:5], s[26:27], v[2:3]
	s_mul_i32 s26, s28, s42
	s_ashr_i32 s27, s26, 31
	s_delay_alu instid0(SALU_CYCLE_1) | instskip(NEXT) | instid1(SALU_CYCLE_1)
	s_add_nc_u64 s[4:5], s[4:5], s[26:27]
	s_add_nc_u64 s[4:5], s[4:5], s[20:21]
	s_delay_alu instid0(VALU_DEP_1) | instid1(SALU_CYCLE_1)
	v_lshl_add_u64 v[4:5], v[4:5], 2, s[4:5]
	s_delay_alu instid0(VALU_DEP_1) | instskip(NEXT) | instid1(VALU_DEP_1)
	v_add_nc_u64_e32 v[0:1], v[4:5], v[0:1]
	v_lshl_add_u64 v[4:5], v[10:11], 2, v[0:1]
	s_clause 0x3
	global_load_b128 v[14:17], v[4:5], off
	global_load_b128 v[18:21], v[4:5], off offset:512
	global_load_b128 v[22:25], v[4:5], off offset:1024
	global_load_b128 v[26:29], v[4:5], off offset:1536
	s_wait_loadcnt 0x3
	v_fma_mixlo_f16 v10, s2, v14, 0
	v_fma_mixlo_f16 v11, s2, v15, 0
	v_fma_mixlo_f16 v14, s2, v16, 0
	v_fma_mixlo_f16 v15, s2, v17, 0
	s_wait_loadcnt 0x2
	v_fma_mixlo_f16 v16, s2, v18, 0
	v_fma_mixlo_f16 v17, s2, v19, 0
	v_fma_mixlo_f16 v18, s2, v20, 0
	v_fma_mixlo_f16 v19, s2, v21, 0
	;; [unrolled: 5-line block ×3, first 2 shown]
	s_wait_loadcnt 0x0
	v_fma_mixlo_f16 v24, s2, v26, 0
	v_fma_mixlo_f16 v25, s2, v27, 0
	;; [unrolled: 1-line block ×3, first 2 shown]
	v_dual_lshlrev_b32 v11, 16, v11 :: v_dual_lshlrev_b32 v17, 16, v17
	v_and_b32_e32 v10, 0xffff, v10
	v_dual_lshlrev_b32 v15, 16, v15 :: v_dual_lshlrev_b32 v21, 16, v21
	v_and_b32_e32 v14, 0xffff, v14
	v_and_b32_e32 v16, 0xffff, v16
	v_fma_mixlo_f16 v26, s2, v28, 0
	v_dual_lshlrev_b32 v19, 16, v19 :: v_dual_lshlrev_b32 v25, 16, v25
	v_and_b32_e32 v18, 0xffff, v18
	v_and_b32_e32 v20, 0xffff, v20
	;; [unrolled: 1-line block ×3, first 2 shown]
	v_dual_lshlrev_b32 v23, 16, v23 :: v_dual_bitop2_b32 v10, v11, v10 bitop3:0x54
	v_lshlrev_b32_e32 v27, 16, v27
	v_or3_b32 v11, v15, v14, 0
	v_or_b32_e32 v14, v17, v16
	v_and_b32_e32 v22, 0xffff, v22
	v_and_b32_e32 v26, 0xffff, v26
	v_or3_b32 v15, v19, v18, 0
	v_or_b32_e32 v16, v21, v20
	v_or_b32_e32 v18, v25, v24
	v_or3_b32 v10, 0, 0, v10
	v_or3_b32 v14, 0, 0, v14
	;; [unrolled: 1-line block ×6, first 2 shown]
	ds_store_2addr_b64 v9, v[10:11], v[14:15] offset1:32
	ds_store_2addr_b64 v9, v[16:17], v[18:19] offset0:64 offset1:96
	s_and_saveexec_b32 s4, vcc_lo
	s_cbranch_execz .LBB5_4
; %bb.3:
	global_load_b128 v[14:17], v[4:5], off offset:2048
	s_wait_loadcnt 0x0
	v_fma_mixlo_f16 v9, s2, v14, 0
	v_mov_b32_e32 v14, v17
	s_delay_alu instid0(VALU_DEP_2) | instskip(NEXT) | instid1(VALU_DEP_2)
	v_and_b32_e32 v9, 0xffff, v9
	v_pk_mul_f32 v[4:5], s[2:3], v[14:15] op_sel_hi:[0,1]
	s_delay_alu instid0(VALU_DEP_1) | instskip(SKIP_1) | instid1(VALU_DEP_2)
	v_cvt_pk_f16_f32 v4, v4, v5
	v_fma_mixlo_f16 v5, s2, v16, 0
	v_and_b32_e32 v10, 0xffff0000, v4
	s_delay_alu instid0(VALU_DEP_2) | instskip(NEXT) | instid1(VALU_DEP_2)
	v_and_b32_e32 v5, 0xffff, v5
	v_dual_lshlrev_b32 v4, 16, v4 :: v_dual_bitop2_b32 v9, v10, v9 bitop3:0x54
	s_delay_alu instid0(VALU_DEP_1) | instskip(NEXT) | instid1(VALU_DEP_2)
	v_or3_b32 v5, v4, v5, 0
	v_or3_b32 v4, 0, 0, v9
	v_add_nc_u32_e32 v9, v7, v40
	ds_store_b64 v9, v[4:5] offset:1024
.LBB5_4:
	s_or_b32 exec_lo, exec_lo, s4
	v_bitop3_b32 v4, v8, 15, 1 bitop3:0xc8
	v_dual_mov_b32 v5, v3 :: v_dual_bitop2_b32 v3, 1, v8 bitop3:0x54
	s_delay_alu instid0(VALU_DEP_1) | instskip(NEXT) | instid1(VALU_DEP_2)
	v_mul_u64_e32 v[4:5], s[10:11], v[4:5]
	v_mad_u32_u24 v30, 0x480, v3, v7
	s_delay_alu instid0(VALU_DEP_2)
	v_lshl_add_u64 v[0:1], v[4:5], 2, v[0:1]
	s_clause 0x3
	global_load_b128 v[14:17], v[0:1], off
	global_load_b128 v[18:21], v[0:1], off offset:512
	global_load_b128 v[22:25], v[0:1], off offset:1024
	;; [unrolled: 1-line block ×3, first 2 shown]
	s_wait_loadcnt 0x3
	v_fma_mixlo_f16 v4, s2, v14, 0
	v_fma_mixlo_f16 v5, s2, v15, 0
	;; [unrolled: 1-line block ×4, first 2 shown]
	s_wait_loadcnt 0x2
	v_fma_mixlo_f16 v10, s2, v18, 0
	v_fma_mixlo_f16 v11, s2, v19, 0
	;; [unrolled: 1-line block ×4, first 2 shown]
	s_wait_loadcnt 0x1
	v_fma_mixlo_f16 v16, s2, v22, 0
	v_fma_mixlo_f16 v17, s2, v23, 0
	s_wait_loadcnt 0x0
	v_fma_mixlo_f16 v20, s2, v26, 0
	v_fma_mixlo_f16 v21, s2, v27, 0
	v_dual_lshlrev_b32 v5, 16, v5 :: v_dual_lshlrev_b32 v11, 16, v11
	v_and_b32_e32 v4, 0xffff, v4
	v_dual_lshlrev_b32 v9, 16, v9 :: v_dual_lshlrev_b32 v15, 16, v15
	v_and_b32_e32 v8, 0xffff, v8
	v_and_b32_e32 v10, 0xffff, v10
	v_fma_mixlo_f16 v18, s2, v24, 0
	v_fma_mixlo_f16 v19, s2, v25, 0
	;; [unrolled: 1-line block ×4, first 2 shown]
	v_and_b32_e32 v14, 0xffff, v14
	s_delay_alu instid0(VALU_DEP_4) | instskip(SKIP_1) | instid1(VALU_DEP_4)
	v_dual_lshlrev_b32 v17, 16, v17 :: v_dual_lshlrev_b32 v19, 16, v19
	v_and_b32_e32 v16, 0xffff, v16
	v_dual_lshlrev_b32 v21, 16, v21 :: v_dual_lshlrev_b32 v23, 16, v23
	v_and_b32_e32 v20, 0xffff, v20
	v_or_b32_e32 v4, v5, v4
	v_or3_b32 v5, v9, v8, 0
	v_or_b32_e32 v8, v11, v10
	v_and_b32_e32 v18, 0xffff, v18
	v_and_b32_e32 v22, 0xffff, v22
	v_or3_b32 v9, v15, v14, 0
	v_or_b32_e32 v10, v17, v16
	v_or_b32_e32 v14, v21, v20
	v_or3_b32 v4, 0, 0, v4
	v_or3_b32 v8, 0, 0, v8
	;; [unrolled: 1-line block ×6, first 2 shown]
	ds_store_2addr_b64 v30, v[4:5], v[8:9] offset1:32
	ds_store_2addr_b64 v30, v[10:11], v[14:15] offset0:64 offset1:96
	s_and_saveexec_b32 s4, vcc_lo
	s_cbranch_execz .LBB5_6
; %bb.5:
	global_load_b128 v[8:11], v[0:1], off offset:2048
	v_mul_u32_u24_e32 v3, 0x480, v3
	s_delay_alu instid0(VALU_DEP_1) | instskip(SKIP_3) | instid1(VALU_DEP_2)
	v_add_nc_u32_e32 v3, v7, v3
	s_wait_loadcnt 0x0
	v_fma_mixlo_f16 v4, s2, v8, 0
	v_mov_b32_e32 v8, v11
	v_and_b32_e32 v4, 0xffff, v4
	s_delay_alu instid0(VALU_DEP_2) | instskip(NEXT) | instid1(VALU_DEP_1)
	v_pk_mul_f32 v[0:1], s[2:3], v[8:9] op_sel_hi:[0,1]
	v_cvt_pk_f16_f32 v0, v0, v1
	v_fma_mixlo_f16 v1, s2, v10, 0
	s_delay_alu instid0(VALU_DEP_2) | instskip(NEXT) | instid1(VALU_DEP_2)
	v_and_b32_e32 v5, 0xffff0000, v0
	v_and_b32_e32 v1, 0xffff, v1
	v_lshlrev_b32_e32 v0, 16, v0
	s_delay_alu instid0(VALU_DEP_3) | instskip(NEXT) | instid1(VALU_DEP_2)
	v_or_b32_e32 v4, v5, v4
	v_or3_b32 v1, v0, v1, 0
	s_delay_alu instid0(VALU_DEP_2)
	v_or3_b32 v0, 0, 0, v4
	ds_store_b64 v3, v[0:1] offset:1024
.LBB5_6:
	s_or_b32 exec_lo, exec_lo, s4
	s_cmp_eq_u64 s[14:15], 0
	s_wait_dscnt 0x0
	s_barrier_signal -1
	s_barrier_wait -1
	s_cbranch_scc1 .LBB5_8
; %bb.7:
	s_load_b32 s2, s[0:1], 0xd0
	s_wait_kmcnt 0x0
	s_mul_i32 s2, s2, s28
	s_delay_alu instid0(SALU_CYCLE_1)
	s_add_co_i32 s2, s2, s25
	s_load_b32 s30, s[14:15], s2 offset:0x0 scale_offset
.LBB5_8:
	s_wait_xcnt 0x0
	s_bfe_u32 s2, ttmp6, 0x40010
	s_and_b32 s4, ttmp7, 0xffff
	s_add_co_i32 s2, s2, 1
	s_bfe_u32 s5, ttmp6, 0x40004
	s_mul_i32 s2, s4, s2
	v_lshlrev_b32_e32 v39, 2, v13
	s_add_co_i32 s5, s5, s2
	s_cmp_eq_u32 s24, 0
	v_mbcnt_lo_u32_b32 v41, -1, 0
	s_cselect_b32 s31, s4, s5
	s_mov_b32 s2, 0
	s_lshl_b32 s10, s31, 6
	s_wait_kmcnt 0x0
	s_cmp_lt_i32 s10, s30
	s_cbranch_scc1 .LBB5_11
; %bb.9:
	v_mbcnt_lo_u32_b32 v1, -1, 0
	s_delay_alu instid0(VALU_DEP_1)
	v_dual_mov_b32 v0, 32 :: v_dual_bitop2_b32 v46, 16, v1 bitop3:0x14
	v_xor_b32_e32 v45, 8, v1
	v_xor_b32_e32 v44, 4, v1
	;; [unrolled: 1-line block ×4, first 2 shown]
	s_and_not1_b32 vcc_lo, exec_lo, s2
	s_cbranch_vccz .LBB5_12
; %bb.10:
	v_dual_mov_b32 v15, 0 :: v_dual_mov_b32 v68, 0
	v_dual_mov_b32 v9, 0xfeffffff :: v_dual_mov_b32 v8, 0xfeffffff
	s_delay_alu instid0(VALU_DEP_2)
	v_dual_mov_b32 v74, 0 :: v_dual_mov_b32 v14, v15
	v_dual_mov_b32 v72, 0 :: v_dual_mov_b32 v70, 0
	;; [unrolled: 1-line block ×8, first 2 shown]
	s_branch .LBB5_15
.LBB5_11:
                                        ; implicit-def: $vgpr1
                                        ; implicit-def: $vgpr0
                                        ; implicit-def: $vgpr46
                                        ; implicit-def: $vgpr45
                                        ; implicit-def: $vgpr44
                                        ; implicit-def: $vgpr43
                                        ; implicit-def: $vgpr42
.LBB5_12:
	s_clause 0x1
	s_load_b64 s[4:5], s[0:1], 0x8c
	s_load_b128 s[24:27], s[0:1], 0x98
	s_mul_f32 s2, s39, 0x4f7ffffe
	s_sub_co_i32 s11, 0, s38
	s_mov_b32 s15, s3
	s_load_b64 s[40:41], s[0:1], 0xa8
	s_cvt_u32_f32 s14, s2
	s_abs_i32 s2, s33
	s_ashr_i32 s20, s33, 31
	s_ashr_i32 s21, s29, 31
	s_mul_i32 s11, s11, s14
	s_ashr_i32 s29, s28, 31
	s_mul_hi_u32 s11, s14, s11
	s_xor_b32 s21, s20, s21
	s_add_co_i32 s14, s14, s11
	s_ashr_i32 s11, s37, 1
	s_mul_u64 s[14:15], s[2:3], s[14:15]
	v_dual_lshrrev_b32 v1, 3, v13 :: v_dual_bitop2_b32 v0, 28, v39 bitop3:0x40
	s_mul_i32 s3, s15, s38
	s_wait_kmcnt 0x0
	s_ashr_i32 s20, s4, 2
	s_sub_co_i32 s2, s2, s3
	s_ashr_i32 s14, s26, 2
	s_add_co_i32 s3, s15, 1
	s_sub_co_i32 s4, s2, s38
	s_cmp_ge_u32 s2, s38
	v_mul_lo_u32 v4, s14, v6
	s_cselect_b32 s3, s3, s15
	s_cselect_b32 s2, s4, s2
	s_add_co_i32 s4, s3, 1
	s_cmp_ge_u32 s2, s38
	v_lshl_add_u32 v1, v6, 2, v1
	s_cselect_b32 s2, s4, s3
	v_dual_lshlrev_b32 v3, 2, v0 :: v_dual_mov_b32 v19, 0
	s_xor_b32 s2, s2, s21
	s_delay_alu instid0(VALU_DEP_2)
	v_mul_lo_u32 v16, s20, v1
	s_sub_co_i32 s15, s2, s21
	s_mul_u64 s[2:3], s[24:25], s[28:29]
	s_mul_i32 s4, s15, s5
	s_add_nc_u64 s[2:3], s[6:7], s[2:3]
	s_mul_u64 s[6:7], s[40:41], s[28:29]
	s_mul_i32 s24, s15, s27
	v_dual_mov_b32 v8, 0xfeffffff :: v_dual_ashrrev_i32 v5, 31, v4
	s_ashr_i32 s5, s4, 31
	s_add_nc_u64 s[6:7], s[8:9], s[6:7]
	s_ashr_i32 s25, s24, 31
	v_mad_u32_u24 v1, 0x90, v1, v3
	v_dual_lshlrev_b32 v18, 2, v39 :: v_dual_ashrrev_i32 v17, 31, v16
	s_add_nc_u64 s[8:9], s[2:3], s[4:5]
	s_add_nc_u64 s[2:3], s[6:7], s[24:25]
	v_mad_u32 v50, v2, s11, v13
	v_lshl_add_u64 v[2:3], v[4:5], 2, s[2:3]
	v_dual_mov_b32 v60, v19 :: v_dual_add_nc_u32 v47, 0x4800, v1
	v_lshl_add_u32 v20, s20, 5, v16
	v_dual_mov_b32 v59, v19 :: v_dual_add_nc_u32 v48, 0x5a00, v1
	v_lshl_add_u32 v1, v6, 10, v18
	v_lshl_add_u32 v51, v6, 8, 0x6c00
	v_dual_mov_b32 v63, v19 :: v_dual_add_nc_u32 v54, 0x4800, v7
	s_movk_i32 s4, 0x4800
	v_add_nc_u64_e32 v[22:23], v[2:3], v[18:19]
	v_dual_ashrrev_i32 v21, 31, v20 :: v_dual_bitop2_b32 v46, 16, v41 bitop3:0x14
	v_mad_u32_u24 v49, 0x90, v13, s4
	v_dual_mov_b32 v61, v19 :: v_dual_add_nc_u32 v52, 0x4800, v1
	v_dual_mov_b32 v64, v19 :: v_dual_add_nc_u32 v53, 0x4a00, v1
	v_dual_lshlrev_b32 v18, 2, v0 :: v_dual_bitop2_b32 v45, 8, v41 bitop3:0x14
	v_dual_add_nc_u32 v55, v51, v39 :: v_dual_bitop2_b32 v44, 4, v41 bitop3:0x14
	v_dual_mov_b32 v65, v19 :: v_dual_bitop2_b32 v43, 2, v41 bitop3:0x14
	v_dual_mov_b32 v66, v19 :: v_dual_bitop2_b32 v42, 1, v41 bitop3:0x14
	v_dual_mov_b32 v67, v19 :: v_dual_add_nc_u32 v56, 0x800, v54
	v_dual_mov_b32 v62, v19 :: v_dual_add_nc_u32 v57, 0x1000, v54
	;; [unrolled: 1-line block ×3, first 2 shown]
	v_dual_mov_b32 v71, v19 :: v_dual_mov_b32 v73, v19
	v_dual_mov_b32 v70, v19 :: v_dual_mov_b32 v72, v19
	;; [unrolled: 1-line block ×4, first 2 shown]
	v_mov_b32_e32 v15, v19
	s_ashr_i32 s21, s20, 31
	s_ashr_i32 s15, s14, 31
	s_add_nc_u64 s[24:25], s[0:1], 0xd0
.LBB5_13:                               ; =>This Inner Loop Header: Depth=1
	s_ashr_i32 s11, s10, 31
	v_dual_add_nc_u32 v36, s10, v50 :: v_dual_mov_b32 v34, v9
	s_mul_u64 s[2:3], s[10:11], s[20:21]
	v_cmp_gt_i32_e32 vcc_lo, 32, v46
	s_lshl_b64 s[2:3], s[2:3], 2
	v_mov_b32_e32 v35, v8
	s_add_nc_u64 s[2:3], s[8:9], s[2:3]
	v_dual_mov_b32 v75, 0 :: v_dual_mov_b32 v76, 0
	v_lshl_add_u64 v[0:1], v[16:17], 2, s[2:3]
	v_lshl_add_u64 v[2:3], v[20:21], 2, s[2:3]
	v_dual_mov_b32 v77, 0 :: v_dual_mov_b32 v78, 0
	v_cndmask_b32_e32 v28, v41, v46, vcc_lo
	s_delay_alu instid0(VALU_DEP_4) | instskip(NEXT) | instid1(VALU_DEP_4)
	v_add_nc_u64_e32 v[24:25], v[0:1], v[18:19]
	v_add_nc_u64_e32 v[26:27], v[2:3], v[18:19]
	v_cmp_gt_i32_e32 vcc_lo, 32, v45
	s_or_b32 s4, s10, 16
	s_or_b32 s6, s10, 24
	s_clause 0x1
	global_load_b128 v[0:3], v[24:25], off
	global_load_b128 v[4:7], v[26:27], off
	v_cndmask_b32_e32 v29, v41, v45, vcc_lo
	v_cmp_gt_i32_e32 vcc_lo, 32, v44
	s_or_b32 s26, s10, 32
	s_ashr_i32 s5, s4, 31
	s_ashr_i32 s7, s6, 31
	;; [unrolled: 1-line block ×3, first 2 shown]
	v_cndmask_b32_e32 v30, v41, v44, vcc_lo
	v_cmp_gt_i32_e32 vcc_lo, 32, v43
	v_dual_lshlrev_b32 v79, 2, v28 :: v_dual_lshlrev_b32 v84, 2, v29
	s_mul_u64 s[42:43], s[4:5], s[14:15]
	s_mul_u64 s[4:5], s[6:7], s[14:15]
	v_cndmask_b32_e32 v31, v41, v43, vcc_lo
	v_cmp_gt_i32_e32 vcc_lo, 32, v42
	s_mul_u64 s[6:7], s[26:27], s[14:15]
	s_mul_u64 s[40:41], s[10:11], s[14:15]
	s_or_b32 s2, s10, 8
	v_lshl_add_u64 v[32:33], s[40:41], 2, v[22:23]
	v_cndmask_b32_e32 v37, v41, v42, vcc_lo
	v_dual_lshlrev_b32 v85, 2, v30 :: v_dual_lshlrev_b32 v86, 2, v31
	s_or_b32 s36, s10, 40
	s_ashr_i32 s3, s2, 31
	s_ashr_i32 s37, s36, 31
	s_mul_u64 s[40:41], s[2:3], s[14:15]
	s_mul_u64 s[2:3], s[36:37], s[14:15]
	v_lshl_add_u64 v[30:31], s[40:41], 2, v[22:23]
	v_lshl_add_u64 v[28:29], s[42:43], 2, v[22:23]
	s_or_b32 s38, s10, 48
	s_or_b32 s44, s10, 56
	s_ashr_i32 s39, s38, 31
	s_ashr_i32 s45, s44, 31
	s_mul_u64 s[26:27], s[38:39], s[14:15]
	s_mul_u64 s[36:37], s[44:45], s[14:15]
	s_wait_loadcnt 0x1
	ds_store_b128 v47, v[0:3]
	s_wait_loadcnt 0x0
	ds_store_b128 v48, v[4:7]
	s_wait_dscnt 0x0
	s_barrier_signal -1
	s_barrier_wait -1
	ds_load_b128 v[0:3], v49
	ds_load_b128 v[4:7], v40
	ds_load_b128 v[8:11], v40 offset:1152
	ds_load_b128 v[80:83], v49 offset:4608
	s_wait_dscnt 0x2
	;;#ASMSTART
	v_dot2_f32_f16 v75, v0, v4, v75
	;;#ASMEND
	;;#ASMSTART
	v_dot2_f32_f16 v75, v1, v5, v75
	;;#ASMEND
	;;#ASMSTART
	v_dot2_f32_f16 v75, v2, v6, v75
	;;#ASMEND
	;;#ASMSTART
	v_dot2_f32_f16 v75, v3, v7, v75
	;;#ASMEND
	s_wait_dscnt 0x1
	;;#ASMSTART
	v_dot2_f32_f16 v76, v0, v8, v76
	;;#ASMEND
	;;#ASMSTART
	v_dot2_f32_f16 v76, v1, v9, v76
	;;#ASMEND
	;;#ASMSTART
	v_dot2_f32_f16 v76, v2, v10, v76
	;;#ASMEND
	;;#ASMSTART
	v_dot2_f32_f16 v76, v3, v11, v76
	;;#ASMEND
	s_wait_dscnt 0x0
	;;#ASMSTART
	v_dot2_f32_f16 v77, v80, v4, v77
	;;#ASMEND
	;;#ASMSTART
	v_dot2_f32_f16 v77, v81, v5, v77
	;;#ASMEND
	;;#ASMSTART
	v_dot2_f32_f16 v77, v82, v6, v77
	;;#ASMEND
	;;#ASMSTART
	v_dot2_f32_f16 v77, v83, v7, v77
	;;#ASMEND
	;;#ASMSTART
	v_dot2_f32_f16 v78, v80, v8, v78
	;;#ASMEND
	;;#ASMSTART
	v_dot2_f32_f16 v78, v81, v9, v78
	;;#ASMEND
	;;#ASMSTART
	v_dot2_f32_f16 v78, v82, v10, v78
	;;#ASMEND
	;;#ASMSTART
	v_dot2_f32_f16 v78, v83, v11, v78
	;;#ASMEND
	ds_load_b128 v[0:3], v49 offset:16
	ds_load_b128 v[4:7], v40 offset:16
	ds_load_b128 v[8:11], v40 offset:1168
	ds_load_b128 v[80:83], v49 offset:4624
	s_wait_dscnt 0x2
	;;#ASMSTART
	v_dot2_f32_f16 v75, v0, v4, v75
	;;#ASMEND
	;;#ASMSTART
	v_dot2_f32_f16 v75, v1, v5, v75
	;;#ASMEND
	;;#ASMSTART
	v_dot2_f32_f16 v75, v2, v6, v75
	;;#ASMEND
	;;#ASMSTART
	v_dot2_f32_f16 v75, v3, v7, v75
	;;#ASMEND
	s_wait_dscnt 0x1
	;;#ASMSTART
	v_dot2_f32_f16 v76, v0, v8, v76
	;;#ASMEND
	;;#ASMSTART
	v_dot2_f32_f16 v76, v1, v9, v76
	;;#ASMEND
	;;#ASMSTART
	v_dot2_f32_f16 v76, v2, v10, v76
	;;#ASMEND
	;;#ASMSTART
	v_dot2_f32_f16 v76, v3, v11, v76
	;;#ASMEND
	s_wait_dscnt 0x0
	;;#ASMSTART
	v_dot2_f32_f16 v77, v80, v4, v77
	;;#ASMEND
	;;#ASMSTART
	v_dot2_f32_f16 v77, v81, v5, v77
	;;#ASMEND
	;;#ASMSTART
	v_dot2_f32_f16 v77, v82, v6, v77
	;;#ASMEND
	;;#ASMSTART
	v_dot2_f32_f16 v77, v83, v7, v77
	;;#ASMEND
	;;#ASMSTART
	v_dot2_f32_f16 v78, v80, v8, v78
	;;#ASMEND
	;;#ASMSTART
	v_dot2_f32_f16 v78, v81, v9, v78
	;;#ASMEND
	;;#ASMSTART
	v_dot2_f32_f16 v78, v82, v10, v78
	;;#ASMEND
	;;#ASMSTART
	v_dot2_f32_f16 v78, v83, v11, v78
	;;#ASMEND
	ds_load_b128 v[0:3], v49 offset:32
	ds_load_b128 v[4:7], v40 offset:32
	;; [unrolled: 55-line block ×7, first 2 shown]
	ds_load_b128 v[8:11], v40 offset:1264
	ds_load_b128 v[80:83], v49 offset:4720
	s_wait_dscnt 0x2
	;;#ASMSTART
	v_dot2_f32_f16 v75, v0, v4, v75
	;;#ASMEND
	;;#ASMSTART
	v_dot2_f32_f16 v75, v1, v5, v75
	;;#ASMEND
	;;#ASMSTART
	v_dot2_f32_f16 v75, v2, v6, v75
	;;#ASMEND
	;;#ASMSTART
	v_dot2_f32_f16 v75, v3, v7, v75
	;;#ASMEND
	s_wait_dscnt 0x1
	;;#ASMSTART
	v_dot2_f32_f16 v76, v0, v8, v76
	;;#ASMEND
	;;#ASMSTART
	v_dot2_f32_f16 v76, v1, v9, v76
	;;#ASMEND
	;;#ASMSTART
	v_dot2_f32_f16 v76, v2, v10, v76
	;;#ASMEND
	;;#ASMSTART
	v_dot2_f32_f16 v76, v3, v11, v76
	;;#ASMEND
	;; [unrolled: 13-line block ×3, first 2 shown]
	;;#ASMSTART
	v_dot2_f32_f16 v78, v80, v8, v78
	;;#ASMEND
	;;#ASMSTART
	v_dot2_f32_f16 v78, v81, v9, v78
	;;#ASMEND
	;; [unrolled: 3-line block ×4, first 2 shown]
	s_barrier_signal -1
	s_barrier_wait -1
	s_clause 0x1
	global_load_b128 v[0:3], v[24:25], off offset:128
	global_load_b128 v[4:7], v[26:27], off offset:128
	s_wait_loadcnt 0x1
	ds_store_b128 v47, v[0:3]
	s_wait_loadcnt 0x0
	ds_store_b128 v48, v[4:7]
	s_wait_dscnt 0x0
	s_barrier_signal -1
	s_barrier_wait -1
	ds_load_b128 v[0:3], v49
	ds_load_b128 v[4:7], v40 offset:128
	ds_load_b128 v[8:11], v40 offset:1280
	ds_load_b128 v[80:83], v49 offset:4608
	s_wait_dscnt 0x2
	;;#ASMSTART
	v_dot2_f32_f16 v75, v0, v4, v75
	;;#ASMEND
	;;#ASMSTART
	v_dot2_f32_f16 v75, v1, v5, v75
	;;#ASMEND
	;;#ASMSTART
	v_dot2_f32_f16 v75, v2, v6, v75
	;;#ASMEND
	;;#ASMSTART
	v_dot2_f32_f16 v75, v3, v7, v75
	;;#ASMEND
	s_wait_dscnt 0x1
	;;#ASMSTART
	v_dot2_f32_f16 v76, v0, v8, v76
	;;#ASMEND
	;;#ASMSTART
	v_dot2_f32_f16 v76, v1, v9, v76
	;;#ASMEND
	;;#ASMSTART
	v_dot2_f32_f16 v76, v2, v10, v76
	;;#ASMEND
	;;#ASMSTART
	v_dot2_f32_f16 v76, v3, v11, v76
	;;#ASMEND
	s_wait_dscnt 0x0
	;;#ASMSTART
	v_dot2_f32_f16 v77, v80, v4, v77
	;;#ASMEND
	;;#ASMSTART
	v_dot2_f32_f16 v77, v81, v5, v77
	;;#ASMEND
	;;#ASMSTART
	v_dot2_f32_f16 v77, v82, v6, v77
	;;#ASMEND
	;;#ASMSTART
	v_dot2_f32_f16 v77, v83, v7, v77
	;;#ASMEND
	;;#ASMSTART
	v_dot2_f32_f16 v78, v80, v8, v78
	;;#ASMEND
	;;#ASMSTART
	v_dot2_f32_f16 v78, v81, v9, v78
	;;#ASMEND
	;;#ASMSTART
	v_dot2_f32_f16 v78, v82, v10, v78
	;;#ASMEND
	;;#ASMSTART
	v_dot2_f32_f16 v78, v83, v11, v78
	;;#ASMEND
	ds_load_b128 v[0:3], v49 offset:16
	ds_load_b128 v[4:7], v40 offset:144
	ds_load_b128 v[8:11], v40 offset:1296
	ds_load_b128 v[80:83], v49 offset:4624
	s_wait_dscnt 0x2
	;;#ASMSTART
	v_dot2_f32_f16 v75, v0, v4, v75
	;;#ASMEND
	;;#ASMSTART
	v_dot2_f32_f16 v75, v1, v5, v75
	;;#ASMEND
	;;#ASMSTART
	v_dot2_f32_f16 v75, v2, v6, v75
	;;#ASMEND
	;;#ASMSTART
	v_dot2_f32_f16 v75, v3, v7, v75
	;;#ASMEND
	s_wait_dscnt 0x1
	;;#ASMSTART
	v_dot2_f32_f16 v76, v0, v8, v76
	;;#ASMEND
	;;#ASMSTART
	v_dot2_f32_f16 v76, v1, v9, v76
	;;#ASMEND
	;;#ASMSTART
	v_dot2_f32_f16 v76, v2, v10, v76
	;;#ASMEND
	;;#ASMSTART
	v_dot2_f32_f16 v76, v3, v11, v76
	;;#ASMEND
	s_wait_dscnt 0x0
	;;#ASMSTART
	v_dot2_f32_f16 v77, v80, v4, v77
	;;#ASMEND
	;;#ASMSTART
	v_dot2_f32_f16 v77, v81, v5, v77
	;;#ASMEND
	;;#ASMSTART
	v_dot2_f32_f16 v77, v82, v6, v77
	;;#ASMEND
	;;#ASMSTART
	v_dot2_f32_f16 v77, v83, v7, v77
	;;#ASMEND
	;;#ASMSTART
	v_dot2_f32_f16 v78, v80, v8, v78
	;;#ASMEND
	;;#ASMSTART
	v_dot2_f32_f16 v78, v81, v9, v78
	;;#ASMEND
	;;#ASMSTART
	v_dot2_f32_f16 v78, v82, v10, v78
	;;#ASMEND
	;;#ASMSTART
	v_dot2_f32_f16 v78, v83, v11, v78
	;;#ASMEND
	ds_load_b128 v[0:3], v49 offset:32
	;; [unrolled: 55-line block ×7, first 2 shown]
	ds_load_b128 v[4:7], v40 offset:240
	ds_load_b128 v[8:11], v40 offset:1392
	;; [unrolled: 1-line block ×3, first 2 shown]
	s_wait_dscnt 0x2
	;;#ASMSTART
	v_dot2_f32_f16 v75, v0, v4, v75
	;;#ASMEND
	;;#ASMSTART
	v_dot2_f32_f16 v75, v1, v5, v75
	;;#ASMEND
	;;#ASMSTART
	v_dot2_f32_f16 v75, v2, v6, v75
	;;#ASMEND
	;;#ASMSTART
	v_dot2_f32_f16 v75, v3, v7, v75
	;;#ASMEND
	s_wait_dscnt 0x1
	;;#ASMSTART
	v_dot2_f32_f16 v76, v0, v8, v76
	;;#ASMEND
	;;#ASMSTART
	v_dot2_f32_f16 v76, v1, v9, v76
	;;#ASMEND
	;;#ASMSTART
	v_dot2_f32_f16 v76, v2, v10, v76
	;;#ASMEND
	;;#ASMSTART
	v_dot2_f32_f16 v76, v3, v11, v76
	;;#ASMEND
	;; [unrolled: 13-line block ×3, first 2 shown]
	;;#ASMSTART
	v_dot2_f32_f16 v78, v80, v8, v78
	;;#ASMEND
	;;#ASMSTART
	v_dot2_f32_f16 v78, v81, v9, v78
	;;#ASMEND
	;; [unrolled: 3-line block ×4, first 2 shown]
	s_barrier_signal -1
	s_barrier_wait -1
	s_clause 0x1
	global_load_b128 v[0:3], v[24:25], off offset:256
	global_load_b128 v[4:7], v[26:27], off offset:256
	s_wait_loadcnt 0x1
	ds_store_b128 v47, v[0:3]
	s_wait_loadcnt 0x0
	ds_store_b128 v48, v[4:7]
	s_wait_dscnt 0x0
	s_barrier_signal -1
	s_barrier_wait -1
	ds_load_b128 v[0:3], v49
	ds_load_b128 v[4:7], v40 offset:256
	ds_load_b128 v[8:11], v40 offset:1408
	ds_load_b128 v[80:83], v49 offset:4608
	s_wait_dscnt 0x2
	;;#ASMSTART
	v_dot2_f32_f16 v75, v0, v4, v75
	;;#ASMEND
	;;#ASMSTART
	v_dot2_f32_f16 v75, v1, v5, v75
	;;#ASMEND
	;;#ASMSTART
	v_dot2_f32_f16 v75, v2, v6, v75
	;;#ASMEND
	;;#ASMSTART
	v_dot2_f32_f16 v75, v3, v7, v75
	;;#ASMEND
	s_wait_dscnt 0x1
	;;#ASMSTART
	v_dot2_f32_f16 v76, v0, v8, v76
	;;#ASMEND
	;;#ASMSTART
	v_dot2_f32_f16 v76, v1, v9, v76
	;;#ASMEND
	;;#ASMSTART
	v_dot2_f32_f16 v76, v2, v10, v76
	;;#ASMEND
	;;#ASMSTART
	v_dot2_f32_f16 v76, v3, v11, v76
	;;#ASMEND
	s_wait_dscnt 0x0
	;;#ASMSTART
	v_dot2_f32_f16 v77, v80, v4, v77
	;;#ASMEND
	;;#ASMSTART
	v_dot2_f32_f16 v77, v81, v5, v77
	;;#ASMEND
	;;#ASMSTART
	v_dot2_f32_f16 v77, v82, v6, v77
	;;#ASMEND
	;;#ASMSTART
	v_dot2_f32_f16 v77, v83, v7, v77
	;;#ASMEND
	;;#ASMSTART
	v_dot2_f32_f16 v78, v80, v8, v78
	;;#ASMEND
	;;#ASMSTART
	v_dot2_f32_f16 v78, v81, v9, v78
	;;#ASMEND
	;;#ASMSTART
	v_dot2_f32_f16 v78, v82, v10, v78
	;;#ASMEND
	;;#ASMSTART
	v_dot2_f32_f16 v78, v83, v11, v78
	;;#ASMEND
	ds_load_b128 v[0:3], v49 offset:16
	ds_load_b128 v[4:7], v40 offset:272
	ds_load_b128 v[8:11], v40 offset:1424
	ds_load_b128 v[80:83], v49 offset:4624
	s_wait_dscnt 0x2
	;;#ASMSTART
	v_dot2_f32_f16 v75, v0, v4, v75
	;;#ASMEND
	;;#ASMSTART
	v_dot2_f32_f16 v75, v1, v5, v75
	;;#ASMEND
	;;#ASMSTART
	v_dot2_f32_f16 v75, v2, v6, v75
	;;#ASMEND
	;;#ASMSTART
	v_dot2_f32_f16 v75, v3, v7, v75
	;;#ASMEND
	s_wait_dscnt 0x1
	;;#ASMSTART
	v_dot2_f32_f16 v76, v0, v8, v76
	;;#ASMEND
	;;#ASMSTART
	v_dot2_f32_f16 v76, v1, v9, v76
	;;#ASMEND
	;;#ASMSTART
	v_dot2_f32_f16 v76, v2, v10, v76
	;;#ASMEND
	;;#ASMSTART
	v_dot2_f32_f16 v76, v3, v11, v76
	;;#ASMEND
	s_wait_dscnt 0x0
	;;#ASMSTART
	v_dot2_f32_f16 v77, v80, v4, v77
	;;#ASMEND
	;;#ASMSTART
	v_dot2_f32_f16 v77, v81, v5, v77
	;;#ASMEND
	;;#ASMSTART
	v_dot2_f32_f16 v77, v82, v6, v77
	;;#ASMEND
	;;#ASMSTART
	v_dot2_f32_f16 v77, v83, v7, v77
	;;#ASMEND
	;;#ASMSTART
	v_dot2_f32_f16 v78, v80, v8, v78
	;;#ASMEND
	;;#ASMSTART
	v_dot2_f32_f16 v78, v81, v9, v78
	;;#ASMEND
	;;#ASMSTART
	v_dot2_f32_f16 v78, v82, v10, v78
	;;#ASMEND
	;;#ASMSTART
	v_dot2_f32_f16 v78, v83, v11, v78
	;;#ASMEND
	ds_load_b128 v[0:3], v49 offset:32
	;; [unrolled: 55-line block ×7, first 2 shown]
	ds_load_b128 v[4:7], v40 offset:368
	ds_load_b128 v[8:11], v40 offset:1520
	;; [unrolled: 1-line block ×3, first 2 shown]
	s_wait_dscnt 0x2
	;;#ASMSTART
	v_dot2_f32_f16 v75, v0, v4, v75
	;;#ASMEND
	;;#ASMSTART
	v_dot2_f32_f16 v75, v1, v5, v75
	;;#ASMEND
	;;#ASMSTART
	v_dot2_f32_f16 v75, v2, v6, v75
	;;#ASMEND
	;;#ASMSTART
	v_dot2_f32_f16 v75, v3, v7, v75
	;;#ASMEND
	s_wait_dscnt 0x1
	;;#ASMSTART
	v_dot2_f32_f16 v76, v0, v8, v76
	;;#ASMEND
	;;#ASMSTART
	v_dot2_f32_f16 v76, v1, v9, v76
	;;#ASMEND
	;;#ASMSTART
	v_dot2_f32_f16 v76, v2, v10, v76
	;;#ASMEND
	;;#ASMSTART
	v_dot2_f32_f16 v76, v3, v11, v76
	;;#ASMEND
	;; [unrolled: 13-line block ×3, first 2 shown]
	;;#ASMSTART
	v_dot2_f32_f16 v78, v80, v8, v78
	;;#ASMEND
	;;#ASMSTART
	v_dot2_f32_f16 v78, v81, v9, v78
	;;#ASMEND
	;; [unrolled: 3-line block ×4, first 2 shown]
	s_barrier_signal -1
	s_barrier_wait -1
	s_clause 0x1
	global_load_b128 v[0:3], v[24:25], off offset:384
	global_load_b128 v[4:7], v[26:27], off offset:384
	s_wait_loadcnt 0x1
	ds_store_b128 v47, v[0:3]
	s_wait_loadcnt 0x0
	ds_store_b128 v48, v[4:7]
	s_wait_dscnt 0x0
	s_barrier_signal -1
	s_barrier_wait -1
	ds_load_b128 v[0:3], v49
	ds_load_b128 v[4:7], v40 offset:384
	ds_load_b128 v[8:11], v40 offset:1536
	ds_load_b128 v[80:83], v49 offset:4608
	s_wait_dscnt 0x2
	;;#ASMSTART
	v_dot2_f32_f16 v75, v0, v4, v75
	;;#ASMEND
	;;#ASMSTART
	v_dot2_f32_f16 v75, v1, v5, v75
	;;#ASMEND
	;;#ASMSTART
	v_dot2_f32_f16 v75, v2, v6, v75
	;;#ASMEND
	;;#ASMSTART
	v_dot2_f32_f16 v75, v3, v7, v75
	;;#ASMEND
	s_wait_dscnt 0x1
	;;#ASMSTART
	v_dot2_f32_f16 v76, v0, v8, v76
	;;#ASMEND
	;;#ASMSTART
	v_dot2_f32_f16 v76, v1, v9, v76
	;;#ASMEND
	;;#ASMSTART
	v_dot2_f32_f16 v76, v2, v10, v76
	;;#ASMEND
	;;#ASMSTART
	v_dot2_f32_f16 v76, v3, v11, v76
	;;#ASMEND
	s_wait_dscnt 0x0
	;;#ASMSTART
	v_dot2_f32_f16 v77, v80, v4, v77
	;;#ASMEND
	;;#ASMSTART
	v_dot2_f32_f16 v77, v81, v5, v77
	;;#ASMEND
	;;#ASMSTART
	v_dot2_f32_f16 v77, v82, v6, v77
	;;#ASMEND
	;;#ASMSTART
	v_dot2_f32_f16 v77, v83, v7, v77
	;;#ASMEND
	;;#ASMSTART
	v_dot2_f32_f16 v78, v80, v8, v78
	;;#ASMEND
	;;#ASMSTART
	v_dot2_f32_f16 v78, v81, v9, v78
	;;#ASMEND
	;;#ASMSTART
	v_dot2_f32_f16 v78, v82, v10, v78
	;;#ASMEND
	;;#ASMSTART
	v_dot2_f32_f16 v78, v83, v11, v78
	;;#ASMEND
	ds_load_b128 v[0:3], v49 offset:16
	ds_load_b128 v[4:7], v40 offset:400
	ds_load_b128 v[8:11], v40 offset:1552
	ds_load_b128 v[80:83], v49 offset:4624
	s_wait_dscnt 0x2
	;;#ASMSTART
	v_dot2_f32_f16 v75, v0, v4, v75
	;;#ASMEND
	;;#ASMSTART
	v_dot2_f32_f16 v75, v1, v5, v75
	;;#ASMEND
	;;#ASMSTART
	v_dot2_f32_f16 v75, v2, v6, v75
	;;#ASMEND
	;;#ASMSTART
	v_dot2_f32_f16 v75, v3, v7, v75
	;;#ASMEND
	s_wait_dscnt 0x1
	;;#ASMSTART
	v_dot2_f32_f16 v76, v0, v8, v76
	;;#ASMEND
	;;#ASMSTART
	v_dot2_f32_f16 v76, v1, v9, v76
	;;#ASMEND
	;;#ASMSTART
	v_dot2_f32_f16 v76, v2, v10, v76
	;;#ASMEND
	;;#ASMSTART
	v_dot2_f32_f16 v76, v3, v11, v76
	;;#ASMEND
	s_wait_dscnt 0x0
	;;#ASMSTART
	v_dot2_f32_f16 v77, v80, v4, v77
	;;#ASMEND
	;;#ASMSTART
	v_dot2_f32_f16 v77, v81, v5, v77
	;;#ASMEND
	;;#ASMSTART
	v_dot2_f32_f16 v77, v82, v6, v77
	;;#ASMEND
	;;#ASMSTART
	v_dot2_f32_f16 v77, v83, v7, v77
	;;#ASMEND
	;;#ASMSTART
	v_dot2_f32_f16 v78, v80, v8, v78
	;;#ASMEND
	;;#ASMSTART
	v_dot2_f32_f16 v78, v81, v9, v78
	;;#ASMEND
	;;#ASMSTART
	v_dot2_f32_f16 v78, v82, v10, v78
	;;#ASMEND
	;;#ASMSTART
	v_dot2_f32_f16 v78, v83, v11, v78
	;;#ASMEND
	ds_load_b128 v[0:3], v49 offset:32
	;; [unrolled: 55-line block ×7, first 2 shown]
	ds_load_b128 v[4:7], v40 offset:496
	ds_load_b128 v[8:11], v40 offset:1648
	;; [unrolled: 1-line block ×3, first 2 shown]
	s_wait_dscnt 0x2
	;;#ASMSTART
	v_dot2_f32_f16 v75, v0, v4, v75
	;;#ASMEND
	;;#ASMSTART
	v_dot2_f32_f16 v75, v1, v5, v75
	;;#ASMEND
	;;#ASMSTART
	v_dot2_f32_f16 v75, v2, v6, v75
	;;#ASMEND
	;;#ASMSTART
	v_dot2_f32_f16 v75, v3, v7, v75
	;;#ASMEND
	s_wait_dscnt 0x1
	;;#ASMSTART
	v_dot2_f32_f16 v76, v0, v8, v76
	;;#ASMEND
	;;#ASMSTART
	v_dot2_f32_f16 v76, v1, v9, v76
	;;#ASMEND
	;;#ASMSTART
	v_dot2_f32_f16 v76, v2, v10, v76
	;;#ASMEND
	;;#ASMSTART
	v_dot2_f32_f16 v76, v3, v11, v76
	;;#ASMEND
	;; [unrolled: 13-line block ×3, first 2 shown]
	;;#ASMSTART
	v_dot2_f32_f16 v78, v80, v8, v78
	;;#ASMEND
	;;#ASMSTART
	v_dot2_f32_f16 v78, v81, v9, v78
	;;#ASMEND
	;; [unrolled: 3-line block ×4, first 2 shown]
	s_barrier_signal -1
	s_barrier_wait -1
	s_clause 0x1
	global_load_b128 v[0:3], v[24:25], off offset:512
	global_load_b128 v[4:7], v[26:27], off offset:512
	s_wait_loadcnt 0x1
	ds_store_b128 v47, v[0:3]
	s_wait_loadcnt 0x0
	ds_store_b128 v48, v[4:7]
	s_wait_dscnt 0x0
	s_barrier_signal -1
	s_barrier_wait -1
	ds_load_b128 v[0:3], v49
	ds_load_b128 v[4:7], v40 offset:512
	ds_load_b128 v[8:11], v40 offset:1664
	ds_load_b128 v[80:83], v49 offset:4608
	s_wait_dscnt 0x2
	;;#ASMSTART
	v_dot2_f32_f16 v75, v0, v4, v75
	;;#ASMEND
	;;#ASMSTART
	v_dot2_f32_f16 v75, v1, v5, v75
	;;#ASMEND
	;;#ASMSTART
	v_dot2_f32_f16 v75, v2, v6, v75
	;;#ASMEND
	;;#ASMSTART
	v_dot2_f32_f16 v75, v3, v7, v75
	;;#ASMEND
	s_wait_dscnt 0x1
	;;#ASMSTART
	v_dot2_f32_f16 v76, v0, v8, v76
	;;#ASMEND
	;;#ASMSTART
	v_dot2_f32_f16 v76, v1, v9, v76
	;;#ASMEND
	;;#ASMSTART
	v_dot2_f32_f16 v76, v2, v10, v76
	;;#ASMEND
	;;#ASMSTART
	v_dot2_f32_f16 v76, v3, v11, v76
	;;#ASMEND
	s_wait_dscnt 0x0
	;;#ASMSTART
	v_dot2_f32_f16 v77, v80, v4, v77
	;;#ASMEND
	;;#ASMSTART
	v_dot2_f32_f16 v77, v81, v5, v77
	;;#ASMEND
	;;#ASMSTART
	v_dot2_f32_f16 v77, v82, v6, v77
	;;#ASMEND
	;;#ASMSTART
	v_dot2_f32_f16 v77, v83, v7, v77
	;;#ASMEND
	;;#ASMSTART
	v_dot2_f32_f16 v78, v80, v8, v78
	;;#ASMEND
	;;#ASMSTART
	v_dot2_f32_f16 v78, v81, v9, v78
	;;#ASMEND
	;;#ASMSTART
	v_dot2_f32_f16 v78, v82, v10, v78
	;;#ASMEND
	;;#ASMSTART
	v_dot2_f32_f16 v78, v83, v11, v78
	;;#ASMEND
	ds_load_b128 v[0:3], v49 offset:16
	ds_load_b128 v[4:7], v40 offset:528
	ds_load_b128 v[8:11], v40 offset:1680
	ds_load_b128 v[80:83], v49 offset:4624
	s_wait_dscnt 0x2
	;;#ASMSTART
	v_dot2_f32_f16 v75, v0, v4, v75
	;;#ASMEND
	;;#ASMSTART
	v_dot2_f32_f16 v75, v1, v5, v75
	;;#ASMEND
	;;#ASMSTART
	v_dot2_f32_f16 v75, v2, v6, v75
	;;#ASMEND
	;;#ASMSTART
	v_dot2_f32_f16 v75, v3, v7, v75
	;;#ASMEND
	s_wait_dscnt 0x1
	;;#ASMSTART
	v_dot2_f32_f16 v76, v0, v8, v76
	;;#ASMEND
	;;#ASMSTART
	v_dot2_f32_f16 v76, v1, v9, v76
	;;#ASMEND
	;;#ASMSTART
	v_dot2_f32_f16 v76, v2, v10, v76
	;;#ASMEND
	;;#ASMSTART
	v_dot2_f32_f16 v76, v3, v11, v76
	;;#ASMEND
	s_wait_dscnt 0x0
	;;#ASMSTART
	v_dot2_f32_f16 v77, v80, v4, v77
	;;#ASMEND
	;;#ASMSTART
	v_dot2_f32_f16 v77, v81, v5, v77
	;;#ASMEND
	;;#ASMSTART
	v_dot2_f32_f16 v77, v82, v6, v77
	;;#ASMEND
	;;#ASMSTART
	v_dot2_f32_f16 v77, v83, v7, v77
	;;#ASMEND
	;;#ASMSTART
	v_dot2_f32_f16 v78, v80, v8, v78
	;;#ASMEND
	;;#ASMSTART
	v_dot2_f32_f16 v78, v81, v9, v78
	;;#ASMEND
	;;#ASMSTART
	v_dot2_f32_f16 v78, v82, v10, v78
	;;#ASMEND
	;;#ASMSTART
	v_dot2_f32_f16 v78, v83, v11, v78
	;;#ASMEND
	ds_load_b128 v[0:3], v49 offset:32
	;; [unrolled: 55-line block ×7, first 2 shown]
	ds_load_b128 v[4:7], v40 offset:624
	ds_load_b128 v[8:11], v40 offset:1776
	;; [unrolled: 1-line block ×3, first 2 shown]
	s_wait_dscnt 0x2
	;;#ASMSTART
	v_dot2_f32_f16 v75, v0, v4, v75
	;;#ASMEND
	;;#ASMSTART
	v_dot2_f32_f16 v75, v1, v5, v75
	;;#ASMEND
	;;#ASMSTART
	v_dot2_f32_f16 v75, v2, v6, v75
	;;#ASMEND
	;;#ASMSTART
	v_dot2_f32_f16 v75, v3, v7, v75
	;;#ASMEND
	s_wait_dscnt 0x1
	;;#ASMSTART
	v_dot2_f32_f16 v76, v0, v8, v76
	;;#ASMEND
	;;#ASMSTART
	v_dot2_f32_f16 v76, v1, v9, v76
	;;#ASMEND
	;;#ASMSTART
	v_dot2_f32_f16 v76, v2, v10, v76
	;;#ASMEND
	;;#ASMSTART
	v_dot2_f32_f16 v76, v3, v11, v76
	;;#ASMEND
	;; [unrolled: 13-line block ×3, first 2 shown]
	;;#ASMSTART
	v_dot2_f32_f16 v78, v80, v8, v78
	;;#ASMEND
	;;#ASMSTART
	v_dot2_f32_f16 v78, v81, v9, v78
	;;#ASMEND
	;; [unrolled: 3-line block ×4, first 2 shown]
	s_barrier_signal -1
	s_barrier_wait -1
	s_clause 0x1
	global_load_b128 v[0:3], v[24:25], off offset:640
	global_load_b128 v[4:7], v[26:27], off offset:640
	s_wait_loadcnt 0x1
	ds_store_b128 v47, v[0:3]
	s_wait_loadcnt 0x0
	ds_store_b128 v48, v[4:7]
	s_wait_dscnt 0x0
	s_barrier_signal -1
	s_barrier_wait -1
	ds_load_b128 v[0:3], v49
	ds_load_b128 v[4:7], v40 offset:640
	ds_load_b128 v[8:11], v40 offset:1792
	ds_load_b128 v[80:83], v49 offset:4608
	s_wait_dscnt 0x2
	;;#ASMSTART
	v_dot2_f32_f16 v75, v0, v4, v75
	;;#ASMEND
	;;#ASMSTART
	v_dot2_f32_f16 v75, v1, v5, v75
	;;#ASMEND
	;;#ASMSTART
	v_dot2_f32_f16 v75, v2, v6, v75
	;;#ASMEND
	;;#ASMSTART
	v_dot2_f32_f16 v75, v3, v7, v75
	;;#ASMEND
	s_wait_dscnt 0x1
	;;#ASMSTART
	v_dot2_f32_f16 v76, v0, v8, v76
	;;#ASMEND
	;;#ASMSTART
	v_dot2_f32_f16 v76, v1, v9, v76
	;;#ASMEND
	;;#ASMSTART
	v_dot2_f32_f16 v76, v2, v10, v76
	;;#ASMEND
	;;#ASMSTART
	v_dot2_f32_f16 v76, v3, v11, v76
	;;#ASMEND
	s_wait_dscnt 0x0
	;;#ASMSTART
	v_dot2_f32_f16 v77, v80, v4, v77
	;;#ASMEND
	;;#ASMSTART
	v_dot2_f32_f16 v77, v81, v5, v77
	;;#ASMEND
	;;#ASMSTART
	v_dot2_f32_f16 v77, v82, v6, v77
	;;#ASMEND
	;;#ASMSTART
	v_dot2_f32_f16 v77, v83, v7, v77
	;;#ASMEND
	;;#ASMSTART
	v_dot2_f32_f16 v78, v80, v8, v78
	;;#ASMEND
	;;#ASMSTART
	v_dot2_f32_f16 v78, v81, v9, v78
	;;#ASMEND
	;;#ASMSTART
	v_dot2_f32_f16 v78, v82, v10, v78
	;;#ASMEND
	;;#ASMSTART
	v_dot2_f32_f16 v78, v83, v11, v78
	;;#ASMEND
	ds_load_b128 v[0:3], v49 offset:16
	ds_load_b128 v[4:7], v40 offset:656
	ds_load_b128 v[8:11], v40 offset:1808
	ds_load_b128 v[80:83], v49 offset:4624
	s_wait_dscnt 0x2
	;;#ASMSTART
	v_dot2_f32_f16 v75, v0, v4, v75
	;;#ASMEND
	;;#ASMSTART
	v_dot2_f32_f16 v75, v1, v5, v75
	;;#ASMEND
	;;#ASMSTART
	v_dot2_f32_f16 v75, v2, v6, v75
	;;#ASMEND
	;;#ASMSTART
	v_dot2_f32_f16 v75, v3, v7, v75
	;;#ASMEND
	s_wait_dscnt 0x1
	;;#ASMSTART
	v_dot2_f32_f16 v76, v0, v8, v76
	;;#ASMEND
	;;#ASMSTART
	v_dot2_f32_f16 v76, v1, v9, v76
	;;#ASMEND
	;;#ASMSTART
	v_dot2_f32_f16 v76, v2, v10, v76
	;;#ASMEND
	;;#ASMSTART
	v_dot2_f32_f16 v76, v3, v11, v76
	;;#ASMEND
	s_wait_dscnt 0x0
	;;#ASMSTART
	v_dot2_f32_f16 v77, v80, v4, v77
	;;#ASMEND
	;;#ASMSTART
	v_dot2_f32_f16 v77, v81, v5, v77
	;;#ASMEND
	;;#ASMSTART
	v_dot2_f32_f16 v77, v82, v6, v77
	;;#ASMEND
	;;#ASMSTART
	v_dot2_f32_f16 v77, v83, v7, v77
	;;#ASMEND
	;;#ASMSTART
	v_dot2_f32_f16 v78, v80, v8, v78
	;;#ASMEND
	;;#ASMSTART
	v_dot2_f32_f16 v78, v81, v9, v78
	;;#ASMEND
	;;#ASMSTART
	v_dot2_f32_f16 v78, v82, v10, v78
	;;#ASMEND
	;;#ASMSTART
	v_dot2_f32_f16 v78, v83, v11, v78
	;;#ASMEND
	ds_load_b128 v[0:3], v49 offset:32
	;; [unrolled: 55-line block ×7, first 2 shown]
	ds_load_b128 v[4:7], v40 offset:752
	ds_load_b128 v[8:11], v40 offset:1904
	;; [unrolled: 1-line block ×3, first 2 shown]
	s_wait_dscnt 0x2
	;;#ASMSTART
	v_dot2_f32_f16 v75, v0, v4, v75
	;;#ASMEND
	;;#ASMSTART
	v_dot2_f32_f16 v75, v1, v5, v75
	;;#ASMEND
	;;#ASMSTART
	v_dot2_f32_f16 v75, v2, v6, v75
	;;#ASMEND
	;;#ASMSTART
	v_dot2_f32_f16 v75, v3, v7, v75
	;;#ASMEND
	s_wait_dscnt 0x1
	;;#ASMSTART
	v_dot2_f32_f16 v76, v0, v8, v76
	;;#ASMEND
	;;#ASMSTART
	v_dot2_f32_f16 v76, v1, v9, v76
	;;#ASMEND
	;;#ASMSTART
	v_dot2_f32_f16 v76, v2, v10, v76
	;;#ASMEND
	;;#ASMSTART
	v_dot2_f32_f16 v76, v3, v11, v76
	;;#ASMEND
	;; [unrolled: 13-line block ×3, first 2 shown]
	;;#ASMSTART
	v_dot2_f32_f16 v78, v80, v8, v78
	;;#ASMEND
	;;#ASMSTART
	v_dot2_f32_f16 v78, v81, v9, v78
	;;#ASMEND
	;; [unrolled: 3-line block ×4, first 2 shown]
	s_barrier_signal -1
	s_barrier_wait -1
	s_clause 0x1
	global_load_b128 v[0:3], v[24:25], off offset:768
	global_load_b128 v[4:7], v[26:27], off offset:768
	s_wait_loadcnt 0x1
	ds_store_b128 v47, v[0:3]
	s_wait_loadcnt 0x0
	ds_store_b128 v48, v[4:7]
	s_wait_dscnt 0x0
	s_barrier_signal -1
	s_barrier_wait -1
	ds_load_b128 v[0:3], v49
	ds_load_b128 v[4:7], v40 offset:768
	ds_load_b128 v[8:11], v40 offset:1920
	ds_load_b128 v[80:83], v49 offset:4608
	s_wait_dscnt 0x2
	;;#ASMSTART
	v_dot2_f32_f16 v75, v0, v4, v75
	;;#ASMEND
	;;#ASMSTART
	v_dot2_f32_f16 v75, v1, v5, v75
	;;#ASMEND
	;;#ASMSTART
	v_dot2_f32_f16 v75, v2, v6, v75
	;;#ASMEND
	;;#ASMSTART
	v_dot2_f32_f16 v75, v3, v7, v75
	;;#ASMEND
	s_wait_dscnt 0x1
	;;#ASMSTART
	v_dot2_f32_f16 v76, v0, v8, v76
	;;#ASMEND
	;;#ASMSTART
	v_dot2_f32_f16 v76, v1, v9, v76
	;;#ASMEND
	;;#ASMSTART
	v_dot2_f32_f16 v76, v2, v10, v76
	;;#ASMEND
	;;#ASMSTART
	v_dot2_f32_f16 v76, v3, v11, v76
	;;#ASMEND
	s_wait_dscnt 0x0
	;;#ASMSTART
	v_dot2_f32_f16 v77, v80, v4, v77
	;;#ASMEND
	;;#ASMSTART
	v_dot2_f32_f16 v77, v81, v5, v77
	;;#ASMEND
	;;#ASMSTART
	v_dot2_f32_f16 v77, v82, v6, v77
	;;#ASMEND
	;;#ASMSTART
	v_dot2_f32_f16 v77, v83, v7, v77
	;;#ASMEND
	;;#ASMSTART
	v_dot2_f32_f16 v78, v80, v8, v78
	;;#ASMEND
	;;#ASMSTART
	v_dot2_f32_f16 v78, v81, v9, v78
	;;#ASMEND
	;;#ASMSTART
	v_dot2_f32_f16 v78, v82, v10, v78
	;;#ASMEND
	;;#ASMSTART
	v_dot2_f32_f16 v78, v83, v11, v78
	;;#ASMEND
	ds_load_b128 v[0:3], v49 offset:16
	ds_load_b128 v[4:7], v40 offset:784
	ds_load_b128 v[8:11], v40 offset:1936
	ds_load_b128 v[80:83], v49 offset:4624
	s_wait_dscnt 0x2
	;;#ASMSTART
	v_dot2_f32_f16 v75, v0, v4, v75
	;;#ASMEND
	;;#ASMSTART
	v_dot2_f32_f16 v75, v1, v5, v75
	;;#ASMEND
	;;#ASMSTART
	v_dot2_f32_f16 v75, v2, v6, v75
	;;#ASMEND
	;;#ASMSTART
	v_dot2_f32_f16 v75, v3, v7, v75
	;;#ASMEND
	s_wait_dscnt 0x1
	;;#ASMSTART
	v_dot2_f32_f16 v76, v0, v8, v76
	;;#ASMEND
	;;#ASMSTART
	v_dot2_f32_f16 v76, v1, v9, v76
	;;#ASMEND
	;;#ASMSTART
	v_dot2_f32_f16 v76, v2, v10, v76
	;;#ASMEND
	;;#ASMSTART
	v_dot2_f32_f16 v76, v3, v11, v76
	;;#ASMEND
	s_wait_dscnt 0x0
	;;#ASMSTART
	v_dot2_f32_f16 v77, v80, v4, v77
	;;#ASMEND
	;;#ASMSTART
	v_dot2_f32_f16 v77, v81, v5, v77
	;;#ASMEND
	;;#ASMSTART
	v_dot2_f32_f16 v77, v82, v6, v77
	;;#ASMEND
	;;#ASMSTART
	v_dot2_f32_f16 v77, v83, v7, v77
	;;#ASMEND
	;;#ASMSTART
	v_dot2_f32_f16 v78, v80, v8, v78
	;;#ASMEND
	;;#ASMSTART
	v_dot2_f32_f16 v78, v81, v9, v78
	;;#ASMEND
	;;#ASMSTART
	v_dot2_f32_f16 v78, v82, v10, v78
	;;#ASMEND
	;;#ASMSTART
	v_dot2_f32_f16 v78, v83, v11, v78
	;;#ASMEND
	ds_load_b128 v[0:3], v49 offset:32
	;; [unrolled: 55-line block ×7, first 2 shown]
	ds_load_b128 v[4:7], v40 offset:880
	ds_load_b128 v[8:11], v40 offset:2032
	;; [unrolled: 1-line block ×3, first 2 shown]
	s_wait_dscnt 0x2
	;;#ASMSTART
	v_dot2_f32_f16 v75, v0, v4, v75
	;;#ASMEND
	;;#ASMSTART
	v_dot2_f32_f16 v75, v1, v5, v75
	;;#ASMEND
	;;#ASMSTART
	v_dot2_f32_f16 v75, v2, v6, v75
	;;#ASMEND
	;;#ASMSTART
	v_dot2_f32_f16 v75, v3, v7, v75
	;;#ASMEND
	s_wait_dscnt 0x1
	;;#ASMSTART
	v_dot2_f32_f16 v76, v0, v8, v76
	;;#ASMEND
	;;#ASMSTART
	v_dot2_f32_f16 v76, v1, v9, v76
	;;#ASMEND
	;;#ASMSTART
	v_dot2_f32_f16 v76, v2, v10, v76
	;;#ASMEND
	;;#ASMSTART
	v_dot2_f32_f16 v76, v3, v11, v76
	;;#ASMEND
	;; [unrolled: 13-line block ×3, first 2 shown]
	;;#ASMSTART
	v_dot2_f32_f16 v78, v80, v8, v78
	;;#ASMEND
	;;#ASMSTART
	v_dot2_f32_f16 v78, v81, v9, v78
	;;#ASMEND
	;; [unrolled: 3-line block ×4, first 2 shown]
	s_barrier_signal -1
	s_barrier_wait -1
	s_clause 0x1
	global_load_b128 v[0:3], v[24:25], off offset:896
	global_load_b128 v[4:7], v[26:27], off offset:896
	s_wait_loadcnt 0x1
	ds_store_b128 v47, v[0:3]
	s_wait_loadcnt 0x0
	ds_store_b128 v48, v[4:7]
	s_wait_dscnt 0x0
	s_barrier_signal -1
	s_barrier_wait -1
	ds_load_b128 v[0:3], v49
	ds_load_b128 v[4:7], v40 offset:896
	ds_load_b128 v[8:11], v40 offset:2048
	ds_load_b128 v[80:83], v49 offset:4608
	s_wait_dscnt 0x2
	;;#ASMSTART
	v_dot2_f32_f16 v75, v0, v4, v75
	;;#ASMEND
	;;#ASMSTART
	v_dot2_f32_f16 v75, v1, v5, v75
	;;#ASMEND
	;;#ASMSTART
	v_dot2_f32_f16 v75, v2, v6, v75
	;;#ASMEND
	;;#ASMSTART
	v_dot2_f32_f16 v75, v3, v7, v75
	;;#ASMEND
	s_wait_dscnt 0x1
	;;#ASMSTART
	v_dot2_f32_f16 v76, v0, v8, v76
	;;#ASMEND
	;;#ASMSTART
	v_dot2_f32_f16 v76, v1, v9, v76
	;;#ASMEND
	;;#ASMSTART
	v_dot2_f32_f16 v76, v2, v10, v76
	;;#ASMEND
	;;#ASMSTART
	v_dot2_f32_f16 v76, v3, v11, v76
	;;#ASMEND
	s_wait_dscnt 0x0
	;;#ASMSTART
	v_dot2_f32_f16 v77, v80, v4, v77
	;;#ASMEND
	;;#ASMSTART
	v_dot2_f32_f16 v77, v81, v5, v77
	;;#ASMEND
	;;#ASMSTART
	v_dot2_f32_f16 v77, v82, v6, v77
	;;#ASMEND
	;;#ASMSTART
	v_dot2_f32_f16 v77, v83, v7, v77
	;;#ASMEND
	;;#ASMSTART
	v_dot2_f32_f16 v78, v80, v8, v78
	;;#ASMEND
	;;#ASMSTART
	v_dot2_f32_f16 v78, v81, v9, v78
	;;#ASMEND
	;;#ASMSTART
	v_dot2_f32_f16 v78, v82, v10, v78
	;;#ASMEND
	;;#ASMSTART
	v_dot2_f32_f16 v78, v83, v11, v78
	;;#ASMEND
	ds_load_b128 v[0:3], v49 offset:16
	ds_load_b128 v[4:7], v40 offset:912
	ds_load_b128 v[8:11], v40 offset:2064
	ds_load_b128 v[80:83], v49 offset:4624
	s_wait_dscnt 0x2
	;;#ASMSTART
	v_dot2_f32_f16 v75, v0, v4, v75
	;;#ASMEND
	;;#ASMSTART
	v_dot2_f32_f16 v75, v1, v5, v75
	;;#ASMEND
	;;#ASMSTART
	v_dot2_f32_f16 v75, v2, v6, v75
	;;#ASMEND
	;;#ASMSTART
	v_dot2_f32_f16 v75, v3, v7, v75
	;;#ASMEND
	s_wait_dscnt 0x1
	;;#ASMSTART
	v_dot2_f32_f16 v76, v0, v8, v76
	;;#ASMEND
	;;#ASMSTART
	v_dot2_f32_f16 v76, v1, v9, v76
	;;#ASMEND
	;;#ASMSTART
	v_dot2_f32_f16 v76, v2, v10, v76
	;;#ASMEND
	;;#ASMSTART
	v_dot2_f32_f16 v76, v3, v11, v76
	;;#ASMEND
	s_wait_dscnt 0x0
	;;#ASMSTART
	v_dot2_f32_f16 v77, v80, v4, v77
	;;#ASMEND
	;;#ASMSTART
	v_dot2_f32_f16 v77, v81, v5, v77
	;;#ASMEND
	;;#ASMSTART
	v_dot2_f32_f16 v77, v82, v6, v77
	;;#ASMEND
	;;#ASMSTART
	v_dot2_f32_f16 v77, v83, v7, v77
	;;#ASMEND
	;;#ASMSTART
	v_dot2_f32_f16 v78, v80, v8, v78
	;;#ASMEND
	;;#ASMSTART
	v_dot2_f32_f16 v78, v81, v9, v78
	;;#ASMEND
	;;#ASMSTART
	v_dot2_f32_f16 v78, v82, v10, v78
	;;#ASMEND
	;;#ASMSTART
	v_dot2_f32_f16 v78, v83, v11, v78
	;;#ASMEND
	ds_load_b128 v[0:3], v49 offset:32
	;; [unrolled: 55-line block ×7, first 2 shown]
	ds_load_b128 v[8:11], v40 offset:1008
	ds_load_b128 v[0:3], v40 offset:2160
	;; [unrolled: 1-line block ×3, first 2 shown]
	s_wait_dscnt 0x2
	;;#ASMSTART
	v_dot2_f32_f16 v75, v80, v8, v75
	;;#ASMEND
	;;#ASMSTART
	v_dot2_f32_f16 v75, v81, v9, v75
	;;#ASMEND
	;;#ASMSTART
	v_dot2_f32_f16 v75, v82, v10, v75
	;;#ASMEND
	;;#ASMSTART
	v_dot2_f32_f16 v75, v83, v11, v75
	;;#ASMEND
	s_wait_dscnt 0x1
	;;#ASMSTART
	v_dot2_f32_f16 v76, v80, v0, v76
	;;#ASMEND
	;;#ASMSTART
	v_dot2_f32_f16 v76, v81, v1, v76
	;;#ASMEND
	;;#ASMSTART
	v_dot2_f32_f16 v76, v82, v2, v76
	;;#ASMEND
	;;#ASMSTART
	v_dot2_f32_f16 v76, v83, v3, v76
	;;#ASMEND
	;; [unrolled: 13-line block ×3, first 2 shown]
	;;#ASMSTART
	v_dot2_f32_f16 v78, v4, v0, v78
	;;#ASMEND
	;;#ASMSTART
	v_dot2_f32_f16 v78, v5, v1, v78
	;;#ASMEND
	;; [unrolled: 3-line block ×4, first 2 shown]
	s_barrier_signal -1
	s_barrier_wait -1
	s_clause 0x1
	global_load_b128 v[0:3], v[24:25], off offset:1024
	global_load_b128 v[4:7], v[26:27], off offset:1024
	s_wait_loadcnt 0x1
	ds_store_b128 v47, v[0:3]
	s_wait_loadcnt 0x0
	ds_store_b128 v48, v[4:7]
	s_wait_dscnt 0x0
	s_barrier_signal -1
	s_barrier_wait -1
	ds_load_b128 v[0:3], v49
	ds_load_b128 v[4:7], v40 offset:1024
	ds_load_b128 v[8:11], v40 offset:2176
	ds_load_b128 v[24:27], v49 offset:4608
	s_wait_dscnt 0x2
	;;#ASMSTART
	v_dot2_f32_f16 v75, v0, v4, v75
	;;#ASMEND
	;;#ASMSTART
	v_dot2_f32_f16 v75, v1, v5, v75
	;;#ASMEND
	;;#ASMSTART
	v_dot2_f32_f16 v75, v2, v6, v75
	;;#ASMEND
	;;#ASMSTART
	v_dot2_f32_f16 v75, v3, v7, v75
	;;#ASMEND
	s_wait_dscnt 0x1
	;;#ASMSTART
	v_dot2_f32_f16 v76, v0, v8, v76
	;;#ASMEND
	;;#ASMSTART
	v_dot2_f32_f16 v76, v1, v9, v76
	;;#ASMEND
	;;#ASMSTART
	v_dot2_f32_f16 v76, v2, v10, v76
	;;#ASMEND
	;;#ASMSTART
	v_dot2_f32_f16 v76, v3, v11, v76
	;;#ASMEND
	s_wait_dscnt 0x0
	;;#ASMSTART
	v_dot2_f32_f16 v77, v24, v4, v77
	;;#ASMEND
	;;#ASMSTART
	v_dot2_f32_f16 v77, v25, v5, v77
	;;#ASMEND
	;;#ASMSTART
	v_dot2_f32_f16 v77, v26, v6, v77
	;;#ASMEND
	;;#ASMSTART
	v_dot2_f32_f16 v77, v27, v7, v77
	;;#ASMEND
	;;#ASMSTART
	v_dot2_f32_f16 v78, v24, v8, v78
	;;#ASMEND
	;;#ASMSTART
	v_dot2_f32_f16 v78, v25, v9, v78
	;;#ASMEND
	;;#ASMSTART
	v_dot2_f32_f16 v78, v26, v10, v78
	;;#ASMEND
	;;#ASMSTART
	v_dot2_f32_f16 v78, v27, v11, v78
	;;#ASMEND
	ds_load_b128 v[0:3], v49 offset:16
	ds_load_b128 v[4:7], v40 offset:1040
	ds_load_b128 v[8:11], v40 offset:2192
	ds_load_b128 v[24:27], v49 offset:4624
	s_wait_dscnt 0x2
	;;#ASMSTART
	v_dot2_f32_f16 v75, v0, v4, v75
	;;#ASMEND
	;;#ASMSTART
	v_dot2_f32_f16 v75, v1, v5, v75
	;;#ASMEND
	;;#ASMSTART
	v_dot2_f32_f16 v75, v2, v6, v75
	;;#ASMEND
	;;#ASMSTART
	v_dot2_f32_f16 v75, v3, v7, v75
	;;#ASMEND
	s_wait_dscnt 0x1
	;;#ASMSTART
	v_dot2_f32_f16 v76, v0, v8, v76
	;;#ASMEND
	;;#ASMSTART
	v_dot2_f32_f16 v76, v1, v9, v76
	;;#ASMEND
	;;#ASMSTART
	v_dot2_f32_f16 v76, v2, v10, v76
	;;#ASMEND
	;;#ASMSTART
	v_dot2_f32_f16 v76, v3, v11, v76
	;;#ASMEND
	s_wait_dscnt 0x0
	;;#ASMSTART
	v_dot2_f32_f16 v77, v24, v4, v77
	;;#ASMEND
	;;#ASMSTART
	v_dot2_f32_f16 v77, v25, v5, v77
	;;#ASMEND
	;;#ASMSTART
	v_dot2_f32_f16 v77, v26, v6, v77
	;;#ASMEND
	;;#ASMSTART
	v_dot2_f32_f16 v77, v27, v7, v77
	;;#ASMEND
	;;#ASMSTART
	v_dot2_f32_f16 v78, v24, v8, v78
	;;#ASMEND
	;;#ASMSTART
	v_dot2_f32_f16 v78, v25, v9, v78
	;;#ASMEND
	;;#ASMSTART
	v_dot2_f32_f16 v78, v26, v10, v78
	;;#ASMEND
	;;#ASMSTART
	v_dot2_f32_f16 v78, v27, v11, v78
	;;#ASMEND
	ds_load_b128 v[0:3], v49 offset:32
	;; [unrolled: 55-line block ×7, first 2 shown]
	ds_load_b128 v[4:7], v40 offset:1136
	ds_load_b128 v[8:11], v40 offset:2288
	;; [unrolled: 1-line block ×3, first 2 shown]
	s_wait_dscnt 0x2
	;;#ASMSTART
	v_dot2_f32_f16 v75, v0, v4, v75
	;;#ASMEND
	;;#ASMSTART
	v_dot2_f32_f16 v75, v1, v5, v75
	;;#ASMEND
	;;#ASMSTART
	v_dot2_f32_f16 v75, v2, v6, v75
	;;#ASMEND
	;;#ASMSTART
	v_dot2_f32_f16 v75, v3, v7, v75
	;;#ASMEND
	s_wait_dscnt 0x1
	;;#ASMSTART
	v_dot2_f32_f16 v76, v0, v8, v76
	;;#ASMEND
	;;#ASMSTART
	v_dot2_f32_f16 v76, v1, v9, v76
	;;#ASMEND
	;;#ASMSTART
	v_dot2_f32_f16 v76, v2, v10, v76
	;;#ASMEND
	;;#ASMSTART
	v_dot2_f32_f16 v76, v3, v11, v76
	;;#ASMEND
	;; [unrolled: 13-line block ×3, first 2 shown]
	;;#ASMSTART
	v_dot2_f32_f16 v78, v80, v8, v78
	;;#ASMEND
	;;#ASMSTART
	v_dot2_f32_f16 v78, v81, v9, v78
	;;#ASMEND
	;; [unrolled: 3-line block ×4, first 2 shown]
	s_clause 0x1
	global_load_u16 v0, v36, s[34:35] scale_offset
	global_load_u16 v1, v36, s[34:35] offset:64 scale_offset
	v_lshl_add_u64 v[24:25], s[6:7], 2, v[22:23]
	s_wait_loadcnt 0x0
	s_barrier_signal -1
	s_barrier_wait -1
	v_lshl_add_u64 v[26:27], s[4:5], 2, v[22:23]
	v_cvt_f32_f16_e32 v0, v0
	v_cvt_f32_f16_e32 v1, v1
	s_delay_alu instid0(VALU_DEP_2) | instskip(NEXT) | instid1(VALU_DEP_2)
	v_dual_add_f32 v2, v75, v0 :: v_dual_lshlrev_b32 v37, 2, v37
	v_dual_add_f32 v3, v77, v1 :: v_dual_add_f32 v0, v76, v0
	s_delay_alu instid0(VALU_DEP_2) | instskip(NEXT) | instid1(VALU_DEP_2)
	v_dual_add_f32 v1, v78, v1 :: v_dual_add_f32 v4, 0x40051340, v2
	v_dual_add_f32 v5, 0x40051340, v3 :: v_dual_add_f32 v6, 0x40051340, v0
	s_delay_alu instid0(VALU_DEP_2) | instskip(NEXT) | instid1(VALU_DEP_2)
	v_add_f32_e32 v7, 0x40051340, v1
	v_max3_num_f32 v4, v35, v4, v5
	s_delay_alu instid0(VALU_DEP_2) | instskip(SKIP_4) | instid1(VALU_DEP_1)
	v_max3_num_f32 v5, v34, v6, v7
	ds_bpermute_b32 v6, v79, v4
	ds_bpermute_b32 v7, v79, v5
	s_wait_dscnt 0x0
	v_dual_max_num_f32 v6, v6, v6 :: v_dual_max_num_f32 v7, v7, v7
	v_max_num_f32_e32 v4, v4, v6
	ds_bpermute_b32 v6, v84, v4
	s_wait_dscnt 0x0
	v_dual_max_num_f32 v5, v5, v7 :: v_dual_max_num_f32 v6, v6, v6
	ds_bpermute_b32 v7, v84, v5
	v_max_num_f32_e32 v4, v4, v6
	ds_bpermute_b32 v6, v85, v4
	s_wait_dscnt 0x1
	v_max_num_f32_e32 v7, v7, v7
	s_wait_dscnt 0x0
	s_delay_alu instid0(VALU_DEP_1)
	v_dual_max_num_f32 v5, v5, v7 :: v_dual_max_num_f32 v6, v6, v6
	ds_bpermute_b32 v7, v85, v5
	v_max_num_f32_e32 v4, v4, v6
	ds_bpermute_b32 v6, v86, v4
	s_wait_dscnt 0x1
	v_max_num_f32_e32 v7, v7, v7
	s_wait_dscnt 0x0
	s_delay_alu instid0(VALU_DEP_1)
	v_dual_max_num_f32 v5, v5, v7 :: v_dual_max_num_f32 v6, v6, v6
	ds_bpermute_b32 v7, v86, v5
	v_max_num_f32_e32 v4, v4, v6
	ds_bpermute_b32 v6, v37, v4
	s_wait_dscnt 0x1
	v_max_num_f32_e32 v7, v7, v7
	s_wait_dscnt 0x0
	s_delay_alu instid0(VALU_DEP_1) | instskip(SKIP_3) | instid1(VALU_DEP_1)
	v_dual_max_num_f32 v5, v5, v7 :: v_dual_max_num_f32 v6, v6, v6
	ds_bpermute_b32 v7, v37, v5
	v_max_num_f32_e32 v8, v4, v6
	s_wait_xcnt 0x0
	v_dual_sub_f32 v36, v2, v8 :: v_dual_sub_f32 v35, v35, v8
	s_delay_alu instid0(VALU_DEP_1) | instskip(SKIP_2) | instid1(VALU_DEP_1)
	v_cmp_ngt_f32_e64 s4, 0xc2ce8ed0, v35
	s_wait_dscnt 0x0
	v_max_num_f32_e32 v7, v7, v7
	v_dual_max_num_f32 v9, v5, v7 :: v_dual_sub_f32 v4, v3, v8
	v_mul_f32_e32 v5, 0x3fb8aa3b, v35
	s_delay_alu instid0(VALU_DEP_2) | instskip(NEXT) | instid1(VALU_DEP_3)
	v_dual_sub_f32 v37, v0, v9 :: v_dual_sub_f32 v75, v1, v9
	v_dual_sub_f32 v34, v34, v9 :: v_dual_mul_f32 v1, 0x3fb8aa3b, v4
	v_mul_f32_e32 v0, 0x3fb8aa3b, v36
	s_delay_alu instid0(VALU_DEP_3) | instskip(SKIP_1) | instid1(VALU_DEP_4)
	v_dual_mul_f32 v2, 0x3fb8aa3b, v37 :: v_dual_mul_f32 v3, 0x3fb8aa3b, v75
	v_rndne_f32_e32 v80, v5
	v_fma_f32 v10, 0x3fb8aa3b, v4, -v1
	s_delay_alu instid0(VALU_DEP_4)
	v_fma_f32 v7, 0x3fb8aa3b, v36, -v0
	v_rndne_f32_e32 v76, v0
	v_rndne_f32_e32 v78, v1
	v_fma_f32 v11, 0x3fb8aa3b, v37, -v2
	v_rndne_f32_e32 v79, v2
	v_fmac_f32_e32 v7, 0x32a5705f, v36
	s_delay_alu instid0(VALU_DEP_4) | instskip(NEXT) | instid1(VALU_DEP_4)
	v_dual_sub_f32 v0, v0, v76 :: v_dual_sub_f32 v1, v1, v78
	v_dual_fmac_f32 v10, 0x32a5705f, v4 :: v_dual_fmac_f32 v11, 0x32a5705f, v37
	s_delay_alu instid0(VALU_DEP_4) | instskip(NEXT) | instid1(VALU_DEP_3)
	v_sub_f32_e32 v2, v2, v79
	v_add_f32_e32 v0, v0, v7
	v_rndne_f32_e32 v7, v3
	s_delay_alu instid0(VALU_DEP_4)
	v_add_f32_e32 v1, v1, v10
	v_fma_f32 v10, 0x3fb8aa3b, v35, -v5
	v_sub_f32_e32 v5, v5, v80
	v_exp_f32_e32 v0, v0
	v_mul_f32_e32 v6, 0x3fb8aa3b, v34
	v_fma_f32 v77, 0x3fb8aa3b, v75, -v3
	v_fmac_f32_e32 v10, 0x32a5705f, v35
	v_sub_f32_e32 v3, v3, v7
	v_exp_f32_e32 v1, v1
	v_cmp_ngt_f32_e32 vcc_lo, 0xc2ce8ed0, v4
	v_cmp_ngt_f32_e64 s6, 0xc2ce8ed0, v37
	v_add_f32_e32 v5, v5, v10
	v_cvt_i32_f32_e32 v10, v76
	v_cvt_i32_f32_e32 v7, v7
	v_cmp_ngt_f32_e64 s5, 0xc2ce8ed0, v34
	s_delay_alu instid0(VALU_DEP_3) | instskip(SKIP_3) | instid1(VALU_DEP_3)
	v_ldexp_f32 v76, v0, v10
	v_cvt_i32_f32_e32 v0, v78
	v_cvt_i32_f32_e32 v78, v79
	v_cvt_i32_f32_e32 v79, v80
	v_ldexp_f32 v80, v1, v0
	s_delay_alu instid0(VALU_DEP_1) | instskip(NEXT) | instid1(VALU_DEP_1)
	v_dual_fmac_f32 v77, 0x32a5705f, v75 :: v_dual_cndmask_b32 v80, 0, v80
	v_dual_add_f32 v2, v2, v11 :: v_dual_add_f32 v3, v3, v77
	v_fma_f32 v11, 0x3fb8aa3b, v34, -v6
	v_rndne_f32_e32 v77, v6
	v_cmp_nlt_f32_e32 vcc_lo, 0x42b17218, v4
	s_delay_alu instid0(VALU_DEP_4) | instskip(SKIP_1) | instid1(VALU_DEP_2)
	v_exp_f32_e32 v2, v2
	v_exp_f32_e32 v3, v3
	v_dual_fmac_f32 v11, 0x32a5705f, v34 :: v_dual_sub_f32 v6, v6, v77
	v_exp_f32_e32 v5, v5
	s_delay_alu instid0(TRANS32_DEP_3) | instskip(NEXT) | instid1(VALU_DEP_2)
	v_ldexp_f32 v78, v2, v78
	v_add_f32_e32 v6, v6, v11
	s_delay_alu instid0(TRANS32_DEP_2)
	v_ldexp_f32 v81, v3, v7
	global_load_b128 v[0:3], v[32:33], off
	v_ldexp_f32 v79, v5, v79
	v_cvt_i32_f32_e32 v5, v77
	v_exp_f32_e32 v6, v6
	v_lshl_add_u64 v[10:11], s[2:3], 2, v[22:23]
	v_cmp_ngt_f32_e64 s2, 0xc2ce8ed0, v36
	v_cmp_ngt_f32_e64 s3, 0xc2ce8ed0, v75
	s_delay_alu instid0(TRANS32_DEP_1)
	v_ldexp_f32 v77, v6, v5
	global_load_b128 v[4:7], v[32:33], off offset:512
	s_wait_xcnt 0x0
	v_cndmask_b32_e64 v32, 0, v78, s6
	v_cmp_nlt_f32_e64 s6, 0x42b17218, v37
	v_dual_cndmask_b32 v33, 0, v81, s3 :: v_dual_cndmask_b32 v37, 0, v76, s2
	v_cmp_nlt_f32_e64 s3, 0x42b17218, v75
	v_dual_cndmask_b32 v75, 0, v79, s4 :: v_dual_cndmask_b32 v76, 0, v77, s5
	v_cmp_nlt_f32_e64 s5, 0x42b17218, v36
	v_cmp_nlt_f32_e64 s2, 0x42b17218, v35
	;; [unrolled: 1-line block ×3, first 2 shown]
	v_cndmask_b32_e64 v35, 0x7f800000, v32, s6
	v_cndmask_b32_e32 v36, 0x7f800000, v80, vcc_lo
	v_cndmask_b32_e64 v34, 0x7f800000, v37, s5
	v_cndmask_b32_e64 v37, 0x7f800000, v33, s3
	;; [unrolled: 1-line block ×4, first 2 shown]
	s_delay_alu instid0(VALU_DEP_4) | instskip(NEXT) | instid1(VALU_DEP_4)
	v_cvt_pk_f16_f32 v75, v34, v35
	v_cvt_pk_f16_f32 v76, v36, v37
	ds_store_2addr_b32 v55, v75, v76 offset1:32
	s_wait_loadcnt 0x1
	ds_store_b128 v52, v[0:3]
	s_wait_loadcnt 0x0
	ds_store_b128 v53, v[4:7]
	s_wait_dscnt 0x0
	s_barrier_signal -1
	s_barrier_wait -1
	ds_load_b128 v[2:5], v51
	v_cvt_f16_f32_e32 v77, v32
	v_cvt_f16_f32_e32 v78, v33
	v_pk_add_f32 v[80:81], v[34:35], v[36:37]
	s_delay_alu instid0(VALU_DEP_3) | instskip(NEXT) | instid1(VALU_DEP_3)
	v_and_b32_e32 v0, 0xffff, v77
	v_and_b32_e32 v1, 0xffff, v78
	ds_load_2addr_b64 v[34:37], v54 offset0:64 offset1:96
	ds_load_b128 v[76:79], v51 offset:16
	v_pk_fma_f32 v[14:15], v[14:15], v[32:33], v[80:81]
	v_mul_u32_u24_e32 v6, 0x10001, v0
	v_mul_u32_u24_e32 v7, 0x10001, v1
	s_delay_alu instid0(VALU_DEP_2)
	v_pk_mul_f16 v33, v67, v6
	v_pk_mul_f16 v0, v73, v6
	;; [unrolled: 1-line block ×4, first 2 shown]
	s_wait_dscnt 0x2
	v_and_b32_e32 v67, 0xffff, v2
	v_lshrrev_b32_e32 v2, 16, v2
	v_pk_mul_f16 v64, v64, v7
	v_pk_mul_f16 v61, v61, v7
	;; [unrolled: 1-line block ×3, first 2 shown]
	v_mul_u32_u24_e32 v67, 0x10001, v67
	v_mul_u32_u24_e32 v2, 0x10001, v2
	v_pk_mul_f16 v59, v59, v7
	v_pk_mul_f16 v71, v72, v6
	;; [unrolled: 1-line block ×3, first 2 shown]
	s_wait_dscnt 0x1
	v_pk_fma_f16 v0, v34, v67, v0
	v_pk_fma_f16 v64, v34, v2, v64
	;; [unrolled: 1-line block ×7, first 2 shown]
	ds_load_2addr_b64 v[32:35], v54 offset1:32
	v_pk_fma_f16 v37, v37, v2, v59
	v_pk_mul_f16 v59, v74, v6
	v_pk_mul_f16 v66, v66, v7
	;; [unrolled: 1-line block ×4, first 2 shown]
	s_wait_dscnt 0x0
	v_pk_fma_f16 v59, v33, v67, v59
	v_pk_fma_f16 v71, v34, v67, v71
	;; [unrolled: 1-line block ×3, first 2 shown]
	v_pk_mul_f16 v67, v32, v67
	v_pk_fma_f16 v66, v33, v2, v66
	v_pk_fma_f16 v65, v34, v2, v65
	;; [unrolled: 1-line block ×3, first 2 shown]
	v_pk_mul_f16 v72, v32, v2
	ds_load_2addr_b64 v[32:35], v54 offset0:192 offset1:224
	v_and_b32_e32 v2, 0xffff, v3
	v_lshrrev_b32_e32 v3, 16, v3
	v_pk_fma_f16 v6, v68, v6, v67
	v_pk_fma_f16 v7, v62, v7, v72
	s_delay_alu instid0(VALU_DEP_4) | instskip(NEXT) | instid1(VALU_DEP_4)
	v_mul_u32_u24_e32 v73, 0x10001, v2
	v_mul_u32_u24_e32 v74, 0x10001, v3
	v_lshl_add_u64 v[2:3], s[26:27], 2, v[22:23]
	s_wait_dscnt 0x0
	s_delay_alu instid0(VALU_DEP_3) | instskip(NEXT) | instid1(VALU_DEP_3)
	v_pk_fma_f16 v75, v32, v73, v0
	v_pk_fma_f16 v64, v32, v74, v64
	v_pk_fma_f16 v80, v33, v73, v1
	v_pk_fma_f16 v61, v33, v74, v61
	v_pk_fma_f16 v69, v34, v73, v69
	v_pk_fma_f16 v36, v34, v74, v36
	v_pk_fma_f16 v60, v35, v73, v60
	v_pk_fma_f16 v37, v35, v74, v37
	ds_load_2addr_b64 v[32:35], v54 offset0:128 offset1:160
	v_lshl_add_u64 v[0:1], s[36:37], 2, v[22:23]
	s_wait_dscnt 0x0
	v_pk_fma_f16 v59, v33, v73, v59
	v_pk_fma_f16 v62, v34, v73, v71
	;; [unrolled: 1-line block ×8, first 2 shown]
	ds_load_2addr_b64 v[32:35], v56 offset0:64 offset1:96
	v_and_b32_e32 v7, 0xffff, v4
	v_lshrrev_b32_e32 v4, 16, v4
	v_and_b32_e32 v73, 0xffff, v5
	v_lshrrev_b32_e32 v74, 16, v5
	s_delay_alu instid0(VALU_DEP_4) | instskip(NEXT) | instid1(VALU_DEP_4)
	v_mul_u32_u24_e32 v7, 0x10001, v7
	v_mul_u32_u24_e32 v70, 0x10001, v4
	s_wait_dscnt 0x0
	s_delay_alu instid0(VALU_DEP_2) | instskip(NEXT) | instid1(VALU_DEP_2)
	v_pk_fma_f16 v71, v32, v7, v75
	v_pk_fma_f16 v64, v32, v70, v64
	;; [unrolled: 1-line block ×8, first 2 shown]
	ds_load_2addr_b64 v[32:35], v56 offset1:32
	s_wait_dscnt 0x0
	v_pk_fma_f16 v59, v33, v7, v59
	v_pk_fma_f16 v62, v34, v7, v62
	;; [unrolled: 1-line block ×4, first 2 shown]
	ds_load_2addr_b64 v[4:7], v56 offset0:192 offset1:224
	v_pk_fma_f16 v66, v33, v70, v66
	v_pk_fma_f16 v65, v34, v70, v65
	;; [unrolled: 1-line block ×4, first 2 shown]
	ds_load_2addr_b64 v[32:35], v56 offset0:128 offset1:160
	v_mul_u32_u24_e32 v70, 0x10001, v73
	v_mul_u32_u24_e32 v73, 0x10001, v74
	v_lshrrev_b32_e32 v74, 16, v76
	s_delay_alu instid0(VALU_DEP_1)
	v_mul_u32_u24_e32 v74, 0x10001, v74
	s_wait_dscnt 0x1
	v_pk_fma_f16 v71, v4, v70, v71
	v_pk_fma_f16 v64, v4, v73, v64
	;; [unrolled: 1-line block ×8, first 2 shown]
	ds_load_2addr_b64 v[4:7], v57 offset0:64 offset1:96
	s_wait_dscnt 0x1
	v_pk_fma_f16 v59, v33, v70, v59
	v_pk_fma_f16 v62, v34, v70, v62
	;; [unrolled: 1-line block ×8, first 2 shown]
	ds_load_2addr_b64 v[32:35], v57 offset1:32
	v_and_b32_e32 v73, 0xffff, v76
	s_delay_alu instid0(VALU_DEP_1) | instskip(SKIP_1) | instid1(VALU_DEP_1)
	v_mul_u32_u24_e32 v73, 0x10001, v73
	s_wait_dscnt 0x1
	v_pk_fma_f16 v71, v4, v73, v71
	v_pk_fma_f16 v64, v4, v74, v64
	;; [unrolled: 1-line block ×8, first 2 shown]
	ds_load_2addr_b64 v[4:7], v57 offset0:192 offset1:224
	s_wait_dscnt 0x1
	v_pk_fma_f16 v59, v33, v73, v59
	v_pk_fma_f16 v62, v34, v73, v62
	;; [unrolled: 1-line block ×8, first 2 shown]
	ds_load_2addr_b64 v[32:35], v57 offset0:128 offset1:160
	v_and_b32_e32 v73, 0xffff, v77
	v_lshrrev_b32_e32 v74, 16, v77
	v_and_b32_e32 v77, 0xffff, v79
	s_delay_alu instid0(VALU_DEP_3) | instskip(NEXT) | instid1(VALU_DEP_3)
	v_mul_u32_u24_e32 v73, 0x10001, v73
	v_mul_u32_u24_e32 v74, 0x10001, v74
	s_wait_dscnt 0x1
	s_delay_alu instid0(VALU_DEP_2) | instskip(NEXT) | instid1(VALU_DEP_2)
	v_pk_fma_f16 v71, v4, v73, v71
	v_pk_fma_f16 v64, v4, v74, v64
	;; [unrolled: 1-line block ×8, first 2 shown]
	ds_load_2addr_b64 v[4:7], v58 offset0:64 offset1:96
	s_wait_dscnt 0x1
	v_pk_fma_f16 v59, v33, v73, v59
	v_pk_fma_f16 v62, v34, v73, v62
	;; [unrolled: 1-line block ×5, first 2 shown]
	v_and_b32_e32 v70, 0xffff, v78
	v_lshrrev_b32_e32 v73, 16, v78
	v_pk_fma_f16 v66, v33, v74, v66
	v_pk_fma_f16 v65, v34, v74, v65
	;; [unrolled: 1-line block ×3, first 2 shown]
	ds_load_2addr_b64 v[32:35], v58 offset1:32
	v_mul_u32_u24_e32 v70, 0x10001, v70
	v_mul_u32_u24_e32 v73, 0x10001, v73
	v_lshrrev_b32_e32 v78, 16, v79
	s_wait_dscnt 0x1
	s_delay_alu instid0(VALU_DEP_3) | instskip(NEXT) | instid1(VALU_DEP_3)
	v_pk_fma_f16 v71, v4, v70, v71
	v_pk_fma_f16 v64, v4, v73, v64
	;; [unrolled: 1-line block ×8, first 2 shown]
	ds_load_2addr_b64 v[4:7], v58 offset0:192 offset1:224
	s_wait_dscnt 0x1
	v_pk_fma_f16 v66, v33, v73, v66
	v_pk_fma_f16 v65, v34, v73, v65
	;; [unrolled: 1-line block ×4, first 2 shown]
	v_mul_u32_u24_e32 v73, 0x10001, v77
	v_mul_u32_u24_e32 v77, 0x10001, v78
	v_pk_fma_f16 v59, v33, v70, v59
	v_pk_fma_f16 v79, v34, v70, v62
	;; [unrolled: 1-line block ×4, first 2 shown]
	ds_load_2addr_b64 v[60:63], v58 offset0:128 offset1:160
	s_wait_dscnt 0x0
	s_barrier_signal -1
	s_barrier_wait -1
	global_load_b128 v[32:35], v[30:31], off
	v_pk_fma_f16 v71, v4, v73, v71
	v_pk_fma_f16 v64, v4, v77, v64
	;; [unrolled: 1-line block ×8, first 2 shown]
	global_load_b128 v[4:7], v[30:31], off offset:512
	s_wait_loadcnt 0x1
	ds_store_b128 v52, v[32:35]
	s_wait_loadcnt 0x0
	ds_store_b128 v53, v[4:7]
	s_wait_dscnt 0x0
	s_barrier_signal -1
	s_barrier_wait -1
	ds_load_b128 v[4:7], v51 offset:32
	ds_load_2addr_b64 v[30:33], v54 offset1:32
	ds_load_b128 v[34:37], v51 offset:48
	v_pk_fma_f16 v59, v61, v73, v59
	v_pk_fma_f16 v61, v61, v77, v66
	;; [unrolled: 1-line block ×8, first 2 shown]
	s_wait_dscnt 0x2
	v_and_b32_e32 v66, 0xffff, v4
	v_lshrrev_b32_e32 v4, 16, v4
	s_delay_alu instid0(VALU_DEP_2) | instskip(NEXT) | instid1(VALU_DEP_2)
	v_mul_u32_u24_e32 v66, 0x10001, v66
	v_mul_u32_u24_e32 v4, 0x10001, v4
	s_wait_dscnt 0x1
	s_delay_alu instid0(VALU_DEP_2) | instskip(NEXT) | instid1(VALU_DEP_2)
	v_pk_fma_f16 v65, v30, v66, v65
	v_pk_fma_f16 v68, v30, v4, v60
	;; [unrolled: 1-line block ×8, first 2 shown]
	ds_load_2addr_b64 v[30:33], v54 offset0:64 offset1:96
	ds_load_2addr_b64 v[60:63], v54 offset0:128 offset1:160
	s_wait_dscnt 0x1
	v_pk_fma_f16 v71, v30, v66, v71
	v_pk_fma_f16 v64, v30, v4, v64
	v_and_b32_e32 v30, 0xffff, v5
	v_pk_fma_f16 v72, v31, v66, v72
	v_pk_fma_f16 v69, v32, v66, v69
	;; [unrolled: 1-line block ×6, first 2 shown]
	v_mul_u32_u24_e32 v78, 0x10001, v30
	ds_load_2addr_b64 v[30:33], v54 offset0:192 offset1:224
	v_lshrrev_b32_e32 v5, 16, v5
	s_wait_dscnt 0x1
	v_pk_fma_f16 v65, v60, v78, v65
	v_pk_fma_f16 v59, v61, v78, v59
	s_delay_alu instid0(VALU_DEP_3) | instskip(SKIP_2) | instid1(VALU_DEP_3)
	v_mul_u32_u24_e32 v5, 0x10001, v5
	v_pk_fma_f16 v73, v62, v78, v73
	v_pk_fma_f16 v67, v63, v78, v67
	;; [unrolled: 1-line block ×6, first 2 shown]
	ds_load_2addr_b64 v[60:63], v56 offset1:32
	s_wait_dscnt 0x1
	v_pk_fma_f16 v71, v30, v78, v71
	v_pk_fma_f16 v72, v31, v78, v72
	;; [unrolled: 1-line block ×8, first 2 shown]
	ds_load_2addr_b64 v[30:33], v56 offset0:64 offset1:96
	v_and_b32_e32 v5, 0xffff, v6
	v_lshrrev_b32_e32 v6, 16, v6
	s_delay_alu instid0(VALU_DEP_2) | instskip(SKIP_1) | instid1(VALU_DEP_1)
	v_mul_u32_u24_e32 v5, 0x10001, v5
	s_wait_dscnt 0x1
	v_pk_fma_f16 v65, v60, v5, v65
	v_pk_fma_f16 v59, v61, v5, v59
	v_pk_fma_f16 v73, v62, v5, v73
	v_pk_fma_f16 v67, v63, v5, v67
	s_wait_dscnt 0x0
	v_pk_fma_f16 v71, v30, v5, v71
	v_pk_fma_f16 v72, v31, v5, v72
	;; [unrolled: 1-line block ×4, first 2 shown]
	v_lshrrev_b32_e32 v5, 16, v7
	v_mul_u32_u24_e32 v6, 0x10001, v6
	s_delay_alu instid0(VALU_DEP_2) | instskip(NEXT) | instid1(VALU_DEP_2)
	v_mul_u32_u24_e32 v80, 0x10001, v5
	v_pk_fma_f16 v68, v60, v6, v68
	v_pk_fma_f16 v70, v61, v6, v70
	;; [unrolled: 1-line block ×4, first 2 shown]
	ds_load_2addr_b64 v[60:63], v56 offset0:128 offset1:160
	v_pk_fma_f16 v64, v30, v6, v64
	v_pk_fma_f16 v74, v31, v6, v74
	;; [unrolled: 1-line block ×4, first 2 shown]
	ds_load_2addr_b64 v[30:33], v56 offset0:192 offset1:224
	v_and_b32_e32 v4, 0xffff, v7
	s_delay_alu instid0(VALU_DEP_1)
	v_mul_u32_u24_e32 v79, 0x10001, v4
	ds_load_2addr_b64 v[4:7], v57 offset1:32
	s_wait_dscnt 0x2
	v_pk_fma_f16 v65, v60, v79, v65
	v_pk_fma_f16 v68, v60, v80, v68
	;; [unrolled: 1-line block ×8, first 2 shown]
	ds_load_2addr_b64 v[60:63], v57 offset0:64 offset1:96
	s_wait_dscnt 0x2
	v_pk_fma_f16 v71, v30, v79, v71
	v_pk_fma_f16 v72, v31, v79, v72
	;; [unrolled: 1-line block ×4, first 2 shown]
	v_and_b32_e32 v30, 0xffff, v34
	v_lshrrev_b32_e32 v31, 16, v34
	v_pk_fma_f16 v69, v32, v79, v69
	v_pk_fma_f16 v66, v33, v79, v66
	;; [unrolled: 1-line block ×3, first 2 shown]
	v_mul_u32_u24_e32 v30, 0x10001, v30
	v_mul_u32_u24_e32 v34, 0x10001, v31
	v_pk_fma_f16 v78, v33, v80, v78
	v_lshrrev_b32_e32 v80, 16, v37
	v_and_b32_e32 v79, 0xffff, v37
	s_wait_dscnt 0x1
	v_pk_fma_f16 v65, v4, v30, v65
	v_pk_fma_f16 v68, v4, v34, v68
	;; [unrolled: 1-line block ×8, first 2 shown]
	ds_load_2addr_b64 v[4:7], v57 offset0:128 offset1:160
	s_wait_dscnt 0x1
	v_pk_fma_f16 v71, v60, v30, v71
	v_pk_fma_f16 v72, v61, v30, v72
	;; [unrolled: 1-line block ×4, first 2 shown]
	ds_load_2addr_b64 v[30:33], v57 offset0:192 offset1:224
	v_pk_fma_f16 v64, v60, v34, v64
	v_and_b32_e32 v60, 0xffff, v35
	v_lshrrev_b32_e32 v35, 16, v35
	v_pk_fma_f16 v74, v61, v34, v74
	v_pk_fma_f16 v76, v62, v34, v76
	;; [unrolled: 1-line block ×3, first 2 shown]
	v_mul_u32_u24_e32 v60, 0x10001, v60
	v_mul_u32_u24_e32 v35, 0x10001, v35
	s_wait_dscnt 0x1
	s_delay_alu instid0(VALU_DEP_2) | instskip(NEXT) | instid1(VALU_DEP_2)
	v_pk_fma_f16 v65, v4, v60, v65
	v_pk_fma_f16 v68, v4, v35, v68
	;; [unrolled: 1-line block ×8, first 2 shown]
	ds_load_2addr_b64 v[4:7], v58 offset1:32
	s_wait_dscnt 0x1
	v_pk_fma_f16 v71, v30, v60, v71
	v_pk_fma_f16 v72, v31, v60, v72
	;; [unrolled: 1-line block ×4, first 2 shown]
	ds_load_2addr_b64 v[60:63], v58 offset0:64 offset1:96
	v_pk_fma_f16 v64, v30, v35, v64
	v_pk_fma_f16 v74, v31, v35, v74
	v_and_b32_e32 v30, 0xffff, v36
	v_lshrrev_b32_e32 v31, 16, v36
	v_pk_fma_f16 v76, v32, v35, v76
	v_pk_fma_f16 v34, v33, v35, v34
	s_delay_alu instid0(VALU_DEP_4) | instskip(NEXT) | instid1(VALU_DEP_4)
	v_mul_u32_u24_e32 v30, 0x10001, v30
	v_mul_u32_u24_e32 v35, 0x10001, v31
	s_wait_dscnt 0x1
	s_delay_alu instid0(VALU_DEP_2) | instskip(NEXT) | instid1(VALU_DEP_2)
	v_pk_fma_f16 v65, v4, v30, v65
	v_pk_fma_f16 v68, v4, v35, v68
	;; [unrolled: 1-line block ×8, first 2 shown]
	ds_load_2addr_b64 v[4:7], v58 offset0:128 offset1:160
	s_wait_dscnt 0x1
	v_pk_fma_f16 v71, v60, v30, v71
	v_pk_fma_f16 v72, v61, v30, v72
	;; [unrolled: 1-line block ×4, first 2 shown]
	ds_load_2addr_b64 v[30:33], v58 offset0:192 offset1:224
	s_wait_dscnt 0x0
	s_barrier_signal -1
	s_barrier_wait -1
	v_pk_fma_f16 v64, v60, v35, v64
	v_pk_fma_f16 v74, v61, v35, v74
	;; [unrolled: 1-line block ×4, first 2 shown]
	s_clause 0x1
	global_load_b128 v[60:63], v[28:29], off
	global_load_b128 v[34:37], v[28:29], off offset:512
	s_wait_xcnt 0x0
	v_mul_u32_u24_e32 v28, 0x10001, v79
	v_mul_u32_u24_e32 v29, 0x10001, v80
	s_wait_loadcnt 0x1
	ds_store_b128 v52, v[60:63]
	s_wait_loadcnt 0x0
	ds_store_b128 v53, v[34:37]
	v_pk_fma_f16 v65, v4, v28, v65
	v_pk_fma_f16 v68, v4, v29, v68
	;; [unrolled: 1-line block ×16, first 2 shown]
	s_wait_dscnt 0x0
	s_barrier_signal -1
	s_barrier_wait -1
	ds_load_b128 v[4:7], v51 offset:64
	ds_load_2addr_b64 v[28:31], v54 offset1:32
	ds_load_2addr_b64 v[32:35], v54 offset0:64 offset1:96
	ds_load_b128 v[60:63], v51 offset:80
	s_wait_dscnt 0x3
	v_and_b32_e32 v36, 0xffff, v4
	v_dual_lshrrev_b32 v4, 16, v4 :: v_dual_lshrrev_b32 v79, 16, v7
	s_delay_alu instid0(VALU_DEP_2) | instskip(NEXT) | instid1(VALU_DEP_2)
	v_mul_u32_u24_e32 v36, 0x10001, v36
	v_mul_u32_u24_e32 v4, 0x10001, v4
	s_wait_dscnt 0x2
	s_delay_alu instid0(VALU_DEP_2) | instskip(NEXT) | instid1(VALU_DEP_2)
	v_pk_fma_f16 v37, v28, v36, v65
	v_pk_fma_f16 v65, v28, v4, v68
	;; [unrolled: 1-line block ×8, first 2 shown]
	ds_load_2addr_b64 v[28:31], v54 offset0:128 offset1:160
	s_wait_dscnt 0x2
	v_pk_fma_f16 v71, v32, v36, v71
	v_pk_fma_f16 v72, v33, v36, v72
	;; [unrolled: 1-line block ×8, first 2 shown]
	ds_load_2addr_b64 v[32:35], v54 offset0:192 offset1:224
	v_and_b32_e32 v76, 0xffff, v5
	v_lshrrev_b32_e32 v5, 16, v5
	v_and_b32_e32 v78, 0xffff, v7
	s_delay_alu instid0(VALU_DEP_3) | instskip(NEXT) | instid1(VALU_DEP_3)
	v_mul_u32_u24_e32 v76, 0x10001, v76
	v_mul_u32_u24_e32 v5, 0x10001, v5
	s_wait_dscnt 0x1
	s_delay_alu instid0(VALU_DEP_2) | instskip(NEXT) | instid1(VALU_DEP_2)
	v_pk_fma_f16 v37, v28, v76, v37
	v_pk_fma_f16 v65, v28, v5, v65
	;; [unrolled: 1-line block ×8, first 2 shown]
	ds_load_2addr_b64 v[28:31], v56 offset1:32
	s_wait_dscnt 0x1
	v_pk_fma_f16 v71, v32, v76, v71
	v_pk_fma_f16 v72, v33, v76, v72
	;; [unrolled: 1-line block ×8, first 2 shown]
	ds_load_2addr_b64 v[32:35], v56 offset0:64 offset1:96
	v_and_b32_e32 v4, 0xffff, v6
	v_lshrrev_b32_e32 v5, 16, v6
	s_delay_alu instid0(VALU_DEP_2) | instskip(NEXT) | instid1(VALU_DEP_2)
	v_mul_u32_u24_e32 v4, 0x10001, v4
	v_mul_u32_u24_e32 v77, 0x10001, v5
	s_wait_dscnt 0x1
	s_delay_alu instid0(VALU_DEP_2) | instskip(NEXT) | instid1(VALU_DEP_2)
	v_pk_fma_f16 v37, v28, v4, v37
	v_pk_fma_f16 v65, v28, v77, v65
	v_pk_fma_f16 v59, v29, v4, v59
	v_pk_fma_f16 v68, v29, v77, v68
	v_pk_fma_f16 v70, v30, v4, v70
	v_pk_fma_f16 v73, v30, v77, v73
	v_pk_fma_f16 v67, v31, v4, v67
	v_pk_fma_f16 v75, v31, v77, v75
	ds_load_2addr_b64 v[28:31], v56 offset0:128 offset1:160
	s_wait_dscnt 0x1
	v_pk_fma_f16 v71, v32, v4, v71
	v_pk_fma_f16 v72, v33, v4, v72
	v_pk_fma_f16 v69, v34, v4, v69
	v_pk_fma_f16 v36, v35, v4, v36
	ds_load_2addr_b64 v[4:7], v56 offset0:192 offset1:224
	v_pk_fma_f16 v64, v32, v77, v64
	v_pk_fma_f16 v66, v33, v77, v66
	;; [unrolled: 1-line block ×4, first 2 shown]
	v_mul_u32_u24_e32 v77, 0x10001, v78
	v_mul_u32_u24_e32 v78, 0x10001, v79
	ds_load_2addr_b64 v[32:35], v57 offset1:32
	s_wait_dscnt 0x2
	v_pk_fma_f16 v37, v28, v77, v37
	v_pk_fma_f16 v65, v28, v78, v65
	;; [unrolled: 1-line block ×8, first 2 shown]
	ds_load_2addr_b64 v[28:31], v57 offset0:64 offset1:96
	s_wait_dscnt 0x2
	v_pk_fma_f16 v71, v4, v77, v71
	v_pk_fma_f16 v72, v5, v77, v72
	;; [unrolled: 1-line block ×8, first 2 shown]
	ds_load_2addr_b64 v[4:7], v57 offset0:128 offset1:160
	v_and_b32_e32 v77, 0xffff, v60
	v_lshrrev_b32_e32 v60, 16, v60
	s_delay_alu instid0(VALU_DEP_2) | instskip(NEXT) | instid1(VALU_DEP_2)
	v_mul_u32_u24_e32 v77, 0x10001, v77
	v_mul_u32_u24_e32 v60, 0x10001, v60
	s_wait_dscnt 0x2
	s_delay_alu instid0(VALU_DEP_2) | instskip(NEXT) | instid1(VALU_DEP_2)
	v_pk_fma_f16 v37, v32, v77, v37
	v_pk_fma_f16 v65, v32, v60, v65
	;; [unrolled: 1-line block ×8, first 2 shown]
	ds_load_2addr_b64 v[32:35], v57 offset0:192 offset1:224
	s_wait_dscnt 0x2
	v_pk_fma_f16 v64, v28, v60, v64
	v_pk_fma_f16 v66, v29, v60, v66
	;; [unrolled: 1-line block ×4, first 2 shown]
	v_and_b32_e32 v76, 0xffff, v61
	v_lshrrev_b32_e32 v61, 16, v61
	v_pk_fma_f16 v71, v28, v77, v71
	v_pk_fma_f16 v72, v29, v77, v72
	;; [unrolled: 1-line block ×3, first 2 shown]
	v_mul_u32_u24_e32 v76, 0x10001, v76
	v_mul_u32_u24_e32 v61, 0x10001, v61
	v_pk_fma_f16 v36, v31, v77, v36
	ds_load_2addr_b64 v[28:31], v58 offset1:32
	s_wait_dscnt 0x2
	v_pk_fma_f16 v37, v4, v76, v37
	v_pk_fma_f16 v65, v4, v61, v65
	;; [unrolled: 1-line block ×8, first 2 shown]
	ds_load_2addr_b64 v[4:7], v58 offset0:64 offset1:96
	s_wait_dscnt 0x2
	v_pk_fma_f16 v64, v32, v61, v64
	v_pk_fma_f16 v66, v33, v61, v66
	;; [unrolled: 1-line block ×4, first 2 shown]
	v_and_b32_e32 v61, 0xffff, v62
	v_lshrrev_b32_e32 v62, 16, v62
	v_pk_fma_f16 v71, v32, v76, v71
	v_pk_fma_f16 v72, v33, v76, v72
	;; [unrolled: 1-line block ×4, first 2 shown]
	v_mul_u32_u24_e32 v61, 0x10001, v61
	v_mul_u32_u24_e32 v62, 0x10001, v62
	ds_load_2addr_b64 v[32:35], v58 offset0:128 offset1:160
	s_wait_dscnt 0x2
	v_pk_fma_f16 v37, v28, v61, v37
	v_pk_fma_f16 v76, v28, v62, v65
	;; [unrolled: 1-line block ×8, first 2 shown]
	ds_load_2addr_b64 v[28:31], v58 offset0:192 offset1:224
	s_wait_dscnt 0x0
	s_barrier_signal -1
	s_barrier_wait -1
	v_pk_fma_f16 v71, v4, v61, v71
	v_pk_fma_f16 v72, v5, v61, v72
	;; [unrolled: 1-line block ×8, first 2 shown]
	s_clause 0x1
	global_load_b128 v[4:7], v[26:27], off
	global_load_b128 v[64:67], v[26:27], off offset:512
	s_wait_xcnt 0x0
	v_and_b32_e32 v26, 0xffff, v63
	v_lshrrev_b32_e32 v27, 16, v63
	s_wait_loadcnt 0x1
	ds_store_b128 v52, v[4:7]
	s_wait_loadcnt 0x0
	ds_store_b128 v53, v[64:67]
	v_mul_u32_u24_e32 v26, 0x10001, v26
	v_mul_u32_u24_e32 v27, 0x10001, v27
	s_wait_dscnt 0x0
	s_barrier_signal -1
	s_barrier_wait -1
	v_pk_fma_f16 v62, v32, v26, v37
	v_pk_fma_f16 v63, v32, v27, v76
	;; [unrolled: 1-line block ×16, first 2 shown]
	ds_load_b128 v[4:7], v51 offset:96
	ds_load_2addr_b64 v[26:29], v54 offset1:32
	ds_load_2addr_b64 v[30:33], v54 offset0:64 offset1:96
	ds_load_b128 v[34:37], v51 offset:112
	s_wait_dscnt 0x3
	v_and_b32_e32 v60, 0xffff, v4
	s_wait_dscnt 0x0
	v_dual_lshrrev_b32 v4, 16, v4 :: v_dual_lshrrev_b32 v81, 16, v37
	s_delay_alu instid0(VALU_DEP_2) | instskip(NEXT) | instid1(VALU_DEP_2)
	v_mul_u32_u24_e32 v60, 0x10001, v60
	v_mul_u32_u24_e32 v4, 0x10001, v4
	s_delay_alu instid0(VALU_DEP_2) | instskip(NEXT) | instid1(VALU_DEP_2)
	v_pk_fma_f16 v64, v26, v60, v62
	v_pk_fma_f16 v65, v26, v4, v63
	;; [unrolled: 1-line block ×8, first 2 shown]
	ds_load_2addr_b64 v[26:29], v54 offset0:128 offset1:160
	v_pk_fma_f16 v71, v30, v60, v71
	v_pk_fma_f16 v72, v31, v60, v72
	;; [unrolled: 1-line block ×4, first 2 shown]
	ds_load_2addr_b64 v[60:63], v54 offset0:192 offset1:224
	v_pk_fma_f16 v76, v30, v4, v79
	v_and_b32_e32 v30, 0xffff, v5
	v_lshrrev_b32_e32 v5, 16, v5
	v_pk_fma_f16 v77, v31, v4, v78
	v_pk_fma_f16 v74, v32, v4, v74
	v_pk_fma_f16 v4, v33, v4, v80
	v_mul_u32_u24_e32 v30, 0x10001, v30
	v_mul_u32_u24_e32 v5, 0x10001, v5
	s_wait_dscnt 0x1
	s_delay_alu instid0(VALU_DEP_2) | instskip(NEXT) | instid1(VALU_DEP_2)
	v_pk_fma_f16 v64, v26, v30, v64
	v_pk_fma_f16 v65, v26, v5, v65
	v_pk_fma_f16 v59, v27, v30, v59
	v_pk_fma_f16 v66, v27, v5, v66
	v_pk_fma_f16 v67, v28, v30, v67
	v_pk_fma_f16 v68, v28, v5, v68
	v_pk_fma_f16 v70, v29, v30, v70
	v_pk_fma_f16 v73, v29, v5, v73
	ds_load_2addr_b64 v[26:29], v56 offset1:32
	s_wait_dscnt 0x1
	v_pk_fma_f16 v71, v60, v30, v71
	v_pk_fma_f16 v72, v61, v30, v72
	;; [unrolled: 1-line block ×4, first 2 shown]
	ds_load_2addr_b64 v[30:33], v56 offset0:64 offset1:96
	v_pk_fma_f16 v76, v60, v5, v76
	v_pk_fma_f16 v77, v61, v5, v77
	;; [unrolled: 1-line block ×4, first 2 shown]
	v_and_b32_e32 v5, 0xffff, v6
	v_lshrrev_b32_e32 v6, 16, v6
	ds_load_2addr_b64 v[60:63], v56 offset0:192 offset1:224
	v_mul_u32_u24_e32 v5, 0x10001, v5
	s_wait_dscnt 0x2
	s_delay_alu instid0(VALU_DEP_1)
	v_pk_fma_f16 v64, v26, v5, v64
	v_pk_fma_f16 v59, v27, v5, v59
	;; [unrolled: 1-line block ×4, first 2 shown]
	s_wait_dscnt 0x1
	v_pk_fma_f16 v71, v30, v5, v71
	v_pk_fma_f16 v72, v31, v5, v72
	;; [unrolled: 1-line block ×4, first 2 shown]
	v_lshrrev_b32_e32 v5, 16, v7
	v_mul_u32_u24_e32 v6, 0x10001, v6
	s_delay_alu instid0(VALU_DEP_2) | instskip(NEXT) | instid1(VALU_DEP_2)
	v_mul_u32_u24_e32 v80, 0x10001, v5
	v_pk_fma_f16 v65, v26, v6, v65
	v_pk_fma_f16 v66, v27, v6, v66
	;; [unrolled: 1-line block ×4, first 2 shown]
	ds_load_2addr_b64 v[26:29], v56 offset0:128 offset1:160
	v_pk_fma_f16 v78, v33, v6, v4
	v_and_b32_e32 v4, 0xffff, v7
	v_pk_fma_f16 v76, v30, v6, v76
	v_pk_fma_f16 v77, v31, v6, v77
	;; [unrolled: 1-line block ×3, first 2 shown]
	ds_load_2addr_b64 v[30:33], v57 offset1:32
	v_mul_u32_u24_e32 v79, 0x10001, v4
	ds_load_2addr_b64 v[4:7], v57 offset0:64 offset1:96
	s_wait_dscnt 0x3
	v_pk_fma_f16 v76, v60, v80, v76
	v_pk_fma_f16 v77, v61, v80, v77
	;; [unrolled: 1-line block ×4, first 2 shown]
	v_and_b32_e32 v60, 0xffff, v34
	v_lshrrev_b32_e32 v34, 16, v34
	v_pk_fma_f16 v72, v61, v79, v72
	v_pk_fma_f16 v69, v62, v79, v69
	;; [unrolled: 1-line block ×3, first 2 shown]
	v_mul_u32_u24_e32 v60, 0x10001, v60
	v_mul_u32_u24_e32 v34, 0x10001, v34
	s_wait_dscnt 0x2
	v_pk_fma_f16 v64, v26, v79, v64
	v_pk_fma_f16 v65, v26, v80, v65
	v_pk_fma_f16 v59, v27, v79, v59
	v_pk_fma_f16 v66, v27, v80, v66
	v_pk_fma_f16 v67, v28, v79, v67
	v_pk_fma_f16 v68, v28, v80, v68
	v_pk_fma_f16 v70, v29, v79, v70
	v_pk_fma_f16 v73, v29, v80, v73
	ds_load_2addr_b64 v[26:29], v57 offset0:128 offset1:160
	s_wait_dscnt 0x2
	v_pk_fma_f16 v64, v30, v60, v64
	v_pk_fma_f16 v65, v30, v34, v65
	;; [unrolled: 1-line block ×8, first 2 shown]
	ds_load_2addr_b64 v[30:33], v57 offset0:192 offset1:224
	v_pk_fma_f16 v78, v63, v80, v78
	s_wait_dscnt 0x2
	v_pk_fma_f16 v71, v4, v60, v71
	v_pk_fma_f16 v72, v5, v60, v72
	;; [unrolled: 1-line block ×4, first 2 shown]
	ds_load_2addr_b64 v[60:63], v58 offset1:32
	v_pk_fma_f16 v76, v4, v34, v76
	v_pk_fma_f16 v77, v5, v34, v77
	v_and_b32_e32 v4, 0xffff, v35
	v_lshrrev_b32_e32 v5, 16, v35
	v_pk_fma_f16 v74, v6, v34, v74
	v_pk_fma_f16 v34, v7, v34, v78
	v_and_b32_e32 v79, 0xffff, v36
	v_mul_u32_u24_e32 v35, 0x10001, v4
	v_mul_u32_u24_e32 v78, 0x10001, v5
	v_lshrrev_b32_e32 v36, 16, v36
	ds_load_2addr_b64 v[4:7], v58 offset0:64 offset1:96
	v_mul_u32_u24_e32 v79, 0x10001, v79
	s_wait_dscnt 0x3
	v_pk_fma_f16 v64, v26, v35, v64
	v_pk_fma_f16 v65, v26, v78, v65
	;; [unrolled: 1-line block ×8, first 2 shown]
	v_mul_u32_u24_e32 v82, 0x10001, v36
	v_and_b32_e32 v80, 0xffff, v37
	s_wait_dscnt 0x2
	v_pk_fma_f16 v71, v30, v35, v71
	v_pk_fma_f16 v72, v31, v35, v72
	;; [unrolled: 1-line block ×4, first 2 shown]
	ds_load_2addr_b64 v[26:29], v58 offset0:128 offset1:160
	v_pk_fma_f16 v76, v30, v78, v76
	v_pk_fma_f16 v77, v31, v78, v77
	;; [unrolled: 1-line block ×4, first 2 shown]
	ds_load_2addr_b64 v[30:33], v58 offset0:192 offset1:224
	s_wait_dscnt 0x0
	s_barrier_signal -1
	s_barrier_wait -1
	global_load_b128 v[34:37], v[24:25], off
	v_pk_fma_f16 v64, v60, v79, v64
	v_pk_fma_f16 v65, v60, v82, v65
	;; [unrolled: 1-line block ×8, first 2 shown]
	global_load_b128 v[60:63], v[24:25], off offset:512
	v_pk_fma_f16 v71, v4, v79, v71
	v_pk_fma_f16 v72, v5, v79, v72
	;; [unrolled: 1-line block ×4, first 2 shown]
	s_wait_xcnt 0x0
	v_mul_u32_u24_e32 v24, 0x10001, v80
	v_mul_u32_u24_e32 v25, 0x10001, v81
	v_pk_fma_f16 v4, v4, v82, v76
	v_pk_fma_f16 v5, v5, v82, v77
	;; [unrolled: 1-line block ×20, first 2 shown]
	s_wait_loadcnt 0x1
	ds_store_b128 v52, v[34:37]
	s_wait_loadcnt 0x0
	ds_store_b128 v53, v[60:63]
	s_wait_dscnt 0x0
	s_barrier_signal -1
	s_barrier_wait -1
	ds_load_b128 v[4:7], v51 offset:128
	ds_load_2addr_b64 v[24:27], v54 offset1:32
	ds_load_2addr_b64 v[28:31], v54 offset0:64 offset1:96
	ds_load_2addr_b64 v[32:35], v54 offset0:128 offset1:160
	ds_load_b128 v[60:63], v51 offset:144
	s_wait_dscnt 0x4
	v_and_b32_e32 v36, 0xffff, v4
	v_dual_lshrrev_b32 v4, 16, v4 :: v_dual_lshrrev_b32 v79, 16, v7
	s_wait_dscnt 0x0
	v_lshrrev_b32_e32 v80, 16, v63
	s_delay_alu instid0(VALU_DEP_3) | instskip(NEXT) | instid1(VALU_DEP_3)
	v_mul_u32_u24_e32 v36, 0x10001, v36
	v_mul_u32_u24_e32 v4, 0x10001, v4
	s_delay_alu instid0(VALU_DEP_2) | instskip(NEXT) | instid1(VALU_DEP_2)
	v_pk_fma_f16 v37, v24, v36, v64
	v_pk_fma_f16 v64, v24, v4, v65
	;; [unrolled: 1-line block ×8, first 2 shown]
	ds_load_2addr_b64 v[24:27], v54 offset0:192 offset1:224
	v_pk_fma_f16 v71, v28, v36, v71
	v_pk_fma_f16 v72, v29, v36, v72
	;; [unrolled: 1-line block ×8, first 2 shown]
	ds_load_2addr_b64 v[28:31], v56 offset1:32
	v_and_b32_e32 v76, 0xffff, v5
	v_lshrrev_b32_e32 v5, 16, v5
	v_and_b32_e32 v78, 0xffff, v7
	s_delay_alu instid0(VALU_DEP_3) | instskip(NEXT) | instid1(VALU_DEP_3)
	v_mul_u32_u24_e32 v76, 0x10001, v76
	v_mul_u32_u24_e32 v5, 0x10001, v5
	s_delay_alu instid0(VALU_DEP_2) | instskip(NEXT) | instid1(VALU_DEP_2)
	v_pk_fma_f16 v37, v32, v76, v37
	v_pk_fma_f16 v64, v32, v5, v64
	;; [unrolled: 1-line block ×8, first 2 shown]
	ds_load_2addr_b64 v[32:35], v56 offset0:64 offset1:96
	s_wait_dscnt 0x2
	v_pk_fma_f16 v71, v24, v76, v71
	v_pk_fma_f16 v72, v25, v76, v72
	;; [unrolled: 1-line block ×8, first 2 shown]
	v_and_b32_e32 v4, 0xffff, v6
	v_lshrrev_b32_e32 v5, 16, v6
	ds_load_2addr_b64 v[24:27], v56 offset0:128 offset1:160
	v_mul_u32_u24_e32 v4, 0x10001, v4
	v_mul_u32_u24_e32 v77, 0x10001, v5
	s_wait_dscnt 0x2
	s_delay_alu instid0(VALU_DEP_2) | instskip(NEXT) | instid1(VALU_DEP_2)
	v_pk_fma_f16 v37, v28, v4, v37
	v_pk_fma_f16 v64, v28, v77, v64
	;; [unrolled: 1-line block ×8, first 2 shown]
	ds_load_2addr_b64 v[28:31], v56 offset0:192 offset1:224
	s_wait_dscnt 0x2
	v_pk_fma_f16 v71, v32, v4, v71
	v_pk_fma_f16 v72, v33, v4, v72
	;; [unrolled: 1-line block ×4, first 2 shown]
	ds_load_2addr_b64 v[4:7], v57 offset1:32
	v_pk_fma_f16 v73, v32, v77, v73
	v_pk_fma_f16 v74, v33, v77, v74
	;; [unrolled: 1-line block ×4, first 2 shown]
	ds_load_2addr_b64 v[32:35], v57 offset0:64 offset1:96
	v_mul_u32_u24_e32 v77, 0x10001, v78
	v_mul_u32_u24_e32 v78, 0x10001, v79
	v_and_b32_e32 v79, 0xffff, v63
	s_wait_dscnt 0x3
	s_delay_alu instid0(VALU_DEP_3) | instskip(NEXT) | instid1(VALU_DEP_3)
	v_pk_fma_f16 v37, v24, v77, v37
	v_pk_fma_f16 v64, v24, v78, v64
	;; [unrolled: 1-line block ×8, first 2 shown]
	ds_load_2addr_b64 v[24:27], v57 offset0:128 offset1:160
	s_wait_dscnt 0x3
	v_pk_fma_f16 v71, v28, v77, v71
	v_pk_fma_f16 v72, v29, v77, v72
	;; [unrolled: 1-line block ×8, first 2 shown]
	ds_load_2addr_b64 v[28:31], v57 offset0:192 offset1:224
	v_and_b32_e32 v77, 0xffff, v60
	v_lshrrev_b32_e32 v60, 16, v60
	s_delay_alu instid0(VALU_DEP_2) | instskip(NEXT) | instid1(VALU_DEP_2)
	v_mul_u32_u24_e32 v77, 0x10001, v77
	v_mul_u32_u24_e32 v60, 0x10001, v60
	s_wait_dscnt 0x3
	s_delay_alu instid0(VALU_DEP_2) | instskip(NEXT) | instid1(VALU_DEP_2)
	v_pk_fma_f16 v37, v4, v77, v37
	v_pk_fma_f16 v64, v4, v60, v64
	;; [unrolled: 1-line block ×8, first 2 shown]
	ds_load_2addr_b64 v[4:7], v58 offset1:32
	s_wait_dscnt 0x3
	v_pk_fma_f16 v73, v32, v60, v73
	v_pk_fma_f16 v74, v33, v60, v74
	;; [unrolled: 1-line block ×4, first 2 shown]
	v_and_b32_e32 v76, 0xffff, v61
	v_lshrrev_b32_e32 v61, 16, v61
	v_pk_fma_f16 v71, v32, v77, v71
	v_pk_fma_f16 v72, v33, v77, v72
	;; [unrolled: 1-line block ×4, first 2 shown]
	v_mul_u32_u24_e32 v76, 0x10001, v76
	v_mul_u32_u24_e32 v61, 0x10001, v61
	ds_load_2addr_b64 v[32:35], v58 offset0:64 offset1:96
	s_wait_dscnt 0x3
	v_pk_fma_f16 v37, v24, v76, v37
	v_pk_fma_f16 v64, v24, v61, v64
	;; [unrolled: 1-line block ×8, first 2 shown]
	s_wait_dscnt 0x2
	v_pk_fma_f16 v71, v28, v76, v71
	v_pk_fma_f16 v72, v29, v76, v72
	;; [unrolled: 1-line block ×8, first 2 shown]
	v_and_b32_e32 v60, 0xffff, v62
	v_lshrrev_b32_e32 v61, 16, v62
	ds_load_2addr_b64 v[24:27], v58 offset0:128 offset1:160
	ds_load_2addr_b64 v[28:31], v58 offset0:192 offset1:224
	s_wait_dscnt 0x0
	v_mul_u32_u24_e32 v77, 0x10001, v60
	v_mul_u32_u24_e32 v78, 0x10001, v61
	s_barrier_signal -1
	s_barrier_wait -1
	s_delay_alu instid0(VALU_DEP_2) | instskip(NEXT) | instid1(VALU_DEP_2)
	v_pk_fma_f16 v37, v4, v77, v37
	v_pk_fma_f16 v64, v4, v78, v64
	;; [unrolled: 1-line block ×8, first 2 shown]
	s_clause 0x1
	global_load_b128 v[4:7], v[10:11], off
	global_load_b128 v[60:63], v[10:11], off offset:512
	s_wait_xcnt 0x0
	v_mul_u32_u24_e32 v10, 0x10001, v79
	v_mul_u32_u24_e32 v11, 0x10001, v80
	v_pk_fma_f16 v71, v32, v77, v71
	v_pk_fma_f16 v72, v33, v77, v72
	;; [unrolled: 1-line block ×24, first 2 shown]
	s_wait_loadcnt 0x1
	ds_store_b128 v52, v[4:7]
	s_wait_loadcnt 0x0
	ds_store_b128 v53, v[60:63]
	s_wait_dscnt 0x0
	s_barrier_signal -1
	s_barrier_wait -1
	ds_load_b128 v[4:7], v51 offset:160
	ds_load_2addr_b64 v[24:27], v54 offset1:32
	ds_load_2addr_b64 v[28:31], v54 offset0:64 offset1:96
	ds_load_2addr_b64 v[32:35], v54 offset0:128 offset1:160
	ds_load_b128 v[60:63], v51 offset:176
	s_wait_dscnt 0x4
	v_and_b32_e32 v75, 0xffff, v4
	v_lshrrev_b32_e32 v4, 16, v4
	s_delay_alu instid0(VALU_DEP_2) | instskip(NEXT) | instid1(VALU_DEP_2)
	v_mul_u32_u24_e32 v75, 0x10001, v75
	v_mul_u32_u24_e32 v4, 0x10001, v4
	s_wait_dscnt 0x3
	s_delay_alu instid0(VALU_DEP_2) | instskip(NEXT) | instid1(VALU_DEP_2)
	v_pk_fma_f16 v37, v24, v75, v37
	v_pk_fma_f16 v76, v24, v4, v64
	;; [unrolled: 1-line block ×8, first 2 shown]
	ds_load_2addr_b64 v[24:27], v54 offset0:192 offset1:224
	s_wait_dscnt 0x3
	v_pk_fma_f16 v71, v28, v75, v71
	v_pk_fma_f16 v72, v29, v75, v72
	;; [unrolled: 1-line block ×4, first 2 shown]
	ds_load_2addr_b64 v[64:67], v56 offset1:32
	v_pk_fma_f16 v36, v28, v4, v36
	v_pk_fma_f16 v73, v29, v4, v73
	;; [unrolled: 1-line block ×4, first 2 shown]
	v_and_b32_e32 v11, 0xffff, v5
	v_lshrrev_b32_e32 v5, 16, v5
	ds_load_2addr_b64 v[28:31], v56 offset0:64 offset1:96
	v_mul_u32_u24_e32 v11, 0x10001, v11
	v_mul_u32_u24_e32 v5, 0x10001, v5
	s_wait_dscnt 0x4
	s_delay_alu instid0(VALU_DEP_2) | instskip(NEXT) | instid1(VALU_DEP_2)
	v_pk_fma_f16 v37, v32, v11, v37
	v_pk_fma_f16 v75, v32, v5, v76
	;; [unrolled: 1-line block ×8, first 2 shown]
	s_wait_dscnt 0x2
	v_pk_fma_f16 v71, v24, v11, v71
	v_pk_fma_f16 v72, v25, v11, v72
	;; [unrolled: 1-line block ×4, first 2 shown]
	ds_load_2addr_b64 v[32:35], v56 offset0:128 offset1:160
	v_pk_fma_f16 v11, v24, v5, v36
	v_pk_fma_f16 v36, v25, v5, v73
	;; [unrolled: 1-line block ×4, first 2 shown]
	v_and_b32_e32 v5, 0xffff, v6
	v_lshrrev_b32_e32 v6, 16, v6
	ds_load_2addr_b64 v[24:27], v56 offset0:192 offset1:224
	v_mul_u32_u24_e32 v5, 0x10001, v5
	v_mul_u32_u24_e32 v6, 0x10001, v6
	s_wait_dscnt 0x3
	s_delay_alu instid0(VALU_DEP_2) | instskip(NEXT) | instid1(VALU_DEP_2)
	v_pk_fma_f16 v37, v64, v5, v37
	v_pk_fma_f16 v74, v64, v6, v75
	;; [unrolled: 1-line block ×7, first 2 shown]
	s_wait_dscnt 0x2
	v_pk_fma_f16 v71, v28, v5, v71
	v_pk_fma_f16 v72, v29, v5, v72
	v_pk_fma_f16 v69, v30, v5, v69
	v_pk_fma_f16 v10, v31, v5, v10
	v_pk_fma_f16 v11, v28, v6, v11
	v_pk_fma_f16 v36, v29, v6, v36
	v_pk_fma_f16 v73, v30, v6, v73
	v_pk_fma_f16 v78, v31, v6, v4
	ds_load_2addr_b64 v[28:31], v57 offset0:64 offset1:96
	v_and_b32_e32 v4, 0xffff, v7
	v_lshrrev_b32_e32 v5, 16, v7
	v_pk_fma_f16 v70, v67, v6, v70
	ds_load_2addr_b64 v[64:67], v57 offset1:32
	v_mul_u32_u24_e32 v79, 0x10001, v4
	v_mul_u32_u24_e32 v80, 0x10001, v5
	ds_load_2addr_b64 v[4:7], v57 offset0:128 offset1:160
	s_wait_dscnt 0x4
	v_pk_fma_f16 v37, v32, v79, v37
	v_pk_fma_f16 v74, v32, v80, v74
	;; [unrolled: 1-line block ×8, first 2 shown]
	s_wait_dscnt 0x3
	v_pk_fma_f16 v71, v24, v79, v71
	v_pk_fma_f16 v72, v25, v79, v72
	ds_load_2addr_b64 v[32:35], v57 offset0:192 offset1:224
	v_pk_fma_f16 v11, v24, v80, v11
	v_pk_fma_f16 v36, v25, v80, v36
	v_and_b32_e32 v24, 0xffff, v60
	v_lshrrev_b32_e32 v25, 16, v60
	v_pk_fma_f16 v69, v26, v79, v69
	v_pk_fma_f16 v10, v27, v79, v10
	;; [unrolled: 1-line block ×3, first 2 shown]
	v_mul_u32_u24_e32 v60, 0x10001, v24
	v_mul_u32_u24_e32 v79, 0x10001, v25
	v_pk_fma_f16 v78, v27, v80, v78
	ds_load_2addr_b64 v[24:27], v58 offset1:32
	s_wait_dscnt 0x4
	v_pk_fma_f16 v71, v28, v60, v71
	v_pk_fma_f16 v72, v29, v60, v72
	v_pk_fma_f16 v11, v28, v79, v11
	v_pk_fma_f16 v36, v29, v79, v36
	v_and_b32_e32 v28, 0xffff, v61
	v_lshrrev_b32_e32 v29, 16, v61
	s_wait_dscnt 0x3
	v_pk_fma_f16 v37, v64, v60, v37
	v_pk_fma_f16 v74, v64, v79, v74
	;; [unrolled: 1-line block ×3, first 2 shown]
	v_mul_u32_u24_e32 v28, 0x10001, v28
	v_mul_u32_u24_e32 v61, 0x10001, v29
	v_pk_fma_f16 v75, v65, v79, v75
	v_pk_fma_f16 v76, v66, v60, v76
	;; [unrolled: 1-line block ×9, first 2 shown]
	s_wait_dscnt 0x1
	v_pk_fma_f16 v71, v32, v28, v71
	v_pk_fma_f16 v72, v33, v28, v72
	;; [unrolled: 1-line block ×4, first 2 shown]
	v_and_b32_e32 v32, 0xffff, v62
	v_lshrrev_b32_e32 v33, 16, v62
	v_pk_fma_f16 v37, v4, v28, v37
	v_pk_fma_f16 v74, v4, v61, v74
	;; [unrolled: 1-line block ×10, first 2 shown]
	v_mul_u32_u24_e32 v62, 0x10001, v32
	v_mul_u32_u24_e32 v73, 0x10001, v33
	ds_load_2addr_b64 v[64:67], v58 offset0:64 offset1:96
	ds_load_2addr_b64 v[4:7], v58 offset0:128 offset1:160
	v_pk_fma_f16 v69, v34, v28, v69
	v_pk_fma_f16 v10, v35, v28, v10
	ds_load_2addr_b64 v[28:31], v58 offset0:192 offset1:224
	s_wait_dscnt 0x0
	s_barrier_signal -1
	s_barrier_wait -1
	v_pk_fma_f16 v37, v24, v62, v37
	v_pk_fma_f16 v74, v24, v73, v74
	;; [unrolled: 1-line block ×8, first 2 shown]
	s_clause 0x1
	global_load_b128 v[24:27], v[2:3], off
	global_load_b128 v[32:35], v[2:3], off offset:512
	s_wait_xcnt 0x0
	v_and_b32_e32 v2, 0xffff, v63
	v_lshrrev_b32_e32 v3, 16, v63
	v_pk_fma_f16 v63, v64, v62, v71
	v_pk_fma_f16 v71, v65, v62, v72
	;; [unrolled: 1-line block ×3, first 2 shown]
	v_mul_u32_u24_e32 v2, 0x10001, v2
	v_mul_u32_u24_e32 v3, 0x10001, v3
	v_pk_fma_f16 v10, v67, v62, v10
	v_pk_fma_f16 v11, v64, v73, v11
	;; [unrolled: 1-line block ×21, first 2 shown]
	s_wait_loadcnt 0x1
	ds_store_b128 v52, v[24:27]
	s_wait_loadcnt 0x0
	ds_store_b128 v53, v[32:35]
	s_wait_dscnt 0x0
	s_barrier_signal -1
	s_barrier_wait -1
	ds_load_b128 v[2:5], v51 offset:192
	ds_load_2addr_b64 v[24:27], v54 offset1:32
	ds_load_2addr_b64 v[28:31], v54 offset0:64 offset1:96
	ds_load_2addr_b64 v[32:35], v54 offset0:128 offset1:160
	;; [unrolled: 1-line block ×3, first 2 shown]
	ds_load_b128 v[64:67], v51 offset:208
	s_wait_dscnt 0x5
	v_and_b32_e32 v77, 0xffff, v2
	v_dual_lshrrev_b32 v2, 16, v2 :: v_dual_lshrrev_b32 v79, 16, v5
	v_and_b32_e32 v78, 0xffff, v5
	s_delay_alu instid0(VALU_DEP_3) | instskip(NEXT) | instid1(VALU_DEP_3)
	v_mul_u32_u24_e32 v77, 0x10001, v77
	v_mul_u32_u24_e32 v2, 0x10001, v2
	s_wait_dscnt 0x0
	v_lshrrev_b32_e32 v80, 16, v67
	s_delay_alu instid0(VALU_DEP_3) | instskip(NEXT) | instid1(VALU_DEP_3)
	v_pk_fma_f16 v37, v24, v77, v37
	v_pk_fma_f16 v72, v24, v2, v72
	;; [unrolled: 1-line block ×8, first 2 shown]
	ds_load_2addr_b64 v[24:27], v56 offset1:32
	v_pk_fma_f16 v70, v28, v77, v70
	v_pk_fma_f16 v71, v29, v77, v71
	;; [unrolled: 1-line block ×8, first 2 shown]
	ds_load_2addr_b64 v[28:31], v56 offset0:64 offset1:96
	v_and_b32_e32 v76, 0xffff, v3
	v_lshrrev_b32_e32 v3, 16, v3
	s_delay_alu instid0(VALU_DEP_2) | instskip(NEXT) | instid1(VALU_DEP_2)
	v_mul_u32_u24_e32 v76, 0x10001, v76
	v_mul_u32_u24_e32 v3, 0x10001, v3
	s_delay_alu instid0(VALU_DEP_2) | instskip(NEXT) | instid1(VALU_DEP_2)
	v_pk_fma_f16 v37, v32, v76, v37
	v_pk_fma_f16 v72, v32, v3, v72
	;; [unrolled: 1-line block ×8, first 2 shown]
	ds_load_2addr_b64 v[32:35], v56 offset0:128 offset1:160
	v_pk_fma_f16 v70, v60, v76, v70
	v_pk_fma_f16 v71, v61, v76, v71
	v_pk_fma_f16 v69, v62, v76, v69
	v_pk_fma_f16 v10, v63, v76, v10
	v_pk_fma_f16 v11, v60, v3, v11
	v_pk_fma_f16 v36, v61, v3, v36
	v_pk_fma_f16 v75, v62, v3, v75
	v_pk_fma_f16 v76, v63, v3, v2
	ds_load_2addr_b64 v[60:63], v56 offset0:192 offset1:224
	v_and_b32_e32 v2, 0xffff, v4
	v_lshrrev_b32_e32 v3, 16, v4
	s_delay_alu instid0(VALU_DEP_2) | instskip(NEXT) | instid1(VALU_DEP_2)
	v_mul_u32_u24_e32 v2, 0x10001, v2
	v_mul_u32_u24_e32 v77, 0x10001, v3
	s_wait_dscnt 0x3
	s_delay_alu instid0(VALU_DEP_2) | instskip(NEXT) | instid1(VALU_DEP_2)
	v_pk_fma_f16 v37, v24, v2, v37
	v_pk_fma_f16 v72, v24, v77, v72
	;; [unrolled: 1-line block ×8, first 2 shown]
	ds_load_2addr_b64 v[24:27], v57 offset1:32
	s_wait_dscnt 0x3
	v_pk_fma_f16 v70, v28, v2, v70
	v_pk_fma_f16 v71, v29, v2, v71
	v_pk_fma_f16 v69, v30, v2, v69
	v_pk_fma_f16 v10, v31, v2, v10
	ds_load_2addr_b64 v[2:5], v57 offset0:64 offset1:96
	v_pk_fma_f16 v11, v28, v77, v11
	v_pk_fma_f16 v36, v29, v77, v36
	;; [unrolled: 1-line block ×4, first 2 shown]
	v_mul_u32_u24_e32 v77, 0x10001, v78
	v_mul_u32_u24_e32 v78, 0x10001, v79
	ds_load_2addr_b64 v[28:31], v57 offset0:128 offset1:160
	v_and_b32_e32 v79, 0xffff, v67
	s_wait_dscnt 0x4
	v_pk_fma_f16 v37, v32, v77, v37
	v_pk_fma_f16 v72, v32, v78, v72
	;; [unrolled: 1-line block ×8, first 2 shown]
	ds_load_2addr_b64 v[32:35], v57 offset0:192 offset1:224
	s_wait_dscnt 0x4
	v_pk_fma_f16 v70, v60, v77, v70
	v_pk_fma_f16 v71, v61, v77, v71
	v_pk_fma_f16 v69, v62, v77, v69
	v_pk_fma_f16 v10, v63, v77, v10
	v_and_b32_e32 v77, 0xffff, v64
	v_lshrrev_b32_e32 v64, 16, v64
	v_pk_fma_f16 v11, v60, v78, v11
	v_pk_fma_f16 v36, v61, v78, v36
	;; [unrolled: 1-line block ×4, first 2 shown]
	v_mul_u32_u24_e32 v64, 0x10001, v64
	v_mul_u32_u24_e32 v77, 0x10001, v77
	ds_load_2addr_b64 v[60:63], v58 offset1:32
	v_lshrrev_b32_e32 v78, 16, v66
	s_wait_dscnt 0x4
	v_pk_fma_f16 v72, v24, v64, v72
	v_pk_fma_f16 v73, v25, v64, v73
	;; [unrolled: 1-line block ×4, first 2 shown]
	s_wait_dscnt 0x3
	v_pk_fma_f16 v11, v2, v64, v11
	v_pk_fma_f16 v36, v3, v64, v36
	;; [unrolled: 1-line block ×4, first 2 shown]
	v_and_b32_e32 v76, 0xffff, v65
	v_lshrrev_b32_e32 v65, 16, v65
	v_pk_fma_f16 v37, v24, v77, v37
	v_pk_fma_f16 v59, v25, v77, v59
	;; [unrolled: 1-line block ×8, first 2 shown]
	v_mul_u32_u24_e32 v76, 0x10001, v76
	v_mul_u32_u24_e32 v65, 0x10001, v65
	ds_load_2addr_b64 v[24:27], v58 offset0:64 offset1:96
	ds_load_2addr_b64 v[2:5], v58 offset0:128 offset1:160
	v_and_b32_e32 v77, 0xffff, v66
	s_wait_dscnt 0x4
	v_pk_fma_f16 v37, v28, v76, v37
	v_pk_fma_f16 v72, v28, v65, v72
	;; [unrolled: 1-line block ×8, first 2 shown]
	ds_load_2addr_b64 v[28:31], v58 offset0:192 offset1:224
	s_wait_dscnt 0x0
	s_barrier_signal -1
	s_barrier_wait -1
	v_pk_fma_f16 v70, v32, v76, v70
	v_pk_fma_f16 v71, v33, v76, v71
	;; [unrolled: 1-line block ×8, first 2 shown]
	s_clause 0x1
	global_load_b128 v[32:35], v[0:1], off
	global_load_b128 v[64:67], v[0:1], off offset:512
	s_wait_xcnt 0x0
	v_mul_u32_u24_e32 v0, 0x10001, v77
	v_mul_u32_u24_e32 v1, 0x10001, v78
	;; [unrolled: 1-line block ×4, first 2 shown]
	s_wait_loadcnt 0x1
	ds_store_b128 v52, v[32:35]
	s_wait_loadcnt 0x0
	ds_store_b128 v53, v[64:67]
	v_pk_fma_f16 v37, v60, v0, v37
	v_pk_fma_f16 v60, v60, v1, v72
	v_pk_fma_f16 v59, v61, v0, v59
	v_pk_fma_f16 v61, v61, v1, v73
	v_pk_fma_f16 v72, v62, v0, v74
	v_pk_fma_f16 v6, v62, v1, v6
	v_pk_fma_f16 v62, v63, v0, v68
	v_pk_fma_f16 v7, v63, v1, v7
	v_pk_fma_f16 v63, v24, v0, v70
	v_pk_fma_f16 v68, v25, v0, v71
	v_pk_fma_f16 v69, v26, v0, v69
	v_pk_fma_f16 v0, v27, v0, v10
	v_pk_fma_f16 v10, v24, v1, v11
	v_pk_fma_f16 v11, v25, v1, v36
	v_pk_fma_f16 v24, v26, v1, v75
	v_pk_fma_f16 v1, v27, v1, v76
	v_pk_fma_f16 v36, v2, v77, v37
	v_pk_fma_f16 v37, v2, v78, v60
	v_pk_fma_f16 v59, v3, v77, v59
	v_pk_fma_f16 v70, v3, v78, v61
	v_pk_fma_f16 v71, v4, v77, v72
	v_pk_fma_f16 v72, v4, v78, v6
	v_pk_fma_f16 v73, v5, v77, v62
	v_pk_fma_f16 v74, v5, v78, v7
	v_pk_fma_f16 v75, v28, v77, v63
	v_pk_fma_f16 v68, v29, v77, v68
	v_pk_fma_f16 v69, v30, v77, v69
	v_pk_fma_f16 v76, v31, v77, v0
	v_pk_fma_f16 v10, v28, v78, v10
	v_pk_fma_f16 v11, v29, v78, v11
	v_pk_fma_f16 v77, v30, v78, v24
	v_pk_fma_f16 v78, v31, v78, v1
	s_wait_dscnt 0x0
	s_barrier_signal -1
	s_barrier_wait -1
	ds_load_b128 v[0:3], v51 offset:224
	ds_load_2addr_b64 v[4:7], v54 offset1:32
	ds_load_2addr_b64 v[24:27], v54 offset0:64 offset1:96
	ds_load_2addr_b64 v[28:31], v54 offset0:128 offset1:160
	;; [unrolled: 1-line block ×3, first 2 shown]
	ds_load_b128 v[60:63], v51 offset:240
	s_wait_dscnt 0x5
	v_and_b32_e32 v64, 0xffff, v0
	v_lshrrev_b32_e32 v0, 16, v0
	s_delay_alu instid0(VALU_DEP_2) | instskip(NEXT) | instid1(VALU_DEP_2)
	v_mul_u32_u24_e32 v64, 0x10001, v64
	v_mul_u32_u24_e32 v0, 0x10001, v0
	s_wait_dscnt 0x4
	s_delay_alu instid0(VALU_DEP_2) | instskip(NEXT) | instid1(VALU_DEP_2)
	v_pk_fma_f16 v36, v4, v64, v36
	v_pk_fma_f16 v37, v4, v0, v37
	;; [unrolled: 1-line block ×8, first 2 shown]
	ds_load_2addr_b64 v[4:7], v56 offset1:32
	s_wait_dscnt 0x4
	v_pk_fma_f16 v75, v24, v64, v75
	v_pk_fma_f16 v68, v25, v64, v68
	;; [unrolled: 1-line block ×4, first 2 shown]
	ds_load_2addr_b64 v[64:67], v56 offset0:64 offset1:96
	v_pk_fma_f16 v10, v24, v0, v10
	v_and_b32_e32 v24, 0xffff, v1
	v_lshrrev_b32_e32 v1, 16, v1
	v_pk_fma_f16 v11, v25, v0, v11
	v_pk_fma_f16 v77, v26, v0, v77
	;; [unrolled: 1-line block ×3, first 2 shown]
	v_mul_u32_u24_e32 v78, 0x10001, v24
	v_mul_u32_u24_e32 v1, 0x10001, v1
	ds_load_2addr_b64 v[24:27], v56 offset0:128 offset1:160
	s_wait_dscnt 0x5
	v_pk_fma_f16 v36, v28, v78, v36
	v_pk_fma_f16 v37, v28, v1, v37
	;; [unrolled: 1-line block ×5, first 2 shown]
	s_wait_dscnt 0x4
	v_pk_fma_f16 v10, v32, v1, v10
	v_pk_fma_f16 v11, v33, v1, v11
	;; [unrolled: 1-line block ×4, first 2 shown]
	v_and_b32_e32 v1, 0xffff, v2
	v_pk_fma_f16 v59, v29, v78, v59
	v_pk_fma_f16 v71, v30, v78, v71
	v_pk_fma_f16 v73, v31, v78, v73
	v_pk_fma_f16 v75, v32, v78, v75
	v_pk_fma_f16 v68, v33, v78, v68
	v_pk_fma_f16 v69, v34, v78, v69
	v_pk_fma_f16 v76, v35, v78, v76
	ds_load_2addr_b64 v[28:31], v56 offset0:192 offset1:224
	v_lshrrev_b32_e32 v2, 16, v2
	v_mul_u32_u24_e32 v1, 0x10001, v1
	ds_load_2addr_b64 v[32:35], v57 offset0:64 offset1:96
	s_wait_dscnt 0x4
	v_pk_fma_f16 v36, v4, v1, v36
	v_pk_fma_f16 v59, v5, v1, v59
	;; [unrolled: 1-line block ×4, first 2 shown]
	s_wait_dscnt 0x3
	v_pk_fma_f16 v75, v64, v1, v75
	v_pk_fma_f16 v68, v65, v1, v68
	;; [unrolled: 1-line block ×4, first 2 shown]
	v_lshrrev_b32_e32 v1, 16, v3
	v_mul_u32_u24_e32 v2, 0x10001, v2
	s_delay_alu instid0(VALU_DEP_2) | instskip(NEXT) | instid1(VALU_DEP_2)
	v_mul_u32_u24_e32 v80, 0x10001, v1
	v_pk_fma_f16 v78, v67, v2, v0
	v_and_b32_e32 v0, 0xffff, v3
	v_pk_fma_f16 v37, v4, v2, v37
	v_pk_fma_f16 v70, v5, v2, v70
	;; [unrolled: 1-line block ×4, first 2 shown]
	ds_load_2addr_b64 v[4:7], v57 offset1:32
	v_pk_fma_f16 v10, v64, v2, v10
	v_pk_fma_f16 v11, v65, v2, v11
	v_mul_u32_u24_e32 v79, 0x10001, v0
	v_pk_fma_f16 v77, v66, v2, v77
	ds_load_2addr_b64 v[64:67], v57 offset0:128 offset1:160
	s_wait_dscnt 0x3
	v_pk_fma_f16 v10, v28, v80, v10
	v_pk_fma_f16 v11, v29, v80, v11
	;; [unrolled: 1-line block ×4, first 2 shown]
	v_and_b32_e32 v28, 0xffff, v60
	v_lshrrev_b32_e32 v29, 16, v60
	v_pk_fma_f16 v36, v24, v79, v36
	v_pk_fma_f16 v37, v24, v80, v37
	v_pk_fma_f16 v59, v25, v79, v59
	v_mul_u32_u24_e32 v28, 0x10001, v28
	v_mul_u32_u24_e32 v60, 0x10001, v29
	v_pk_fma_f16 v70, v25, v80, v70
	v_pk_fma_f16 v71, v26, v79, v71
	;; [unrolled: 1-line block ×5, first 2 shown]
	ds_load_2addr_b64 v[0:3], v57 offset0:192 offset1:224
	v_pk_fma_f16 v69, v30, v79, v69
	v_pk_fma_f16 v76, v31, v79, v76
	;; [unrolled: 1-line block ×4, first 2 shown]
	s_wait_dscnt 0x3
	v_pk_fma_f16 v75, v32, v28, v75
	v_pk_fma_f16 v68, v33, v28, v68
	;; [unrolled: 1-line block ×4, first 2 shown]
	v_and_b32_e32 v32, 0xffff, v61
	v_lshrrev_b32_e32 v33, 16, v61
	ds_load_2addr_b64 v[24:27], v58 offset1:32
	s_wait_dscnt 0x3
	v_pk_fma_f16 v36, v4, v28, v36
	v_pk_fma_f16 v37, v4, v60, v37
	;; [unrolled: 1-line block ×8, first 2 shown]
	ds_load_2addr_b64 v[4:7], v58 offset0:64 offset1:96
	v_pk_fma_f16 v69, v34, v28, v69
	v_pk_fma_f16 v76, v35, v28, v76
	ds_load_2addr_b64 v[28:31], v58 offset0:128 offset1:160
	v_pk_fma_f16 v77, v34, v60, v77
	v_pk_fma_f16 v60, v35, v60, v78
	v_mul_u32_u24_e32 v61, 0x10001, v32
	v_mul_u32_u24_e32 v78, 0x10001, v33
	ds_load_2addr_b64 v[32:35], v58 offset0:192 offset1:224
	s_wait_dscnt 0x0
	s_barrier_signal -1
	s_barrier_wait -1
	s_load_b32 s2, s[24:25], 0x4
	v_pk_fma_f16 v36, v64, v61, v36
	v_pk_fma_f16 v37, v64, v78, v37
	;; [unrolled: 1-line block ×6, first 2 shown]
	v_and_b32_e32 v71, 0xffff, v62
	v_lshrrev_b32_e32 v62, 16, v62
	v_and_b32_e32 v72, 0xffff, v63
	v_lshrrev_b32_e32 v63, 16, v63
	v_pk_fma_f16 v70, v67, v61, v73
	v_pk_fma_f16 v67, v67, v78, v74
	v_mul_u32_u24_e32 v71, 0x10001, v71
	v_mul_u32_u24_e32 v62, 0x10001, v62
	;; [unrolled: 1-line block ×3, first 2 shown]
	v_pk_fma_f16 v63, v0, v61, v75
	v_pk_fma_f16 v68, v1, v61, v68
	;; [unrolled: 1-line block ×8, first 2 shown]
	v_mul_u32_u24_e32 v79, 0x10001, v72
	v_pk_fma_f16 v10, v24, v71, v36
	v_pk_fma_f16 v11, v24, v62, v37
	;; [unrolled: 1-line block ×16, first 2 shown]
	s_wait_kmcnt 0x0
	s_lshl_b32 s2, s2, 6
	v_pk_fma_f16 v68, v28, v79, v10
	v_pk_fma_f16 v62, v28, v80, v11
	;; [unrolled: 1-line block ×16, first 2 shown]
	s_add_co_i32 s10, s2, s10
	s_delay_alu instid0(SALU_CYCLE_1)
	s_cmp_ge_i32 s10, s30
	s_cbranch_scc0 .LBB5_13
; %bb.14:
	v_dual_mov_b32 v0, 32 :: v_dual_mov_b32 v1, v41
.LBB5_15:
	s_delay_alu instid0(VALU_DEP_1)
	v_cmp_lt_i32_e32 vcc_lo, v46, v0
	s_cmp_lg_u64 s[12:13], 0
	s_cselect_b32 s2, -1, 0
	s_cmp_eq_u32 s31, 0
	v_cndmask_b32_e32 v2, v1, v46, vcc_lo
	v_cmp_lt_i32_e32 vcc_lo, v45, v0
	s_cselect_b32 s3, -1, 0
	s_delay_alu instid0(SALU_CYCLE_1) | instskip(NEXT) | instid1(VALU_DEP_2)
	s_and_b32 s2, s3, s2
	v_dual_cndmask_b32 v4, v1, v45 :: v_dual_lshlrev_b32 v3, 2, v2
	v_cmp_lt_i32_e32 vcc_lo, v44, v0
	s_delay_alu instid0(VALU_DEP_2) | instskip(SKIP_4) | instid1(VALU_DEP_2)
	v_lshlrev_b32_e32 v5, 2, v4
	ds_bpermute_b32 v2, v3, v14
	ds_bpermute_b32 v3, v3, v15
	v_cndmask_b32_e32 v6, v1, v44, vcc_lo
	v_cmp_lt_i32_e32 vcc_lo, v43, v0
	v_lshlrev_b32_e32 v6, 2, v6
	s_wait_dscnt 0x0
	v_pk_add_f32 v[2:3], v[14:15], v[2:3]
	ds_bpermute_b32 v4, v5, v2
	ds_bpermute_b32 v5, v5, v3
	s_wait_dscnt 0x0
	v_pk_add_f32 v[2:3], v[2:3], v[4:5]
	ds_bpermute_b32 v4, v6, v2
	ds_bpermute_b32 v5, v6, v3
	v_cndmask_b32_e32 v6, v1, v43, vcc_lo
	v_cmp_lt_i32_e32 vcc_lo, v42, v0
	s_delay_alu instid0(VALU_DEP_2)
	v_lshlrev_b32_e32 v6, 2, v6
	v_cndmask_b32_e32 v0, v1, v42, vcc_lo
	s_and_b32 vcc_lo, exec_lo, s2
	s_mov_b32 s2, 0
	s_wait_dscnt 0x0
	v_pk_add_f32 v[2:3], v[2:3], v[4:5]
	ds_bpermute_b32 v4, v6, v2
	ds_bpermute_b32 v5, v6, v3
	v_lshlrev_b32_e32 v6, 2, v0
	s_wait_dscnt 0x0
	v_pk_add_f32 v[0:1], v[2:3], v[4:5]
	v_add_nc_u32_e32 v2, s33, v12
	ds_bpermute_b32 v4, v6, v0
	ds_bpermute_b32 v5, v6, v1
	s_cbranch_vccnz .LBB5_18
; %bb.16:
	v_add_nc_u32_e32 v3, s33, v12
	s_wait_dscnt 0x0
	v_pk_add_f32 v[0:1], v[0:1], v[4:5]
	s_and_not1_b32 vcc_lo, exec_lo, s2
	s_cbranch_vccz .LBB5_19
; %bb.17:
	v_mov_b32_e32 v2, v3
	s_branch .LBB5_20
.LBB5_18:
                                        ; implicit-def: $vgpr3
	s_wait_dscnt 0x0
	v_pk_add_f32 v[0:1], v[0:1], v[4:5]
.LBB5_19:
	v_dual_ashrrev_i32 v3, 31, v2 :: v_dual_max_num_f32 v7, v9, v9
	s_delay_alu instid0(VALU_DEP_1) | instskip(SKIP_4) | instid1(VALU_DEP_1)
	v_lshl_add_u64 v[4:5], v[2:3], 2, s[12:13]
	v_max_num_f32_e32 v3, v8, v8
	global_load_b64 v[4:5], v[4:5], off
	s_wait_loadcnt 0x0
	v_dual_max_num_f32 v6, v4, v4 :: v_dual_max_num_f32 v10, v5, v5
	v_max_num_f32_e32 v6, v3, v6
	s_delay_alu instid0(VALU_DEP_1) | instskip(NEXT) | instid1(VALU_DEP_3)
	v_sub_f32_e32 v3, v8, v6
	v_max_num_f32_e32 v7, v7, v10
	v_sub_f32_e32 v8, v4, v6
	s_delay_alu instid0(VALU_DEP_3) | instskip(NEXT) | instid1(VALU_DEP_3)
	v_mul_f32_e32 v4, 0x3fb8aa3b, v3
	v_sub_f32_e32 v9, v9, v7
	s_delay_alu instid0(VALU_DEP_3) | instskip(SKIP_1) | instid1(VALU_DEP_4)
	v_dual_sub_f32 v10, v5, v7 :: v_dual_mul_f32 v5, 0x3fb8aa3b, v8
	v_cmp_ngt_f32_e32 vcc_lo, 0xc2ce8ed0, v3
	v_rndne_f32_e32 v15, v4
	s_delay_alu instid0(VALU_DEP_4)
	v_mul_f32_e32 v11, 0x3fb8aa3b, v9
	v_fma_f32 v14, 0x3fb8aa3b, v3, -v4
	v_mul_f32_e32 v12, 0x3fb8aa3b, v10
	v_fma_f32 v16, 0x3fb8aa3b, v8, -v5
	v_sub_f32_e32 v4, v4, v15
	v_fma_f32 v18, 0x3fb8aa3b, v9, -v11
	v_rndne_f32_e32 v19, v11
	v_rndne_f32_e32 v17, v5
	v_fmac_f32_e32 v14, 0x32a5705f, v3
	v_rndne_f32_e32 v21, v12
	s_delay_alu instid0(VALU_DEP_4) | instskip(NEXT) | instid1(VALU_DEP_4)
	v_dual_fmac_f32 v18, 0x32a5705f, v9 :: v_dual_sub_f32 v11, v11, v19
	v_dual_fmac_f32 v16, 0x32a5705f, v8 :: v_dual_sub_f32 v5, v5, v17
	v_fma_f32 v20, 0x3fb8aa3b, v10, -v12
	s_delay_alu instid0(VALU_DEP_3) | instskip(NEXT) | instid1(VALU_DEP_3)
	v_add_f32_e32 v11, v11, v18
	v_dual_add_f32 v4, v4, v14 :: v_dual_add_f32 v5, v5, v16
	v_cvt_i32_f32_e32 v14, v15
	v_cvt_i32_f32_e32 v15, v19
	s_delay_alu instid0(VALU_DEP_4) | instskip(NEXT) | instid1(VALU_DEP_3)
	v_exp_f32_e32 v11, v11
	v_exp_f32_e32 v4, v4
	;; [unrolled: 1-line block ×3, first 2 shown]
	v_cvt_i32_f32_e32 v16, v17
	s_delay_alu instid0(TRANS32_DEP_3) | instskip(NEXT) | instid1(TRANS32_DEP_2)
	v_ldexp_f32 v11, v11, v15
	v_ldexp_f32 v4, v4, v14
	v_sub_f32_e32 v12, v12, v21
	v_cvt_i32_f32_e32 v14, v21
	s_delay_alu instid0(VALU_DEP_3)
	v_cndmask_b32_e32 v4, 0, v4, vcc_lo
	v_cmp_ngt_f32_e32 vcc_lo, 0xc2ce8ed0, v9
	v_dual_fmac_f32 v20, 0x32a5705f, v10 :: v_dual_cndmask_b32 v11, 0, v11
	v_cmp_nlt_f32_e32 vcc_lo, 0x42b17218, v3
	v_ldexp_f32 v3, v5, v16
	v_cndmask_b32_e32 v4, 0x7f800000, v4, vcc_lo
	v_cmp_nlt_f32_e32 vcc_lo, 0x42b17218, v9
	v_add_f32_e32 v12, v12, v20
	s_delay_alu instid0(VALU_DEP_3) | instskip(SKIP_1) | instid1(VALU_DEP_3)
	v_cvt_f16_f32_e32 v9, v4
	v_cndmask_b32_e32 v5, 0x7f800000, v11, vcc_lo
	v_exp_f32_e32 v12, v12
	v_cmp_ngt_f32_e32 vcc_lo, 0xc2ce8ed0, v8
	s_delay_alu instid0(TRANS32_DEP_1) | instskip(SKIP_3) | instid1(VALU_DEP_4)
	v_ldexp_f32 v12, v12, v14
	v_cndmask_b32_e32 v3, 0, v3, vcc_lo
	v_cmp_ngt_f32_e32 vcc_lo, 0xc2ce8ed0, v10
	v_and_b32_e32 v14, 0xffff, v9
	v_cndmask_b32_e32 v11, 0, v12, vcc_lo
	v_cmp_nlt_f32_e32 vcc_lo, 0x42b17218, v8
	v_cvt_f16_f32_e32 v12, v5
	v_cndmask_b32_e32 v8, 0x7f800000, v3, vcc_lo
	v_cmp_nlt_f32_e32 vcc_lo, 0x42b17218, v10
	s_delay_alu instid0(VALU_DEP_3) | instskip(SKIP_2) | instid1(VALU_DEP_3)
	v_and_b32_e32 v3, 0xffff, v12
	v_mul_u32_u24_e32 v10, 0x10001, v14
	v_cndmask_b32_e32 v9, 0x7f800000, v11, vcc_lo
	v_mul_u32_u24_e32 v3, 0x10001, v3
	s_delay_alu instid0(VALU_DEP_3)
	v_pk_mul_f16 v68, v68, v10
	v_pk_mul_f16 v74, v74, v10
	;; [unrolled: 1-line block ×3, first 2 shown]
	v_pk_fma_f32 v[0:1], v[0:1], v[4:5], v[8:9]
	v_mov_b64_e32 v[8:9], v[6:7]
	v_pk_mul_f16 v70, v70, v10
	v_pk_mul_f16 v73, v73, v10
	;; [unrolled: 1-line block ×13, first 2 shown]
.LBB5_20:
	s_load_b32 s0, s[0:1], 0xd4
	v_mov_b32_e32 v4, 1.0
	s_wait_kmcnt 0x0
	s_cmp_lg_u32 s0, 1
	s_cselect_b32 s2, -1, 0
	s_cmp_eq_u32 s0, 1
	s_cselect_b32 s1, -1, 0
	s_and_b32 vcc_lo, exec_lo, s2
	s_cbranch_vccnz .LBB5_22
; %bb.21:
	v_div_scale_f32 v3, null, v0, v0, 1.0
	s_delay_alu instid0(VALU_DEP_1) | instskip(SKIP_1) | instid1(TRANS32_DEP_1)
	v_rcp_f32_e32 v4, v3
	v_nop
	v_fma_f32 v5, -v3, v4, 1.0
	s_delay_alu instid0(VALU_DEP_1) | instskip(SKIP_1) | instid1(VALU_DEP_1)
	v_fmac_f32_e32 v4, v5, v4
	v_div_scale_f32 v5, vcc_lo, 1.0, v0, 1.0
	v_mul_f32_e32 v6, v5, v4
	s_delay_alu instid0(VALU_DEP_1) | instskip(NEXT) | instid1(VALU_DEP_1)
	v_fma_f32 v7, -v3, v6, v5
	v_fmac_f32_e32 v6, v7, v4
	s_delay_alu instid0(VALU_DEP_1) | instskip(NEXT) | instid1(VALU_DEP_1)
	v_fma_f32 v3, -v3, v6, v5
	v_div_fmas_f32 v3, v3, v4, v6
	s_delay_alu instid0(VALU_DEP_1)
	v_div_fixup_f32 v4, v3, v0, 1.0
.LBB5_22:
	v_mad_u32 v3, s28, s22, v38
	v_dual_lshrrev_b32 v6, 16, v74 :: v_dual_lshrrev_b32 v15, 16, v72
	v_dual_mov_b32 v7, 0 :: v_dual_lshrrev_b32 v5, 16, v68
	v_cmp_eq_u32_e32 vcc_lo, 0, v13
	s_delay_alu instid0(VALU_DEP_3) | instskip(SKIP_1) | instid1(VALU_DEP_4)
	v_cvt_f32_f16_e32 v13, v6
	v_dual_lshrrev_b32 v21, 16, v71 :: v_dual_lshrrev_b32 v23, 16, v69
	v_dual_lshrrev_b32 v25, 16, v67 :: v_dual_mov_b32 v27, v7
	v_mad_u32 v2, v3, s23, v2
	v_dual_lshrrev_b32 v3, 16, v70 :: v_dual_lshrrev_b32 v19, 16, v73
	v_cvt_f32_f16_e32 v10, v68
	v_cvt_f32_f16_e32 v12, v74
	;; [unrolled: 1-line block ×8, first 2 shown]
	v_mad_u32 v2, s0, v2, s31
	v_cvt_f32_f16_e32 v20, v71
	v_cvt_f32_f16_e32 v19, v19
	;; [unrolled: 1-line block ×7, first 2 shown]
	v_pk_mul_f32 v[10:11], v[4:5], v[10:11] op_sel_hi:[0,1]
	v_pk_mul_f32 v[12:13], v[4:5], v[12:13] op_sel_hi:[0,1]
	v_pk_mul_f32 v[14:15], v[4:5], v[14:15] op_sel_hi:[0,1]
	v_lshl_add_u32 v6, v2, 9, v39
	v_mov_b32_e32 v29, v7
	v_pk_mul_f32 v[16:17], v[4:5], v[16:17] op_sel_hi:[0,1]
	v_pk_mul_f32 v[18:19], v[4:5], v[18:19] op_sel_hi:[0,1]
	v_pk_mul_f32 v[20:21], v[4:5], v[20:21] op_sel_hi:[0,1]
	v_add_nc_u32_e32 v26, 0x80, v6
	v_add_nc_u32_e32 v28, 0x100, v6
	v_lshl_add_u64 v[30:31], v[6:7], 2, s[16:17]
	v_add_nc_u32_e32 v6, 0x180, v6
	v_pk_mul_f32 v[22:23], v[4:5], v[22:23] op_sel_hi:[0,1]
	v_lshl_add_u64 v[26:27], v[26:27], 2, s[16:17]
	v_lshl_add_u64 v[28:29], v[28:29], 2, s[16:17]
	v_pk_mul_f32 v[24:25], v[4:5], v[24:25] op_sel_hi:[0,1]
	v_lshl_add_u64 v[6:7], v[6:7], 2, s[16:17]
	s_and_b32 s2, vcc_lo, s2
	s_clause 0x3
	global_store_b128 v[30:31], v[10:13], off
	global_store_b128 v[26:27], v[14:17], off
	;; [unrolled: 1-line block ×4, first 2 shown]
	s_wait_xcnt 0x0
	s_and_saveexec_b32 s3, s2
	s_cbranch_execz .LBB5_24
; %bb.23:
	v_dual_mov_b32 v4, v8 :: v_dual_mov_b32 v5, v0
	global_store_b64 v2, v[4:5], s[18:19] scale_offset
.LBB5_24:
	s_wait_xcnt 0x0
	s_or_b32 exec_lo, exec_lo, s3
	v_mov_b32_e32 v0, 1.0
	s_and_not1_b32 vcc_lo, exec_lo, s1
	s_cbranch_vccnz .LBB5_26
; %bb.25:
	v_div_scale_f32 v0, null, v1, v1, 1.0
	s_delay_alu instid0(VALU_DEP_1) | instskip(SKIP_1) | instid1(TRANS32_DEP_1)
	v_rcp_f32_e32 v3, v0
	v_nop
	v_fma_f32 v4, -v0, v3, 1.0
	s_delay_alu instid0(VALU_DEP_1) | instskip(SKIP_1) | instid1(VALU_DEP_1)
	v_fmac_f32_e32 v3, v4, v3
	v_div_scale_f32 v4, vcc_lo, 1.0, v1, 1.0
	v_mul_f32_e32 v5, v4, v3
	s_delay_alu instid0(VALU_DEP_1) | instskip(NEXT) | instid1(VALU_DEP_1)
	v_fma_f32 v6, -v0, v5, v4
	v_fmac_f32_e32 v5, v6, v3
	s_delay_alu instid0(VALU_DEP_1) | instskip(NEXT) | instid1(VALU_DEP_1)
	v_fma_f32 v0, -v0, v5, v4
	v_div_fmas_f32 v0, v0, v3, v5
	s_delay_alu instid0(VALU_DEP_1)
	v_div_fixup_f32 v0, v0, v1, 1.0
.LBB5_26:
	v_dual_mov_b32 v19, 0 :: v_dual_add_nc_u32 v2, s0, v2
	v_lshrrev_b32_e32 v3, 16, v62
	v_dual_lshrrev_b32 v7, 16, v66 :: v_dual_lshrrev_b32 v8, 16, v63
	s_delay_alu instid0(VALU_DEP_3) | instskip(NEXT) | instid1(VALU_DEP_4)
	v_lshl_add_u32 v18, v2, 9, v39
	v_mov_b32_e32 v11, v19
	s_delay_alu instid0(VALU_DEP_4)
	v_cvt_f32_f16_e32 v5, v3
	v_lshrrev_b32_e32 v3, 16, v65
	v_cvt_f32_f16_e32 v4, v62
	v_dual_mov_b32 v15, v19 :: v_dual_add_nc_u32 v10, 0x80, v18
	v_add_nc_u32_e32 v14, 0x100, v18
	v_cvt_f32_f16_e32 v6, v66
	v_cvt_f32_f16_e32 v7, v7
	s_delay_alu instid0(VALU_DEP_4)
	v_lshl_add_u64 v[24:25], v[10:11], 2, s[16:17]
	v_cvt_f32_f16_e32 v11, v3
	v_lshrrev_b32_e32 v3, 16, v64
	v_cvt_f32_f16_e32 v13, v8
	v_lshrrev_b32_e32 v8, 16, v61
	v_lshl_add_u64 v[26:27], v[14:15], 2, s[16:17]
	v_cvt_f32_f16_e32 v10, v65
	v_cvt_f32_f16_e32 v15, v3
	v_lshrrev_b32_e32 v3, 16, v60
	v_cvt_f32_f16_e32 v17, v8
	v_lshrrev_b32_e32 v8, 16, v59
	v_cvt_f32_f16_e32 v12, v63
	v_cvt_f32_f16_e32 v14, v64
	v_cvt_f32_f16_e32 v16, v61
	v_lshl_add_u64 v[22:23], v[18:19], 2, s[16:17]
	v_add_nc_u32_e32 v18, 0x180, v18
	v_cvt_f32_f16_e32 v21, v3
	v_cvt_f32_f16_e32 v20, v60
	;; [unrolled: 1-line block ×4, first 2 shown]
	v_pk_mul_f32 v[4:5], v[0:1], v[4:5] op_sel_hi:[0,1]
	v_pk_mul_f32 v[6:7], v[0:1], v[6:7] op_sel_hi:[0,1]
	v_pk_mul_f32 v[10:11], v[0:1], v[10:11] op_sel_hi:[0,1]
	v_pk_mul_f32 v[12:13], v[0:1], v[12:13] op_sel_hi:[0,1]
	v_pk_mul_f32 v[14:15], v[0:1], v[14:15] op_sel_hi:[0,1]
	v_pk_mul_f32 v[16:17], v[0:1], v[16:17] op_sel_hi:[0,1]
	v_lshl_add_u64 v[30:31], v[18:19], 2, s[16:17]
	v_pk_mul_f32 v[18:19], v[0:1], v[20:21] op_sel_hi:[0,1]
	v_pk_mul_f32 v[20:21], v[0:1], v[28:29] op_sel_hi:[0,1]
	s_clause 0x3
	global_store_b128 v[22:23], v[4:7], off
	global_store_b128 v[24:25], v[10:13], off
	;; [unrolled: 1-line block ×4, first 2 shown]
	s_wait_xcnt 0x0
	s_and_saveexec_b32 s0, s2
	s_cbranch_execz .LBB5_28
; %bb.27:
	v_mov_b32_e32 v0, v9
	global_store_b64 v2, v[0:1], s[18:19] scale_offset
.LBB5_28:
	s_sendmsg sendmsg(MSG_DEALLOC_VGPRS)
	s_endpgm
	.section	.rodata,"a",@progbits
	.p2align	6, 0x0
	.amdhsa_kernel _ZL15flash_attn_tileILi576ELi512ELi1ELi16ELb0EEvPKcS1_S1_S1_S1_PKiPfP15HIP_vector_typeIfLj2EEffffjfiS5_IjLj3EEiiiiiiiiiiiliiliiiiil
		.amdhsa_group_segment_fixed_size 29696
		.amdhsa_private_segment_fixed_size 0
		.amdhsa_kernarg_size 464
		.amdhsa_user_sgpr_count 2
		.amdhsa_user_sgpr_dispatch_ptr 0
		.amdhsa_user_sgpr_queue_ptr 0
		.amdhsa_user_sgpr_kernarg_segment_ptr 1
		.amdhsa_user_sgpr_dispatch_id 0
		.amdhsa_user_sgpr_kernarg_preload_length 0
		.amdhsa_user_sgpr_kernarg_preload_offset 0
		.amdhsa_user_sgpr_private_segment_size 0
		.amdhsa_wavefront_size32 1
		.amdhsa_uses_dynamic_stack 0
		.amdhsa_enable_private_segment 0
		.amdhsa_system_sgpr_workgroup_id_x 1
		.amdhsa_system_sgpr_workgroup_id_y 1
		.amdhsa_system_sgpr_workgroup_id_z 1
		.amdhsa_system_sgpr_workgroup_info 0
		.amdhsa_system_vgpr_workitem_id 1
		.amdhsa_next_free_vgpr 87
		.amdhsa_next_free_sgpr 46
		.amdhsa_named_barrier_count 0
		.amdhsa_reserve_vcc 1
		.amdhsa_float_round_mode_32 0
		.amdhsa_float_round_mode_16_64 0
		.amdhsa_float_denorm_mode_32 3
		.amdhsa_float_denorm_mode_16_64 3
		.amdhsa_fp16_overflow 0
		.amdhsa_memory_ordered 1
		.amdhsa_forward_progress 1
		.amdhsa_inst_pref_size 176
		.amdhsa_round_robin_scheduling 0
		.amdhsa_exception_fp_ieee_invalid_op 0
		.amdhsa_exception_fp_denorm_src 0
		.amdhsa_exception_fp_ieee_div_zero 0
		.amdhsa_exception_fp_ieee_overflow 0
		.amdhsa_exception_fp_ieee_underflow 0
		.amdhsa_exception_fp_ieee_inexact 0
		.amdhsa_exception_int_div_zero 0
	.end_amdhsa_kernel
	.section	.text._ZL15flash_attn_tileILi576ELi512ELi1ELi16ELb0EEvPKcS1_S1_S1_S1_PKiPfP15HIP_vector_typeIfLj2EEffffjfiS5_IjLj3EEiiiiiiiiiiiliiliiiiil,"axG",@progbits,_ZL15flash_attn_tileILi576ELi512ELi1ELi16ELb0EEvPKcS1_S1_S1_S1_PKiPfP15HIP_vector_typeIfLj2EEffffjfiS5_IjLj3EEiiiiiiiiiiiliiliiiiil,comdat
.Lfunc_end5:
	.size	_ZL15flash_attn_tileILi576ELi512ELi1ELi16ELb0EEvPKcS1_S1_S1_S1_PKiPfP15HIP_vector_typeIfLj2EEffffjfiS5_IjLj3EEiiiiiiiiiiiliiliiiiil, .Lfunc_end5-_ZL15flash_attn_tileILi576ELi512ELi1ELi16ELb0EEvPKcS1_S1_S1_S1_PKiPfP15HIP_vector_typeIfLj2EEffffjfiS5_IjLj3EEiiiiiiiiiiiliiliiiiil
                                        ; -- End function
	.set _ZL15flash_attn_tileILi576ELi512ELi1ELi16ELb0EEvPKcS1_S1_S1_S1_PKiPfP15HIP_vector_typeIfLj2EEffffjfiS5_IjLj3EEiiiiiiiiiiiliiliiiiil.num_vgpr, 87
	.set _ZL15flash_attn_tileILi576ELi512ELi1ELi16ELb0EEvPKcS1_S1_S1_S1_PKiPfP15HIP_vector_typeIfLj2EEffffjfiS5_IjLj3EEiiiiiiiiiiiliiliiiiil.num_agpr, 0
	.set _ZL15flash_attn_tileILi576ELi512ELi1ELi16ELb0EEvPKcS1_S1_S1_S1_PKiPfP15HIP_vector_typeIfLj2EEffffjfiS5_IjLj3EEiiiiiiiiiiiliiliiiiil.numbered_sgpr, 46
	.set _ZL15flash_attn_tileILi576ELi512ELi1ELi16ELb0EEvPKcS1_S1_S1_S1_PKiPfP15HIP_vector_typeIfLj2EEffffjfiS5_IjLj3EEiiiiiiiiiiiliiliiiiil.num_named_barrier, 0
	.set _ZL15flash_attn_tileILi576ELi512ELi1ELi16ELb0EEvPKcS1_S1_S1_S1_PKiPfP15HIP_vector_typeIfLj2EEffffjfiS5_IjLj3EEiiiiiiiiiiiliiliiiiil.private_seg_size, 0
	.set _ZL15flash_attn_tileILi576ELi512ELi1ELi16ELb0EEvPKcS1_S1_S1_S1_PKiPfP15HIP_vector_typeIfLj2EEffffjfiS5_IjLj3EEiiiiiiiiiiiliiliiiiil.uses_vcc, 1
	.set _ZL15flash_attn_tileILi576ELi512ELi1ELi16ELb0EEvPKcS1_S1_S1_S1_PKiPfP15HIP_vector_typeIfLj2EEffffjfiS5_IjLj3EEiiiiiiiiiiiliiliiiiil.uses_flat_scratch, 0
	.set _ZL15flash_attn_tileILi576ELi512ELi1ELi16ELb0EEvPKcS1_S1_S1_S1_PKiPfP15HIP_vector_typeIfLj2EEffffjfiS5_IjLj3EEiiiiiiiiiiiliiliiiiil.has_dyn_sized_stack, 0
	.set _ZL15flash_attn_tileILi576ELi512ELi1ELi16ELb0EEvPKcS1_S1_S1_S1_PKiPfP15HIP_vector_typeIfLj2EEffffjfiS5_IjLj3EEiiiiiiiiiiiliiliiiiil.has_recursion, 0
	.set _ZL15flash_attn_tileILi576ELi512ELi1ELi16ELb0EEvPKcS1_S1_S1_S1_PKiPfP15HIP_vector_typeIfLj2EEffffjfiS5_IjLj3EEiiiiiiiiiiiliiliiiiil.has_indirect_call, 0
	.section	.AMDGPU.csdata,"",@progbits
; Kernel info:
; codeLenInByte = 22492
; TotalNumSgprs: 48
; NumVgprs: 87
; ScratchSize: 0
; MemoryBound: 0
; FloatMode: 240
; IeeeMode: 1
; LDSByteSize: 29696 bytes/workgroup (compile time only)
; SGPRBlocks: 0
; VGPRBlocks: 5
; NumSGPRsForWavesPerEU: 48
; NumVGPRsForWavesPerEU: 87
; NamedBarCnt: 0
; Occupancy: 10
; WaveLimiterHint : 1
; COMPUTE_PGM_RSRC2:SCRATCH_EN: 0
; COMPUTE_PGM_RSRC2:USER_SGPR: 2
; COMPUTE_PGM_RSRC2:TRAP_HANDLER: 0
; COMPUTE_PGM_RSRC2:TGID_X_EN: 1
; COMPUTE_PGM_RSRC2:TGID_Y_EN: 1
; COMPUTE_PGM_RSRC2:TGID_Z_EN: 1
; COMPUTE_PGM_RSRC2:TIDIG_COMP_CNT: 1
	.section	.text._ZL25flash_attn_mask_to_KV_maxILi1EEvPK7__half2Piiii,"axG",@progbits,_ZL25flash_attn_mask_to_KV_maxILi1EEvPK7__half2Piiii,comdat
	.globl	_ZL25flash_attn_mask_to_KV_maxILi1EEvPK7__half2Piiii ; -- Begin function _ZL25flash_attn_mask_to_KV_maxILi1EEvPK7__half2Piiii
	.p2align	8
	.type	_ZL25flash_attn_mask_to_KV_maxILi1EEvPK7__half2Piiii,@function
_ZL25flash_attn_mask_to_KV_maxILi1EEvPK7__half2Piiii: ; @_ZL25flash_attn_mask_to_KV_maxILi1EEvPK7__half2Piiii
; %bb.0:
	s_load_b128 s[4:7], s[0:1], 0x0
	s_mov_b32 s2, exec_lo
	v_cmpx_gt_u32_e32 32, v0
; %bb.1:
	v_dual_mov_b32 v2, 1 :: v_dual_lshlrev_b32 v1, 2, v0
	ds_store_b32 v1, v2
; %bb.2:
	s_or_b32 exec_lo, exec_lo, s2
	s_clause 0x1
	s_load_b96 s[8:10], s[0:1], 0x10
	s_load_b32 s11, s[0:1], 0x20
	s_wait_xcnt 0x0
	s_bfe_u32 s1, ttmp6, 0x4000c
	s_bfe_u32 s2, ttmp6, 0x40010
	s_add_co_i32 s1, s1, 1
	s_add_co_i32 s2, s2, 1
	s_and_b32 s0, ttmp6, 15
	s_bfe_u32 s3, ttmp6, 0x40004
	s_mul_i32 s1, ttmp9, s1
	s_mul_i32 s2, ttmp7, s2
	s_getreg_b32 s12, hwreg(HW_REG_IB_STS2, 6, 4)
	s_add_co_i32 s0, s0, s1
	s_add_co_i32 s3, s3, s2
	s_cmp_eq_u32 s12, 0
	v_dual_lshrrev_b32 v1, 3, v0 :: v_dual_bitop2_b32 v2, 31, v0 bitop3:0x40
	s_cselect_b32 s1, ttmp7, s3
	s_cselect_b32 s12, ttmp9, s0
	s_wait_dscnt 0x0
	s_barrier_signal -1
	s_wait_kmcnt 0x0
	s_mul_i32 s0, s10, s1
	s_mul_i32 s2, s9, s12
	s_barrier_wait -1
	s_add_co_i32 s2, s0, s2
	v_cmp_eq_u32_e64 s0, 0, v2
	s_ashr_i32 s3, s2, 31
	v_lshlrev_b32_e32 v2, 2, v2
	s_lshl_b64 s[2:3], s[2:3], 2
	s_delay_alu instid0(SALU_CYCLE_1)
	s_add_nc_u64 s[2:3], s[4:5], s[2:3]
	s_lshl_b32 s5, s8, 8
	s_branch .LBB6_4
.LBB6_3:                                ;   in Loop: Header=BB6_4 Depth=1
	s_or_b32 exec_lo, exec_lo, s9
	s_wait_dscnt 0x0
	s_barrier_signal -1
	s_barrier_wait -1
	ds_load_b32 v3, v2
	s_wait_dscnt 0x0
	s_barrier_signal -1
	s_barrier_wait -1
	v_cmp_ne_u32_e32 vcc_lo, 0, v3
	s_cmp_lg_u32 vcc_lo, exec_lo
	s_cselect_b32 s8, -1, 0
	s_delay_alu instid0(SALU_CYCLE_1)
	s_and_b32 vcc_lo, exec_lo, s8
	s_cbranch_vccnz .LBB6_8
.LBB6_4:                                ; =>This Inner Loop Header: Depth=1
	s_mov_b32 s4, s5
	s_addk_co_i32 s5, 0xff00
	s_delay_alu instid0(SALU_CYCLE_1)
	s_cmp_lt_i32 s5, 0
	s_cbranch_scc1 .LBB6_7
; %bb.5:                                ;   in Loop: Header=BB6_4 Depth=1
	s_lshr_b32 s9, s5, 1
	s_mov_b32 s8, exec_lo
	v_add_nc_u32_e32 v3, s9, v0
	global_load_b32 v3, v3, s[2:3] scale_offset
	s_wait_loadcnt 0x0
	v_lshrrev_b32_e32 v4, 16, v3
	v_cmp_class_f16_e64 s9, v3, 0x204
	s_delay_alu instid0(VALU_DEP_2) | instskip(SKIP_1) | instid1(SALU_CYCLE_1)
	v_cmp_class_f16_e64 s10, v4, 0x204
	s_and_b32 s9, s9, s10
	v_cndmask_b32_e64 v3, 0, 1, s9
	s_delay_alu instid0(VALU_DEP_1)
	v_cmp_ne_u32_e32 vcc_lo, 0, v3
	s_and_saveexec_b32 s9, s0
	s_cbranch_execz .LBB6_3
; %bb.6:                                ;   in Loop: Header=BB6_4 Depth=1
	s_cmp_eq_u32 vcc_lo, s8
	s_cselect_b32 s8, -1, 0
	s_delay_alu instid0(SALU_CYCLE_1)
	v_cndmask_b32_e64 v3, 0, 1, s8
	ds_store_b32 v1, v3
	s_branch .LBB6_3
.LBB6_7:                                ;   in Loop: Header=BB6_4 Depth=1
	s_cbranch_execz .LBB6_4
.LBB6_8:
	s_mov_b32 s0, exec_lo
	v_cmpx_eq_u32_e32 0, v0
	s_cbranch_execz .LBB6_10
; %bb.9:
	s_mul_i32 s0, s11, s1
	v_mov_b32_e32 v1, s4
	s_add_co_i32 s0, s0, s12
	s_delay_alu instid0(SALU_CYCLE_1)
	v_mov_b32_e32 v0, s0
	global_store_b32 v0, v1, s[6:7] scale_offset
.LBB6_10:
	s_endpgm
	.section	.rodata,"a",@progbits
	.p2align	6, 0x0
	.amdhsa_kernel _ZL25flash_attn_mask_to_KV_maxILi1EEvPK7__half2Piiii
		.amdhsa_group_segment_fixed_size 128
		.amdhsa_private_segment_fixed_size 0
		.amdhsa_kernarg_size 288
		.amdhsa_user_sgpr_count 2
		.amdhsa_user_sgpr_dispatch_ptr 0
		.amdhsa_user_sgpr_queue_ptr 0
		.amdhsa_user_sgpr_kernarg_segment_ptr 1
		.amdhsa_user_sgpr_dispatch_id 0
		.amdhsa_user_sgpr_kernarg_preload_length 0
		.amdhsa_user_sgpr_kernarg_preload_offset 0
		.amdhsa_user_sgpr_private_segment_size 0
		.amdhsa_wavefront_size32 1
		.amdhsa_uses_dynamic_stack 0
		.amdhsa_enable_private_segment 0
		.amdhsa_system_sgpr_workgroup_id_x 1
		.amdhsa_system_sgpr_workgroup_id_y 1
		.amdhsa_system_sgpr_workgroup_id_z 0
		.amdhsa_system_sgpr_workgroup_info 0
		.amdhsa_system_vgpr_workitem_id 0
		.amdhsa_next_free_vgpr 5
		.amdhsa_next_free_sgpr 13
		.amdhsa_named_barrier_count 0
		.amdhsa_reserve_vcc 1
		.amdhsa_float_round_mode_32 0
		.amdhsa_float_round_mode_16_64 0
		.amdhsa_float_denorm_mode_32 3
		.amdhsa_float_denorm_mode_16_64 3
		.amdhsa_fp16_overflow 0
		.amdhsa_memory_ordered 1
		.amdhsa_forward_progress 1
		.amdhsa_inst_pref_size 4
		.amdhsa_round_robin_scheduling 0
		.amdhsa_exception_fp_ieee_invalid_op 0
		.amdhsa_exception_fp_denorm_src 0
		.amdhsa_exception_fp_ieee_div_zero 0
		.amdhsa_exception_fp_ieee_overflow 0
		.amdhsa_exception_fp_ieee_underflow 0
		.amdhsa_exception_fp_ieee_inexact 0
		.amdhsa_exception_int_div_zero 0
	.end_amdhsa_kernel
	.section	.text._ZL25flash_attn_mask_to_KV_maxILi1EEvPK7__half2Piiii,"axG",@progbits,_ZL25flash_attn_mask_to_KV_maxILi1EEvPK7__half2Piiii,comdat
.Lfunc_end6:
	.size	_ZL25flash_attn_mask_to_KV_maxILi1EEvPK7__half2Piiii, .Lfunc_end6-_ZL25flash_attn_mask_to_KV_maxILi1EEvPK7__half2Piiii
                                        ; -- End function
	.set _ZL25flash_attn_mask_to_KV_maxILi1EEvPK7__half2Piiii.num_vgpr, 5
	.set _ZL25flash_attn_mask_to_KV_maxILi1EEvPK7__half2Piiii.num_agpr, 0
	.set _ZL25flash_attn_mask_to_KV_maxILi1EEvPK7__half2Piiii.numbered_sgpr, 13
	.set _ZL25flash_attn_mask_to_KV_maxILi1EEvPK7__half2Piiii.num_named_barrier, 0
	.set _ZL25flash_attn_mask_to_KV_maxILi1EEvPK7__half2Piiii.private_seg_size, 0
	.set _ZL25flash_attn_mask_to_KV_maxILi1EEvPK7__half2Piiii.uses_vcc, 1
	.set _ZL25flash_attn_mask_to_KV_maxILi1EEvPK7__half2Piiii.uses_flat_scratch, 0
	.set _ZL25flash_attn_mask_to_KV_maxILi1EEvPK7__half2Piiii.has_dyn_sized_stack, 0
	.set _ZL25flash_attn_mask_to_KV_maxILi1EEvPK7__half2Piiii.has_recursion, 0
	.set _ZL25flash_attn_mask_to_KV_maxILi1EEvPK7__half2Piiii.has_indirect_call, 0
	.section	.AMDGPU.csdata,"",@progbits
; Kernel info:
; codeLenInByte = 456
; TotalNumSgprs: 15
; NumVgprs: 5
; ScratchSize: 0
; MemoryBound: 0
; FloatMode: 240
; IeeeMode: 1
; LDSByteSize: 128 bytes/workgroup (compile time only)
; SGPRBlocks: 0
; VGPRBlocks: 0
; NumSGPRsForWavesPerEU: 15
; NumVGPRsForWavesPerEU: 5
; NamedBarCnt: 0
; Occupancy: 16
; WaveLimiterHint : 0
; COMPUTE_PGM_RSRC2:SCRATCH_EN: 0
; COMPUTE_PGM_RSRC2:USER_SGPR: 2
; COMPUTE_PGM_RSRC2:TRAP_HANDLER: 0
; COMPUTE_PGM_RSRC2:TGID_X_EN: 1
; COMPUTE_PGM_RSRC2:TGID_Y_EN: 1
; COMPUTE_PGM_RSRC2:TGID_Z_EN: 0
; COMPUTE_PGM_RSRC2:TIDIG_COMP_CNT: 0
	.section	.text._ZL33flash_attn_stream_k_fixup_uniformILi512ELi1ELi16EEvPfPK15HIP_vector_typeIfLj2EEiiiiiiS1_IjLj3EES5_S5_,"axG",@progbits,_ZL33flash_attn_stream_k_fixup_uniformILi512ELi1ELi16EEvPfPK15HIP_vector_typeIfLj2EEiiiiiiS1_IjLj3EES5_S5_,comdat
	.globl	_ZL33flash_attn_stream_k_fixup_uniformILi512ELi1ELi16EEvPfPK15HIP_vector_typeIfLj2EEiiiiiiS1_IjLj3EES5_S5_ ; -- Begin function _ZL33flash_attn_stream_k_fixup_uniformILi512ELi1ELi16EEvPfPK15HIP_vector_typeIfLj2EEiiiiiiS1_IjLj3EES5_S5_
	.p2align	8
	.type	_ZL33flash_attn_stream_k_fixup_uniformILi512ELi1ELi16EEvPfPK15HIP_vector_typeIfLj2EEiiiiiiS1_IjLj3EES5_S5_,@function
_ZL33flash_attn_stream_k_fixup_uniformILi512ELi1ELi16EEvPfPK15HIP_vector_typeIfLj2EEiiiiiiS1_IjLj3EES5_S5_: ; @_ZL33flash_attn_stream_k_fixup_uniformILi512ELi1ELi16EEvPfPK15HIP_vector_typeIfLj2EEiiiiiiS1_IjLj3EES5_S5_
; %bb.0:
	s_load_b256 s[4:11], s[0:1], 0x1c
	s_bfe_u32 s2, ttmp6, 0x40014
	s_lshr_b32 s3, ttmp7, 16
	s_add_co_i32 s2, s2, 1
	s_bfe_u32 s13, ttmp6, 0x40010
	s_mul_i32 s2, s3, s2
	s_bfe_u32 s12, ttmp6, 0x40008
	s_and_b32 s15, ttmp7, 0xffff
	s_add_co_i32 s13, s13, 1
	s_bfe_u32 s14, ttmp6, 0x4000c
	s_add_co_i32 s12, s12, s2
	s_mul_i32 s2, s15, s13
	s_bfe_u32 s13, ttmp6, 0x40004
	s_add_co_i32 s14, s14, 1
	s_add_co_i32 s13, s13, s2
	s_and_b32 s2, ttmp6, 15
	s_mul_i32 s14, ttmp9, s14
	s_getreg_b32 s20, hwreg(HW_REG_IB_STS2, 6, 4)
	s_add_co_i32 s2, s2, s14
	s_load_b128 s[16:19], s[0:1], 0x3c
	s_cmp_eq_u32 s20, 0
	s_cselect_b32 s14, ttmp9, s2
	s_cselect_b32 s13, s15, s13
	s_wait_kmcnt 0x0
	s_mul_hi_u32 s2, s7, s14
	s_cselect_b32 s12, s3, s12
	s_add_co_i32 s2, s14, s2
	s_delay_alu instid0(SALU_CYCLE_1) | instskip(NEXT) | instid1(SALU_CYCLE_1)
	s_lshr_b32 s7, s2, s8
	s_mul_i32 s2, s7, s9
	s_delay_alu instid0(SALU_CYCLE_1) | instskip(SKIP_2) | instid1(SALU_CYCLE_1)
	s_sub_co_i32 s8, s14, s2
	s_load_b64 s[2:3], s[0:1], 0x10
	s_mul_hi_u32 s9, s8, s10
	s_add_co_i32 s9, s8, s9
	s_delay_alu instid0(SALU_CYCLE_1) | instskip(NEXT) | instid1(SALU_CYCLE_1)
	s_lshr_b32 s15, s9, s11
	s_mul_i32 s9, s15, s16
	s_delay_alu instid0(SALU_CYCLE_1) | instskip(NEXT) | instid1(SALU_CYCLE_1)
	s_sub_co_i32 s8, s8, s9
	s_mul_hi_u32 s9, s8, s17
	s_delay_alu instid0(SALU_CYCLE_1) | instskip(NEXT) | instid1(SALU_CYCLE_1)
	s_add_co_i32 s9, s8, s9
	s_lshr_b32 s9, s9, s18
	s_delay_alu instid0(SALU_CYCLE_1) | instskip(SKIP_2) | instid1(SALU_CYCLE_1)
	s_mul_i32 s10, s9, s19
	s_lshl_b32 s17, s9, 4
	s_sub_co_i32 s16, s8, s10
	s_add_co_i32 s16, s16, s13
	s_wait_kmcnt 0x0
	s_cmp_lt_i32 s16, s2
	s_cselect_b32 s8, -1, 0
	s_add_co_i32 s17, s17, s12
	s_delay_alu instid0(SALU_CYCLE_1) | instskip(SKIP_1) | instid1(SALU_CYCLE_1)
	s_cmp_lt_i32 s17, s5
	s_cselect_b32 s9, -1, 0
	s_and_b32 s8, s8, s9
	s_delay_alu instid0(SALU_CYCLE_1)
	s_and_not1_b32 vcc_lo, exec_lo, s8
	s_cbranch_vccnz .LBB7_6
; %bb.1:
	s_load_b128 s[8:11], s[0:1], 0x0
	s_mul_i32 s7, s7, s2
	s_mul_i32 s15, s15, s5
	s_wait_xcnt 0x0
	s_add_co_i32 s0, s16, s7
	s_add_co_i32 s1, s17, s15
	s_mul_i32 s0, s0, s3
	s_mul_i32 s7, s6, s14
	s_add_co_i32 s1, s1, s0
	s_add_co_i32 s5, s7, s6
	v_lshl_or_b32 v4, s1, 9, v0
	s_add_co_i32 s0, s13, s5
	s_add_co_i32 s2, s5, -2
	s_lshl_b32 s0, s0, 4
	s_delay_alu instid0(SALU_CYCLE_1) | instskip(SKIP_2) | instid1(SALU_CYCLE_1)
	s_add_co_i32 s0, s0, s12
	v_ashrrev_i32_e32 v5, 31, v4
	s_add_co_i32 s0, s0, -16
	s_ashr_i32 s1, s0, 31
	s_delay_alu instid0(SALU_CYCLE_1)
	s_lshl_b64 s[0:1], s[0:1], 3
	s_wait_kmcnt 0x0
	global_load_b32 v3, v4, s[8:9] scale_offset
	s_add_nc_u64 s[0:1], s[10:11], s[0:1]
	s_cmp_lt_i32 s2, s7
	s_load_b32 s15, s[0:1], 0x4
	s_cbranch_scc1 .LBB7_4
; %bb.2:
	s_wait_xcnt 0x0
	s_load_b32 s0, s[0:1], 0x0
	s_add_co_i32 s14, s14, 1
	s_wait_xcnt 0x0
	s_lshl_b32 s1, s12, 9
	s_mul_i32 s3, s6, s14
	s_lshl_b32 s6, s13, 13
	s_lshl_b32 s14, s3, 13
	s_add_co_i32 s1, s1, s6
	s_lshl_b32 s2, s4, 6
	s_add_co_i32 s1, s1, s14
	s_add_co_i32 s4, s13, s4
	s_wait_kmcnt 0x0
	v_dual_mov_b32 v2, s15 :: v_dual_bitop2_b32 v0, s1, v0 bitop3:0x54
	s_add_co_i32 s4, s4, s5
	s_ashr_i32 s3, s2, 31
	s_lshl_b32 s1, s4, 4
	s_delay_alu instid0(VALU_DEP_1)
	v_add_nc_u32_e32 v0, 0xffffc000, v0
	s_lshl_b64 s[2:3], s[2:3], 2
	s_add_co_i32 s12, s12, s1
	s_add_nc_u64 s[2:3], s[10:11], s[2:3]
	s_add_co_i32 s1, s5, -1
	s_sub_co_i32 s4, s12, 32
.LBB7_3:                                ; =>This Inner Loop Header: Depth=1
	global_load_b32 v7, v0, s[2:3] scale_offset
	s_ashr_i32 s5, s4, 31
	v_max_num_f32_e64 v1, s0, s0
	s_lshl_b64 s[12:13], s[4:5], 3
	s_delay_alu instid0(SALU_CYCLE_1) | instskip(SKIP_1) | instid1(VALU_DEP_1)
	s_add_nc_u64 s[12:13], s[10:11], s[12:13]
	s_load_b64 s[12:13], s[12:13], 0x0
	v_readfirstlane_b32 s5, v1
	v_add_nc_u32_e32 v0, 0xffffe000, v0
	s_wait_kmcnt 0x0
	v_max_num_f32_e64 v1, s12, s12
	s_delay_alu instid0(VALU_DEP_1) | instskip(SKIP_1) | instid1(SALU_CYCLE_3)
	v_readfirstlane_b32 s6, v1
	s_max_num_f32 s5, s5, s6
	s_sub_f32 s0, s0, s5
	s_sub_f32 s6, s12, s5
	s_delay_alu instid0(SALU_CYCLE_2) | instskip(NEXT) | instid1(SALU_CYCLE_2)
	s_mul_f32 s12, s0, 0x3fb8aa3b
	s_mul_f32 s14, s6, 0x3fb8aa3b
	s_delay_alu instid0(SALU_CYCLE_2)
	s_xor_b32 s15, s12, 0x80000000
	s_rndne_f32 s16, s12
	s_fmamk_f32 s15, s0, 0x3fb8aa3b, s15
	s_cmp_nlt_f32 s0, 0xc2ce8ed0
	s_rndne_f32 s17, s14
	s_sub_f32 s12, s12, s16
	s_fmamk_f32 s15, s0, 0x32a5705f, s15
	s_cselect_b32 vcc_lo, -1, 0
	s_cmp_ngt_f32 s0, 0x42b17218
	s_delay_alu instid0(SALU_CYCLE_1) | instskip(SKIP_2) | instid1(SALU_CYCLE_1)
	s_add_f32 s12, s12, s15
	s_cvt_i32_f32 s15, s16
	s_sub_f32 s16, s14, s17
	v_s_exp_f32 s12, s12
	v_nop
	s_delay_alu instid0(TRANS32_DEP_1) | instskip(SKIP_1) | instid1(VALU_DEP_1)
	v_ldexp_f32 v1, s12, s15
	s_cvt_i32_f32 s12, s17
	v_cndmask_b32_e32 v1, 0, v1, vcc_lo
	s_cselect_b32 vcc_lo, -1, 0
	s_cmp_ge_f32 s0, 0xc1a00000
	s_delay_alu instid0(VALU_DEP_1)
	v_cndmask_b32_e32 v1, 0x7f800000, v1, vcc_lo
	s_cselect_b32 vcc_lo, -1, 0
	s_xor_b32 s0, s14, 0x80000000
	s_cmp_nlt_f32 s6, 0xc2ce8ed0
	s_fmamk_f32 s0, s6, 0x3fb8aa3b, s0
	v_cndmask_b32_e32 v10, 0, v1, vcc_lo
	s_delay_alu instid0(SALU_CYCLE_2) | instskip(NEXT) | instid1(SALU_CYCLE_3)
	s_fmamk_f32 s0, s6, 0x32a5705f, s0
	s_add_f32 s0, s16, s0
	s_delay_alu instid0(SALU_CYCLE_3) | instskip(SKIP_1) | instid1(TRANS32_DEP_1)
	v_s_exp_f32 s0, s0
	v_nop
	v_ldexp_f32 v6, s0, s12
	s_cselect_b32 s0, -1, 0
	s_cmp_ngt_f32 s6, 0x42b17218
	s_delay_alu instid0(VALU_DEP_1) | instskip(SKIP_2) | instid1(VALU_DEP_1)
	v_cndmask_b32_e64 v6, 0, v6, s0
	s_cselect_b32 s0, -1, 0
	s_cmp_ge_f32 s6, 0xc1a00000
	v_cndmask_b32_e64 v8, 0x7f800000, v6, s0
	s_cselect_b32 s0, -1, 0
	v_mov_b32_e32 v6, s13
	s_add_co_i32 s1, s1, -1
	s_add_co_i32 s4, s4, -16
	v_cndmask_b32_e64 v8, 0, v8, s0
	s_cmp_le_i32 s1, s7
	s_mov_b32 s0, s5
	s_wait_loadcnt 0x0
	s_delay_alu instid0(VALU_DEP_1) | instskip(NEXT) | instid1(VALU_DEP_1)
	v_pk_mul_f32 v[6:7], v[6:7], v[8:9] op_sel_hi:[1,0]
	v_pk_fma_f32 v[2:3], v[2:3], v[10:11], v[6:7] op_sel_hi:[1,0,1]
	s_cbranch_scc0 .LBB7_3
	s_branch .LBB7_5
.LBB7_4:
	s_wait_kmcnt 0x0
	v_mov_b32_e32 v2, s15
.LBB7_5:
	v_lshl_add_u64 v[0:1], v[4:5], 2, s[8:9]
	s_wait_loadcnt 0x0
	s_delay_alu instid0(VALU_DEP_2) | instskip(NEXT) | instid1(VALU_DEP_1)
	v_div_scale_f32 v4, null, v2, v2, v3
	v_rcp_f32_e32 v5, v4
	v_nop
	s_delay_alu instid0(TRANS32_DEP_1) | instskip(NEXT) | instid1(VALU_DEP_1)
	v_fma_f32 v6, -v4, v5, 1.0
	v_fmac_f32_e32 v5, v6, v5
	v_div_scale_f32 v6, vcc_lo, v3, v2, v3
	s_delay_alu instid0(VALU_DEP_1) | instskip(NEXT) | instid1(VALU_DEP_1)
	v_mul_f32_e32 v7, v6, v5
	v_fma_f32 v8, -v4, v7, v6
	s_delay_alu instid0(VALU_DEP_1) | instskip(NEXT) | instid1(VALU_DEP_1)
	v_fmac_f32_e32 v7, v8, v5
	v_fma_f32 v4, -v4, v7, v6
	s_delay_alu instid0(VALU_DEP_1) | instskip(NEXT) | instid1(VALU_DEP_1)
	v_div_fmas_f32 v4, v4, v5, v7
	v_div_fixup_f32 v2, v4, v2, v3
	global_store_b32 v[0:1], v2, off
.LBB7_6:
	s_endpgm
	.section	.rodata,"a",@progbits
	.p2align	6, 0x0
	.amdhsa_kernel _ZL33flash_attn_stream_k_fixup_uniformILi512ELi1ELi16EEvPfPK15HIP_vector_typeIfLj2EEiiiiiiS1_IjLj3EES5_S5_
		.amdhsa_group_segment_fixed_size 0
		.amdhsa_private_segment_fixed_size 0
		.amdhsa_kernarg_size 76
		.amdhsa_user_sgpr_count 2
		.amdhsa_user_sgpr_dispatch_ptr 0
		.amdhsa_user_sgpr_queue_ptr 0
		.amdhsa_user_sgpr_kernarg_segment_ptr 1
		.amdhsa_user_sgpr_dispatch_id 0
		.amdhsa_user_sgpr_kernarg_preload_length 0
		.amdhsa_user_sgpr_kernarg_preload_offset 0
		.amdhsa_user_sgpr_private_segment_size 0
		.amdhsa_wavefront_size32 1
		.amdhsa_uses_dynamic_stack 0
		.amdhsa_enable_private_segment 0
		.amdhsa_system_sgpr_workgroup_id_x 1
		.amdhsa_system_sgpr_workgroup_id_y 1
		.amdhsa_system_sgpr_workgroup_id_z 1
		.amdhsa_system_sgpr_workgroup_info 0
		.amdhsa_system_vgpr_workitem_id 0
		.amdhsa_next_free_vgpr 12
		.amdhsa_next_free_sgpr 21
		.amdhsa_named_barrier_count 0
		.amdhsa_reserve_vcc 1
		.amdhsa_float_round_mode_32 0
		.amdhsa_float_round_mode_16_64 0
		.amdhsa_float_denorm_mode_32 3
		.amdhsa_float_denorm_mode_16_64 3
		.amdhsa_fp16_overflow 0
		.amdhsa_memory_ordered 1
		.amdhsa_forward_progress 1
		.amdhsa_inst_pref_size 9
		.amdhsa_round_robin_scheduling 0
		.amdhsa_exception_fp_ieee_invalid_op 0
		.amdhsa_exception_fp_denorm_src 0
		.amdhsa_exception_fp_ieee_div_zero 0
		.amdhsa_exception_fp_ieee_overflow 0
		.amdhsa_exception_fp_ieee_underflow 0
		.amdhsa_exception_fp_ieee_inexact 0
		.amdhsa_exception_int_div_zero 0
	.end_amdhsa_kernel
	.section	.text._ZL33flash_attn_stream_k_fixup_uniformILi512ELi1ELi16EEvPfPK15HIP_vector_typeIfLj2EEiiiiiiS1_IjLj3EES5_S5_,"axG",@progbits,_ZL33flash_attn_stream_k_fixup_uniformILi512ELi1ELi16EEvPfPK15HIP_vector_typeIfLj2EEiiiiiiS1_IjLj3EES5_S5_,comdat
.Lfunc_end7:
	.size	_ZL33flash_attn_stream_k_fixup_uniformILi512ELi1ELi16EEvPfPK15HIP_vector_typeIfLj2EEiiiiiiS1_IjLj3EES5_S5_, .Lfunc_end7-_ZL33flash_attn_stream_k_fixup_uniformILi512ELi1ELi16EEvPfPK15HIP_vector_typeIfLj2EEiiiiiiS1_IjLj3EES5_S5_
                                        ; -- End function
	.set _ZL33flash_attn_stream_k_fixup_uniformILi512ELi1ELi16EEvPfPK15HIP_vector_typeIfLj2EEiiiiiiS1_IjLj3EES5_S5_.num_vgpr, 12
	.set _ZL33flash_attn_stream_k_fixup_uniformILi512ELi1ELi16EEvPfPK15HIP_vector_typeIfLj2EEiiiiiiS1_IjLj3EES5_S5_.num_agpr, 0
	.set _ZL33flash_attn_stream_k_fixup_uniformILi512ELi1ELi16EEvPfPK15HIP_vector_typeIfLj2EEiiiiiiS1_IjLj3EES5_S5_.numbered_sgpr, 21
	.set _ZL33flash_attn_stream_k_fixup_uniformILi512ELi1ELi16EEvPfPK15HIP_vector_typeIfLj2EEiiiiiiS1_IjLj3EES5_S5_.num_named_barrier, 0
	.set _ZL33flash_attn_stream_k_fixup_uniformILi512ELi1ELi16EEvPfPK15HIP_vector_typeIfLj2EEiiiiiiS1_IjLj3EES5_S5_.private_seg_size, 0
	.set _ZL33flash_attn_stream_k_fixup_uniformILi512ELi1ELi16EEvPfPK15HIP_vector_typeIfLj2EEiiiiiiS1_IjLj3EES5_S5_.uses_vcc, 1
	.set _ZL33flash_attn_stream_k_fixup_uniformILi512ELi1ELi16EEvPfPK15HIP_vector_typeIfLj2EEiiiiiiS1_IjLj3EES5_S5_.uses_flat_scratch, 0
	.set _ZL33flash_attn_stream_k_fixup_uniformILi512ELi1ELi16EEvPfPK15HIP_vector_typeIfLj2EEiiiiiiS1_IjLj3EES5_S5_.has_dyn_sized_stack, 0
	.set _ZL33flash_attn_stream_k_fixup_uniformILi512ELi1ELi16EEvPfPK15HIP_vector_typeIfLj2EEiiiiiiS1_IjLj3EES5_S5_.has_recursion, 0
	.set _ZL33flash_attn_stream_k_fixup_uniformILi512ELi1ELi16EEvPfPK15HIP_vector_typeIfLj2EEiiiiiiS1_IjLj3EES5_S5_.has_indirect_call, 0
	.section	.AMDGPU.csdata,"",@progbits
; Kernel info:
; codeLenInByte = 1072
; TotalNumSgprs: 23
; NumVgprs: 12
; ScratchSize: 0
; MemoryBound: 0
; FloatMode: 240
; IeeeMode: 1
; LDSByteSize: 0 bytes/workgroup (compile time only)
; SGPRBlocks: 0
; VGPRBlocks: 0
; NumSGPRsForWavesPerEU: 23
; NumVGPRsForWavesPerEU: 12
; NamedBarCnt: 0
; Occupancy: 16
; WaveLimiterHint : 0
; COMPUTE_PGM_RSRC2:SCRATCH_EN: 0
; COMPUTE_PGM_RSRC2:USER_SGPR: 2
; COMPUTE_PGM_RSRC2:TRAP_HANDLER: 0
; COMPUTE_PGM_RSRC2:TGID_X_EN: 1
; COMPUTE_PGM_RSRC2:TGID_Y_EN: 1
; COMPUTE_PGM_RSRC2:TGID_Z_EN: 1
; COMPUTE_PGM_RSRC2:TIDIG_COMP_CNT: 0
	.section	.text._ZL33flash_attn_stream_k_fixup_generalILi512ELi1ELi16EEvPfPK15HIP_vector_typeIfLj2EEiiiiS1_IjLj3EES5_S5_S5_,"axG",@progbits,_ZL33flash_attn_stream_k_fixup_generalILi512ELi1ELi16EEvPfPK15HIP_vector_typeIfLj2EEiiiiS1_IjLj3EES5_S5_S5_,comdat
	.globl	_ZL33flash_attn_stream_k_fixup_generalILi512ELi1ELi16EEvPfPK15HIP_vector_typeIfLj2EEiiiiS1_IjLj3EES5_S5_S5_ ; -- Begin function _ZL33flash_attn_stream_k_fixup_generalILi512ELi1ELi16EEvPfPK15HIP_vector_typeIfLj2EEiiiiS1_IjLj3EES5_S5_S5_
	.p2align	8
	.type	_ZL33flash_attn_stream_k_fixup_generalILi512ELi1ELi16EEvPfPK15HIP_vector_typeIfLj2EEiiiiS1_IjLj3EES5_S5_S5_,@function
_ZL33flash_attn_stream_k_fixup_generalILi512ELi1ELi16EEvPfPK15HIP_vector_typeIfLj2EEiiiiS1_IjLj3EES5_S5_S5_: ; @_ZL33flash_attn_stream_k_fixup_generalILi512ELi1ELi16EEvPfPK15HIP_vector_typeIfLj2EEiiiiS1_IjLj3EES5_S5_S5_
; %bb.0:
	s_clause 0x1
	s_load_b128 s[4:7], s[0:1], 0x10
	s_load_b32 s16, s[0:1], 0x50
	s_bfe_u32 s2, ttmp6, 0x4000c
	s_and_b32 s3, ttmp6, 15
	s_add_co_i32 s2, s2, 1
	s_getreg_b32 s15, hwreg(HW_REG_IB_STS2, 6, 4)
	s_mul_i32 s2, ttmp9, s2
	s_mov_b32 s17, 0
	s_add_co_i32 s3, s3, s2
	s_cmp_eq_u32 s15, 0
	s_cselect_b32 s2, ttmp9, s3
	s_delay_alu instid0(SALU_CYCLE_1) | instskip(SKIP_3) | instid1(SALU_CYCLE_1)
	s_ashr_i32 s3, s2, 31
	s_wait_kmcnt 0x0
	s_ashr_i32 s19, s7, 31
	s_mov_b32 s18, s7
	s_mul_u64 s[8:9], s[18:19], s[2:3]
	s_delay_alu instid0(SALU_CYCLE_1) | instskip(NEXT) | instid1(SALU_CYCLE_1)
	s_and_b64 s[10:11], s[8:9], 0xffffffff00000000
	s_cmp_lg_u64 s[10:11], 0
	s_cbranch_scc0 .LBB8_21
; %bb.1:
	s_add_nc_u64 s[10:11], s[16:17], 0
	s_mov_b32 s23, s17
	s_xor_b64 s[10:11], s[10:11], 0
	s_mov_b32 s27, s17
	s_cvt_f32_u32 s3, s10
	s_cvt_f32_u32 s7, s11
	s_sub_nc_u64 s[20:21], 0, s[10:11]
	s_delay_alu instid0(SALU_CYCLE_2) | instskip(NEXT) | instid1(SALU_CYCLE_3)
	s_fmamk_f32 s3, s7, 0x4f800000, s3
	v_s_rcp_f32 s3, s3
	s_delay_alu instid0(TRANS32_DEP_1) | instskip(NEXT) | instid1(SALU_CYCLE_3)
	s_mul_f32 s3, s3, 0x5f7ffffc
	s_mul_f32 s7, s3, 0x2f800000
	s_delay_alu instid0(SALU_CYCLE_3) | instskip(NEXT) | instid1(SALU_CYCLE_3)
	s_trunc_f32 s7, s7
	s_fmamk_f32 s3, s7, 0xcf800000, s3
	s_cvt_u32_f32 s13, s7
	s_delay_alu instid0(SALU_CYCLE_2) | instskip(NEXT) | instid1(SALU_CYCLE_3)
	s_cvt_u32_f32 s12, s3
	s_mul_u64 s[24:25], s[20:21], s[12:13]
	s_delay_alu instid0(SALU_CYCLE_1)
	s_mul_hi_u32 s29, s12, s25
	s_mul_i32 s28, s12, s25
	s_mul_hi_u32 s22, s12, s24
	s_mul_i32 s7, s13, s24
	s_add_nc_u64 s[22:23], s[22:23], s[28:29]
	s_mul_hi_u32 s3, s13, s24
	s_mul_hi_u32 s14, s13, s25
	s_add_co_u32 s7, s22, s7
	s_add_co_ci_u32 s26, s23, s3
	s_mul_i32 s24, s13, s25
	s_add_co_ci_u32 s25, s14, 0
	s_delay_alu instid0(SALU_CYCLE_1) | instskip(SKIP_3) | instid1(SALU_CYCLE_1)
	s_add_nc_u64 s[22:23], s[26:27], s[24:25]
	s_mov_b32 s25, s17
	s_add_co_u32 s12, s12, s22
	s_cselect_b32 s3, -1, 0
	s_cmp_lg_u32 s3, 0
	s_add_co_ci_u32 s13, s13, s23
	s_mov_b32 s23, s17
	s_mul_u64 s[20:21], s[20:21], s[12:13]
	s_delay_alu instid0(SALU_CYCLE_1)
	s_mul_hi_u32 s27, s12, s21
	s_mul_i32 s26, s12, s21
	s_mul_hi_u32 s22, s12, s20
	s_mul_i32 s7, s13, s20
	s_add_nc_u64 s[22:23], s[22:23], s[26:27]
	s_mul_hi_u32 s3, s13, s20
	s_mul_hi_u32 s14, s13, s21
	s_add_co_u32 s7, s22, s7
	s_add_co_ci_u32 s24, s23, s3
	s_mul_i32 s20, s13, s21
	s_add_co_ci_u32 s21, s14, 0
	s_mov_b32 s23, s17
	s_add_nc_u64 s[20:21], s[24:25], s[20:21]
	s_delay_alu instid0(SALU_CYCLE_1) | instskip(SKIP_1) | instid1(SALU_CYCLE_1)
	s_add_co_u32 s3, s12, s20
	s_cselect_b32 s7, -1, 0
	s_cmp_lg_u32 s7, 0
	s_add_co_ci_u32 s7, s13, s21
	s_ashr_i32 s12, s9, 31
	s_delay_alu instid0(SALU_CYCLE_1) | instskip(NEXT) | instid1(SALU_CYCLE_1)
	s_mov_b32 s13, s12
	s_add_nc_u64 s[20:21], s[8:9], s[12:13]
	s_delay_alu instid0(SALU_CYCLE_1) | instskip(NEXT) | instid1(SALU_CYCLE_1)
	s_xor_b64 s[20:21], s[20:21], s[12:13]
	s_mul_hi_u32 s27, s20, s7
	s_mul_i32 s26, s20, s7
	s_mul_hi_u32 s22, s20, s3
	s_mul_hi_u32 s14, s21, s3
	s_mul_i32 s3, s21, s3
	s_add_nc_u64 s[22:23], s[22:23], s[26:27]
	s_mul_hi_u32 s9, s21, s7
	s_add_co_u32 s3, s22, s3
	s_add_co_ci_u32 s24, s23, s14
	s_mul_i32 s26, s21, s7
	s_add_co_ci_u32 s27, s9, 0
	s_delay_alu instid0(SALU_CYCLE_1) | instskip(NEXT) | instid1(SALU_CYCLE_1)
	s_add_nc_u64 s[22:23], s[24:25], s[26:27]
	s_and_b64 s[24:25], s[22:23], 0xffffffff00000000
	s_delay_alu instid0(SALU_CYCLE_1) | instskip(NEXT) | instid1(SALU_CYCLE_1)
	s_or_b32 s24, s24, s22
	s_mul_u64 s[22:23], s[10:11], s[24:25]
	s_add_nc_u64 s[26:27], s[24:25], 1
	s_sub_co_u32 s3, s20, s22
	s_cselect_b32 s7, -1, 0
	s_sub_co_i32 s9, s21, s23
	s_cmp_lg_u32 s7, 0
	s_add_nc_u64 s[28:29], s[24:25], 2
	s_sub_co_ci_u32 s9, s9, s11
	s_sub_co_u32 s14, s3, s10
	s_cselect_b32 s20, -1, 0
	s_delay_alu instid0(SALU_CYCLE_1) | instskip(SKIP_1) | instid1(SALU_CYCLE_1)
	s_cmp_lg_u32 s20, 0
	s_sub_co_ci_u32 s9, s9, 0
	s_cmp_ge_u32 s9, s11
	s_cselect_b32 s20, -1, 0
	s_cmp_ge_u32 s14, s10
	s_cselect_b32 s14, -1, 0
	s_cmp_eq_u32 s9, s11
	s_cselect_b32 s9, s14, s20
	s_delay_alu instid0(SALU_CYCLE_1) | instskip(SKIP_4) | instid1(SALU_CYCLE_1)
	s_cmp_lg_u32 s9, 0
	s_cselect_b32 s9, s28, s26
	s_cselect_b32 s14, s29, s27
	s_cmp_lg_u32 s7, 0
	s_sub_co_ci_u32 s7, s21, s23
	s_cmp_ge_u32 s7, s11
	s_cselect_b32 s20, -1, 0
	s_cmp_ge_u32 s3, s10
	s_cselect_b32 s3, -1, 0
	s_cmp_eq_u32 s7, s11
	s_cselect_b32 s3, s3, s20
	s_delay_alu instid0(SALU_CYCLE_1) | instskip(SKIP_4) | instid1(SALU_CYCLE_1)
	s_cmp_lg_u32 s3, 0
	s_mov_b32 s3, s17
	s_cselect_b32 s11, s14, s25
	s_cselect_b32 s10, s9, s24
	s_xor_b64 s[12:13], s[12:13], 0
	s_xor_b64 s[10:11], s[10:11], s[12:13]
	s_delay_alu instid0(SALU_CYCLE_1)
	s_sub_nc_u64 s[20:21], s[10:11], s[12:13]
	s_and_not1_b32 vcc_lo, exec_lo, s3
	s_cbranch_vccnz .LBB8_3
.LBB8_2:
	v_cvt_f32_u32_e32 v1, s16
	s_sub_co_i32 s7, 0, s16
	s_mov_b32 s21, 0
	s_delay_alu instid0(VALU_DEP_1) | instskip(SKIP_1) | instid1(TRANS32_DEP_1)
	v_rcp_iflag_f32_e32 v1, v1
	v_nop
	v_mul_f32_e32 v1, 0x4f7ffffe, v1
	s_delay_alu instid0(VALU_DEP_1) | instskip(NEXT) | instid1(VALU_DEP_1)
	v_cvt_u32_f32_e32 v1, v1
	v_readfirstlane_b32 s3, v1
	s_mul_i32 s7, s7, s3
	s_delay_alu instid0(SALU_CYCLE_1) | instskip(NEXT) | instid1(SALU_CYCLE_1)
	s_mul_hi_u32 s7, s3, s7
	s_add_co_i32 s3, s3, s7
	s_delay_alu instid0(SALU_CYCLE_1) | instskip(NEXT) | instid1(SALU_CYCLE_1)
	s_mul_hi_u32 s3, s8, s3
	s_mul_i32 s7, s3, s16
	s_delay_alu instid0(SALU_CYCLE_1)
	s_sub_co_i32 s7, s8, s7
	s_add_co_i32 s8, s3, 1
	s_sub_co_i32 s9, s7, s16
	s_cmp_ge_u32 s7, s16
	s_cselect_b32 s3, s8, s3
	s_cselect_b32 s7, s9, s7
	s_add_co_i32 s8, s3, 1
	s_cmp_ge_u32 s7, s16
	s_cselect_b32 s20, s8, s3
.LBB8_3:
	s_add_co_i32 s8, s2, 1
	s_delay_alu instid0(SALU_CYCLE_1) | instskip(NEXT) | instid1(SALU_CYCLE_1)
	s_ashr_i32 s9, s8, 31
	s_mul_u64 s[8:9], s[18:19], s[8:9]
	s_delay_alu instid0(SALU_CYCLE_1) | instskip(NEXT) | instid1(SALU_CYCLE_1)
	s_and_b64 s[10:11], s[8:9], 0xffffffff00000000
	s_cmp_lg_u64 s[10:11], 0
	s_cbranch_scc0 .LBB8_22
; %bb.4:
	s_add_nc_u64 s[10:11], s[16:17], 0
	s_delay_alu instid0(SALU_CYCLE_1) | instskip(SKIP_4) | instid1(SALU_CYCLE_2)
	s_xor_b64 s[12:13], s[10:11], 0
	s_mov_b32 s11, 0
	s_cvt_f32_u32 s3, s12
	s_cvt_f32_u32 s7, s13
	s_sub_nc_u64 s[24:25], 0, s[12:13]
	s_fmamk_f32 s3, s7, 0x4f800000, s3
	s_delay_alu instid0(SALU_CYCLE_3) | instskip(NEXT) | instid1(TRANS32_DEP_1)
	v_s_rcp_f32 s3, s3
	s_mul_f32 s3, s3, 0x5f7ffffc
	s_delay_alu instid0(SALU_CYCLE_3) | instskip(NEXT) | instid1(SALU_CYCLE_3)
	s_mul_f32 s7, s3, 0x2f800000
	s_trunc_f32 s7, s7
	s_delay_alu instid0(SALU_CYCLE_3) | instskip(SKIP_1) | instid1(SALU_CYCLE_2)
	s_fmamk_f32 s3, s7, 0xcf800000, s3
	s_cvt_u32_f32 s23, s7
	s_cvt_u32_f32 s22, s3
	s_delay_alu instid0(SALU_CYCLE_3) | instskip(NEXT) | instid1(SALU_CYCLE_1)
	s_mul_u64 s[26:27], s[24:25], s[22:23]
	s_mul_hi_u32 s29, s22, s27
	s_mul_i32 s28, s22, s27
	s_mul_hi_u32 s10, s22, s26
	s_mul_i32 s7, s23, s26
	s_add_nc_u64 s[28:29], s[10:11], s[28:29]
	s_mul_hi_u32 s3, s23, s26
	s_mul_hi_u32 s14, s23, s27
	s_add_co_u32 s7, s28, s7
	s_add_co_ci_u32 s10, s29, s3
	s_mul_i32 s26, s23, s27
	s_add_co_ci_u32 s27, s14, 0
	s_delay_alu instid0(SALU_CYCLE_1) | instskip(NEXT) | instid1(SALU_CYCLE_1)
	s_add_nc_u64 s[26:27], s[10:11], s[26:27]
	s_add_co_u32 s22, s22, s26
	s_cselect_b32 s3, -1, 0
	s_delay_alu instid0(SALU_CYCLE_1) | instskip(SKIP_1) | instid1(SALU_CYCLE_1)
	s_cmp_lg_u32 s3, 0
	s_add_co_ci_u32 s23, s23, s27
	s_mul_u64 s[24:25], s[24:25], s[22:23]
	s_delay_alu instid0(SALU_CYCLE_1)
	s_mul_hi_u32 s27, s22, s25
	s_mul_i32 s26, s22, s25
	s_mul_hi_u32 s10, s22, s24
	s_mul_i32 s7, s23, s24
	s_add_nc_u64 s[26:27], s[10:11], s[26:27]
	s_mul_hi_u32 s3, s23, s24
	s_mul_hi_u32 s14, s23, s25
	s_add_co_u32 s7, s26, s7
	s_add_co_ci_u32 s10, s27, s3
	s_mul_i32 s24, s23, s25
	s_add_co_ci_u32 s25, s14, 0
	s_delay_alu instid0(SALU_CYCLE_1) | instskip(NEXT) | instid1(SALU_CYCLE_1)
	s_add_nc_u64 s[24:25], s[10:11], s[24:25]
	s_add_co_u32 s3, s22, s24
	s_cselect_b32 s7, -1, 0
	s_delay_alu instid0(SALU_CYCLE_1) | instskip(SKIP_2) | instid1(SALU_CYCLE_1)
	s_cmp_lg_u32 s7, 0
	s_add_co_ci_u32 s7, s23, s25
	s_ashr_i32 s22, s9, 31
	s_mov_b32 s23, s22
	s_delay_alu instid0(SALU_CYCLE_1) | instskip(NEXT) | instid1(SALU_CYCLE_1)
	s_add_nc_u64 s[24:25], s[8:9], s[22:23]
	s_xor_b64 s[24:25], s[24:25], s[22:23]
	s_delay_alu instid0(SALU_CYCLE_1)
	s_mul_hi_u32 s27, s24, s7
	s_mul_i32 s26, s24, s7
	s_mul_hi_u32 s10, s24, s3
	s_mul_hi_u32 s14, s25, s3
	s_mul_i32 s3, s25, s3
	s_add_nc_u64 s[26:27], s[10:11], s[26:27]
	s_mul_hi_u32 s9, s25, s7
	s_add_co_u32 s3, s26, s3
	s_add_co_ci_u32 s10, s27, s14
	s_mul_i32 s28, s25, s7
	s_add_co_ci_u32 s29, s9, 0
	s_delay_alu instid0(SALU_CYCLE_1) | instskip(NEXT) | instid1(SALU_CYCLE_1)
	s_add_nc_u64 s[26:27], s[10:11], s[28:29]
	s_and_b64 s[28:29], s[26:27], 0xffffffff00000000
	s_delay_alu instid0(SALU_CYCLE_1) | instskip(NEXT) | instid1(SALU_CYCLE_1)
	s_or_b32 s28, s28, s26
	s_mul_u64 s[26:27], s[12:13], s[28:29]
	s_add_nc_u64 s[30:31], s[28:29], 1
	s_sub_co_u32 s3, s24, s26
	s_cselect_b32 s7, -1, 0
	s_sub_co_i32 s9, s25, s27
	s_cmp_lg_u32 s7, 0
	s_add_nc_u64 s[34:35], s[28:29], 2
	s_sub_co_ci_u32 s9, s9, s13
	s_sub_co_u32 s10, s3, s12
	s_cselect_b32 s14, -1, 0
	s_delay_alu instid0(SALU_CYCLE_1) | instskip(SKIP_1) | instid1(SALU_CYCLE_1)
	s_cmp_lg_u32 s14, 0
	s_sub_co_ci_u32 s9, s9, 0
	s_cmp_ge_u32 s9, s13
	s_cselect_b32 s14, -1, 0
	s_cmp_ge_u32 s10, s12
	s_cselect_b32 s10, -1, 0
	s_cmp_eq_u32 s9, s13
	s_cselect_b32 s9, s10, s14
	s_delay_alu instid0(SALU_CYCLE_1) | instskip(SKIP_4) | instid1(SALU_CYCLE_1)
	s_cmp_lg_u32 s9, 0
	s_cselect_b32 s9, s34, s30
	s_cselect_b32 s10, s35, s31
	s_cmp_lg_u32 s7, 0
	s_sub_co_ci_u32 s7, s25, s27
	s_cmp_ge_u32 s7, s13
	s_cselect_b32 s14, -1, 0
	s_cmp_ge_u32 s3, s12
	s_cselect_b32 s3, -1, 0
	s_cmp_eq_u32 s7, s13
	s_cselect_b32 s3, s3, s14
	s_delay_alu instid0(SALU_CYCLE_1) | instskip(SKIP_3) | instid1(SALU_CYCLE_1)
	s_cmp_lg_u32 s3, 0
	s_cselect_b32 s13, s10, s29
	s_cselect_b32 s12, s9, s28
	s_xor_b64 s[22:23], s[22:23], 0
	s_xor_b64 s[12:13], s[12:13], s[22:23]
	s_delay_alu instid0(SALU_CYCLE_1)
	s_sub_nc_u64 s[24:25], s[12:13], s[22:23]
	s_load_b96 s[12:14], s[0:1], 0x44
	s_cbranch_execnz .LBB8_6
.LBB8_5:
	v_cvt_f32_u32_e32 v1, s16
	s_sub_co_i32 s7, 0, s16
	s_delay_alu instid0(VALU_DEP_1) | instskip(SKIP_1) | instid1(TRANS32_DEP_1)
	v_rcp_iflag_f32_e32 v1, v1
	v_nop
	v_mul_f32_e32 v1, 0x4f7ffffe, v1
	s_delay_alu instid0(VALU_DEP_1) | instskip(NEXT) | instid1(VALU_DEP_1)
	v_cvt_u32_f32_e32 v1, v1
	v_readfirstlane_b32 s3, v1
	s_mul_i32 s7, s7, s3
	s_delay_alu instid0(SALU_CYCLE_1) | instskip(NEXT) | instid1(SALU_CYCLE_1)
	s_mul_hi_u32 s7, s3, s7
	s_add_co_i32 s3, s3, s7
	s_delay_alu instid0(SALU_CYCLE_1) | instskip(NEXT) | instid1(SALU_CYCLE_1)
	s_mul_hi_u32 s3, s8, s3
	s_mul_i32 s7, s3, s16
	s_delay_alu instid0(SALU_CYCLE_1)
	s_sub_co_i32 s7, s8, s7
	s_add_co_i32 s8, s3, 1
	s_sub_co_i32 s9, s7, s16
	s_cmp_ge_u32 s7, s16
	s_cselect_b32 s3, s8, s3
	s_cselect_b32 s7, s9, s7
	s_add_co_i32 s8, s3, 1
	s_cmp_ge_u32 s7, s16
	s_cselect_b32 s24, s8, s3
.LBB8_6:
	s_delay_alu instid0(SALU_CYCLE_1)
	s_cmp_eq_u32 s20, s24
	s_mov_b64 s[8:9], 0xffffffff
	s_cselect_b32 s3, -1, 0
	s_and_b64 s[8:9], s[20:21], s[8:9]
	s_mov_b32 s23, 0
	s_wait_kmcnt 0x0
	s_mov_b32 s22, s12
	s_mov_b32 s25, s23
	s_mul_u64 s[10:11], s[8:9], s[22:23]
	s_delay_alu instid0(SALU_CYCLE_1) | instskip(SKIP_2) | instid1(SALU_CYCLE_1)
	s_add_co_i32 s7, s11, s20
	s_mul_u64 s[10:11], s[24:25], s[22:23]
	s_lshr_b32 s12, s7, s13
	s_mul_i32 s7, s12, s14
	s_delay_alu instid0(SALU_CYCLE_1) | instskip(SKIP_2) | instid1(SALU_CYCLE_1)
	s_cmp_eq_u32 s7, s20
	s_cselect_b32 s7, -1, 0
	s_add_co_i32 s10, s11, s24
	s_lshr_b32 s10, s10, s13
	s_delay_alu instid0(SALU_CYCLE_1)
	s_cmp_eq_u32 s12, s10
	s_mul_i32 s10, s10, s14
	s_cselect_b32 s11, -1, 0
	s_cmp_lg_u32 s10, s24
	s_cselect_b32 s10, -1, 0
	s_or_b32 s3, s3, s7
	s_and_b32 s10, s11, s10
	s_delay_alu instid0(SALU_CYCLE_1) | instskip(NEXT) | instid1(SALU_CYCLE_1)
	s_or_b32 s3, s3, s10
	s_and_b32 vcc_lo, exec_lo, s3
	s_cbranch_vccnz .LBB8_24
; %bb.7:
	s_load_b256 s[24:31], s[0:1], 0x20
	s_bfe_u32 s7, ttmp6, 0x40014
	s_bfe_u32 s33, ttmp6, 0x40010
	s_lshr_b32 s3, ttmp7, 16
	s_add_co_i32 s7, s7, 1
	s_and_b32 s21, ttmp7, 0xffff
	s_add_co_i32 s33, s33, 1
	s_bfe_u32 s10, ttmp6, 0x40008
	s_mul_i32 s7, s3, s7
	s_bfe_u32 s34, ttmp6, 0x40004
	s_mul_i32 s33, s21, s33
	s_mov_b32 s11, s23
	s_add_co_i32 s7, s10, s7
	s_add_co_i32 s34, s34, s33
	s_cmp_eq_u32 s15, 0
	s_cselect_b32 s15, s21, s34
	s_cselect_b32 s21, s3, s7
	s_wait_kmcnt 0x0
	s_mov_b32 s10, s24
	s_delay_alu instid0(SALU_CYCLE_1) | instskip(SKIP_2) | instid1(SALU_CYCLE_1)
	s_mul_u64 s[8:9], s[8:9], s[10:11]
	s_load_b32 s8, s[0:1], 0x40
	s_add_co_i32 s3, s9, s20
	s_lshr_b32 s3, s3, s25
	s_delay_alu instid0(SALU_CYCLE_1) | instskip(NEXT) | instid1(SALU_CYCLE_1)
	s_mul_i32 s7, s3, s26
	s_sub_co_i32 s9, s20, s7
	s_delay_alu instid0(SALU_CYCLE_1) | instskip(NEXT) | instid1(SALU_CYCLE_1)
	s_mul_hi_u32 s7, s9, s27
	s_add_co_i32 s7, s9, s7
	s_delay_alu instid0(SALU_CYCLE_1) | instskip(NEXT) | instid1(SALU_CYCLE_1)
	s_lshr_b32 s7, s7, s28
	s_mul_i32 s10, s7, s29
	s_delay_alu instid0(SALU_CYCLE_1) | instskip(NEXT) | instid1(SALU_CYCLE_1)
	s_sub_co_i32 s10, s9, s10
	s_mul_hi_u32 s9, s10, s30
	s_delay_alu instid0(SALU_CYCLE_1) | instskip(NEXT) | instid1(SALU_CYCLE_1)
	s_add_co_i32 s9, s10, s9
	s_lshr_b32 s25, s9, s31
	s_mov_b32 s9, s23
	s_wait_kmcnt 0x0
	s_mul_i32 s8, s25, s8
	s_lshl_b32 s25, s25, 4
	s_sub_co_i32 s8, s10, s8
	s_delay_alu instid0(SALU_CYCLE_1) | instskip(NEXT) | instid1(SALU_CYCLE_1)
	s_mul_u64 s[10:11], s[8:9], s[22:23]
	s_add_co_i32 s8, s8, s11
	s_delay_alu instid0(SALU_CYCLE_1) | instskip(NEXT) | instid1(SALU_CYCLE_1)
	s_lshr_b32 s24, s8, s13
	s_add_co_i32 s24, s24, s15
	s_delay_alu instid0(SALU_CYCLE_1) | instskip(SKIP_2) | instid1(SALU_CYCLE_1)
	s_cmp_lt_i32 s24, s4
	s_cselect_b32 s8, -1, 0
	s_add_co_i32 s25, s25, s21
	s_cmp_lt_i32 s25, s6
	s_cselect_b32 s9, -1, 0
	s_delay_alu instid0(SALU_CYCLE_1) | instskip(NEXT) | instid1(SALU_CYCLE_1)
	s_and_b32 s8, s8, s9
	s_and_not1_b32 vcc_lo, exec_lo, s8
	s_cbranch_vccnz .LBB8_24
; %bb.8:
	s_load_b128 s[8:11], s[0:1], 0x0
	s_mul_i32 s3, s3, s4
	s_mul_i32 s7, s7, s6
	s_wait_xcnt 0x0
	s_add_co_i32 s0, s24, s3
	s_add_co_i32 s1, s25, s7
	s_mul_i32 s0, s0, s5
	s_add_co_i32 s3, s15, s2
	s_add_co_i32 s1, s1, s0
	v_cvt_f32_u32_e32 v4, s16
	v_lshl_or_b32 v2, s1, 9, v0
	s_add_nc_u64 s[0:1], s[16:17], 0
	s_lshl_b32 s24, s16, 6
	s_xor_b64 s[6:7], s[0:1], 0
	s_lshl_b32 s0, s3, 4
	s_cvt_f32_u32 s3, s6
	s_cvt_f32_u32 s4, s7
	s_add_co_i32 s0, s0, s21
	v_rcp_iflag_f32_e32 v4, v4
	s_ashr_i32 s1, s0, 31
	s_fmamk_f32 s3, s4, 0x4f800000, s3
	s_wait_kmcnt 0x0
	global_load_b32 v1, v2, s[8:9] scale_offset
	s_lshl_b64 s[0:1], s[0:1], 3
	s_mov_b32 s25, 0
	v_s_rcp_f32 s3, s3
	s_add_nc_u64 s[0:1], s[10:11], s[0:1]
	v_dual_mul_f32 v4, 0x4f7ffffe, v4 :: v_dual_ashrrev_i32 v3, 31, v2
	s_load_b64 s[28:29], s[0:1], 0x0
	s_wait_xcnt 0x0
	s_lshl_b64 s[0:1], s[24:25], 2
	v_lshl_or_b32 v6, s21, 9, v0
	s_add_nc_u64 s[26:27], s[10:11], s[0:1]
	s_mul_f32 s3, s3, 0x5f7ffffc
	v_lshl_add_u64 v[2:3], v[2:3], 2, s[8:9]
	v_cvt_u32_f32_e32 v7, v4
	s_mov_b64 s[8:9], 0xffffffff
	s_mul_f32 s4, s3, 0x2f800000
	s_add_co_i32 s36, s2, -1
	s_sub_nc_u64 s[34:35], 0, s[6:7]
	s_delay_alu instid0(SALU_CYCLE_1) | instskip(NEXT) | instid1(SALU_CYCLE_3)
	s_trunc_f32 s4, s4
	s_fmamk_f32 s0, s4, 0xcf800000, s3
	s_cvt_u32_f32 s31, s4
	s_wait_kmcnt 0x0
	v_mov_b32_e32 v0, s29
	s_cvt_u32_f32 s30, s0
.LBB8_9:                                ; =>This Inner Loop Header: Depth=1
	s_ashr_i32 s37, s36, 31
                                        ; implicit-def: $sgpr40_sgpr41
	s_delay_alu instid0(SALU_CYCLE_1) | instskip(NEXT) | instid1(SALU_CYCLE_1)
	s_mul_u64 s[0:1], s[36:37], s[18:19]
	s_and_b64 s[2:3], s[0:1], 0xffffffff00000000
	s_delay_alu instid0(SALU_CYCLE_1)
	s_cmp_lg_u64 s[2:3], 0
	s_mov_b32 s2, -1
	s_cbranch_scc0 .LBB8_11
; %bb.10:                               ;   in Loop: Header=BB8_9 Depth=1
	s_mul_u64 s[2:3], s[34:35], s[30:31]
	s_delay_alu instid0(SALU_CYCLE_1)
	s_mul_hi_u32 s5, s30, s3
	s_mul_i32 s4, s30, s3
	s_mul_hi_u32 s24, s30, s2
	s_mul_hi_u32 s17, s31, s2
	s_add_nc_u64 s[4:5], s[24:25], s[4:5]
	s_mul_i32 s2, s31, s2
	s_mul_hi_u32 s29, s31, s3
	s_add_co_u32 s2, s4, s2
	s_add_co_ci_u32 s24, s5, s17
	s_add_co_ci_u32 s5, s29, 0
	s_mul_i32 s4, s31, s3
	s_delay_alu instid0(SALU_CYCLE_1) | instskip(NEXT) | instid1(SALU_CYCLE_1)
	s_add_nc_u64 s[2:3], s[24:25], s[4:5]
	s_add_co_u32 s2, s30, s2
	s_cselect_b32 s4, -1, 0
	s_delay_alu instid0(SALU_CYCLE_1) | instskip(SKIP_1) | instid1(SALU_CYCLE_1)
	s_cmp_lg_u32 s4, 0
	s_add_co_ci_u32 s3, s31, s3
	s_mul_u64 s[4:5], s[34:35], s[2:3]
	s_delay_alu instid0(SALU_CYCLE_1)
	s_mul_hi_u32 s39, s2, s5
	s_mul_i32 s38, s2, s5
	s_mul_hi_u32 s24, s2, s4
	s_mul_hi_u32 s17, s3, s4
	s_mul_i32 s4, s3, s4
	s_add_nc_u64 s[38:39], s[24:25], s[38:39]
	s_mul_hi_u32 s29, s3, s5
	s_add_co_u32 s4, s38, s4
	s_add_co_ci_u32 s24, s39, s17
	s_mul_i32 s4, s3, s5
	s_add_co_ci_u32 s5, s29, 0
	s_delay_alu instid0(SALU_CYCLE_1) | instskip(NEXT) | instid1(SALU_CYCLE_1)
	s_add_nc_u64 s[4:5], s[24:25], s[4:5]
	s_add_co_u32 s17, s2, s4
	s_cselect_b32 s2, -1, 0
	s_delay_alu instid0(SALU_CYCLE_1) | instskip(SKIP_2) | instid1(SALU_CYCLE_1)
	s_cmp_lg_u32 s2, 0
	s_add_co_ci_u32 s29, s3, s5
	s_ashr_i32 s2, s1, 31
	s_mov_b32 s3, s2
	s_delay_alu instid0(SALU_CYCLE_1) | instskip(NEXT) | instid1(SALU_CYCLE_1)
	s_add_nc_u64 s[4:5], s[0:1], s[2:3]
	s_xor_b64 s[4:5], s[4:5], s[2:3]
	s_delay_alu instid0(SALU_CYCLE_1)
	s_mul_hi_u32 s39, s4, s29
	s_mul_i32 s38, s4, s29
	s_mul_hi_u32 s24, s4, s17
	s_mul_hi_u32 s33, s5, s17
	s_mul_i32 s17, s5, s17
	s_add_nc_u64 s[38:39], s[24:25], s[38:39]
	s_mul_hi_u32 s1, s5, s29
	s_add_co_u32 s17, s38, s17
	s_add_co_ci_u32 s24, s39, s33
	s_mul_i32 s40, s5, s29
	s_add_co_ci_u32 s41, s1, 0
	s_delay_alu instid0(SALU_CYCLE_1) | instskip(NEXT) | instid1(SALU_CYCLE_1)
	s_add_nc_u64 s[38:39], s[24:25], s[40:41]
	s_and_b64 s[40:41], s[38:39], 0xffffffff00000000
	s_delay_alu instid0(SALU_CYCLE_1) | instskip(NEXT) | instid1(SALU_CYCLE_1)
	s_or_b32 s40, s40, s38
	s_mul_u64 s[38:39], s[6:7], s[40:41]
	s_add_nc_u64 s[42:43], s[40:41], 1
	s_sub_co_u32 s1, s4, s38
	s_cselect_b32 s4, -1, 0
	s_sub_co_i32 s17, s5, s39
	s_cmp_lg_u32 s4, 0
	s_add_nc_u64 s[44:45], s[40:41], 2
	s_sub_co_ci_u32 s17, s17, s7
	s_sub_co_u32 s24, s1, s6
	s_cselect_b32 s29, -1, 0
	s_delay_alu instid0(SALU_CYCLE_1) | instskip(SKIP_1) | instid1(SALU_CYCLE_1)
	s_cmp_lg_u32 s29, 0
	s_sub_co_ci_u32 s17, s17, 0
	s_cmp_ge_u32 s17, s7
	s_cselect_b32 s29, -1, 0
	s_cmp_ge_u32 s24, s6
	s_cselect_b32 s24, -1, 0
	s_cmp_eq_u32 s17, s7
	s_cselect_b32 s17, s24, s29
	s_delay_alu instid0(SALU_CYCLE_1) | instskip(SKIP_4) | instid1(SALU_CYCLE_1)
	s_cmp_lg_u32 s17, 0
	s_cselect_b32 s17, s44, s42
	s_cselect_b32 s24, s45, s43
	s_cmp_lg_u32 s4, 0
	s_sub_co_ci_u32 s4, s5, s39
	s_cmp_ge_u32 s4, s7
	s_cselect_b32 s5, -1, 0
	s_cmp_ge_u32 s1, s6
	s_cselect_b32 s1, -1, 0
	s_cmp_eq_u32 s4, s7
	s_cselect_b32 s1, s1, s5
	s_delay_alu instid0(SALU_CYCLE_1) | instskip(SKIP_3) | instid1(SALU_CYCLE_1)
	s_cmp_lg_u32 s1, 0
	s_cselect_b32 s5, s24, s41
	s_cselect_b32 s4, s17, s40
	s_xor_b64 s[2:3], s[2:3], 0
	s_xor_b64 s[4:5], s[4:5], s[2:3]
	s_delay_alu instid0(SALU_CYCLE_1)
	s_sub_nc_u64 s[40:41], s[4:5], s[2:3]
	s_mov_b32 s2, 0
.LBB8_11:                               ;   in Loop: Header=BB8_9 Depth=1
	s_delay_alu instid0(SALU_CYCLE_1)
	s_and_not1_b32 vcc_lo, exec_lo, s2
	s_cbranch_vccnz .LBB8_13
; %bb.12:                               ;   in Loop: Header=BB8_9 Depth=1
	v_readfirstlane_b32 s1, v7
	s_sub_co_i32 s2, 0, s16
	s_delay_alu instid0(SALU_CYCLE_1) | instskip(NEXT) | instid1(SALU_CYCLE_1)
	s_mul_i32 s2, s2, s1
	s_mul_hi_u32 s2, s1, s2
	s_delay_alu instid0(SALU_CYCLE_1) | instskip(NEXT) | instid1(SALU_CYCLE_1)
	s_add_co_i32 s1, s1, s2
	s_mul_hi_u32 s1, s0, s1
	s_delay_alu instid0(SALU_CYCLE_1) | instskip(NEXT) | instid1(SALU_CYCLE_1)
	s_mul_i32 s2, s1, s16
	s_sub_co_i32 s0, s0, s2
	s_add_co_i32 s2, s1, 1
	s_sub_co_i32 s3, s0, s16
	s_cmp_ge_u32 s0, s16
	s_cselect_b32 s1, s2, s1
	s_cselect_b32 s0, s3, s0
	s_add_co_i32 s2, s1, 1
	s_cmp_ge_u32 s0, s16
	s_cselect_b32 s24, s2, s1
	s_delay_alu instid0(SALU_CYCLE_1)
	s_mov_b64 s[40:41], s[24:25]
.LBB8_13:                               ;   in Loop: Header=BB8_9 Depth=1
	s_delay_alu instid0(SALU_CYCLE_1)
	s_cmp_lg_u32 s20, s40
	s_mov_b32 s0, -1
                                        ; implicit-def: $vgpr4_vgpr5
                                        ; implicit-def: $sgpr29
                                        ; implicit-def: $sgpr17
                                        ; implicit-def: $sgpr24
                                        ; implicit-def: $sgpr33
	s_cbranch_scc0 .LBB8_18
; %bb.14:                               ;   in Loop: Header=BB8_9 Depth=1
	s_add_co_i32 s42, s36, s15
	v_max_num_f32_e64 v4, s28, s28
	s_add_co_i32 s0, s42, s16
	s_mov_b32 s33, s20
	s_lshl_b32 s0, s0, 4
	s_delay_alu instid0(SALU_CYCLE_1)
	s_add_co_i32 s0, s0, s21
	s_load_b64 s[38:39], s[10:11], s0 offset:0x0 scale_offset
	s_wait_xcnt 0x0
	v_readfirstlane_b32 s0, v4
	s_wait_kmcnt 0x0
	v_max_num_f32_e64 v5, s38, s38
	s_delay_alu instid0(VALU_DEP_1) | instskip(SKIP_1) | instid1(SALU_CYCLE_3)
	v_readfirstlane_b32 s1, v5
	s_max_num_f32 s17, s0, s1
	s_sub_f32 s37, s28, s17
	s_sub_f32 s38, s38, s17
	s_delay_alu instid0(SALU_CYCLE_2)
	s_cmp_nlt_f32 s37, 0xc2ce8ed0
	s_cselect_b32 s1, -1, 0
	s_cmp_ngt_f32 s37, 0x42b17218
	s_cselect_b32 s2, -1, 0
	s_cmp_ge_f32 s37, 0xc1a00000
	s_cselect_b32 s0, -1, 0
	s_cmp_nlt_f32 s38, 0xc2ce8ed0
	s_cselect_b32 s3, -1, 0
	s_cmp_ngt_f32 s38, 0x42b17218
	s_cselect_b32 s4, -1, 0
	s_cmp_ge_f32 s38, 0xc1a00000
	s_cselect_b32 s5, -1, 0
	s_and_b64 s[44:45], s[40:41], s[8:9]
	s_delay_alu instid0(SALU_CYCLE_1) | instskip(NEXT) | instid1(SALU_CYCLE_1)
	s_mul_u64 s[44:45], s[44:45], s[22:23]
	s_add_co_i32 s24, s45, s40
	s_delay_alu instid0(SALU_CYCLE_1) | instskip(NEXT) | instid1(SALU_CYCLE_1)
	s_lshr_b32 s24, s24, s13
	s_mul_i32 s29, s24, s14
	s_delay_alu instid0(SALU_CYCLE_1) | instskip(SKIP_3) | instid1(SALU_CYCLE_1)
	s_cmp_eq_u32 s29, s40
	s_cselect_b32 s29, -1, 0
	s_cmp_lt_u32 s24, s12
	s_cselect_b32 s24, -1, 0
	s_or_b32 s24, s24, s29
	s_mov_b32 s29, -1
	s_and_b32 vcc_lo, exec_lo, s24
	s_mov_b32 s24, s36
	s_cbranch_vccnz .LBB8_16
; %bb.15:                               ;   in Loop: Header=BB8_9 Depth=1
	s_add_co_i32 s24, s36, -1
	s_mov_b32 s29, 0
	s_mov_b32 s33, s40
.LBB8_16:                               ;   in Loop: Header=BB8_9 Depth=1
	v_lshl_add_u32 v4, s42, 13, v6
	s_mul_f32 s41, s37, 0x3fb8aa3b
	s_mul_f32 s40, s38, 0x3fb8aa3b
	s_delay_alu instid0(SALU_CYCLE_2)
	s_xor_b32 s43, s41, 0x80000000
	global_load_b32 v5, v4, s[26:27] scale_offset
	s_fmamk_f32 s43, s37, 0x3fb8aa3b, s43
	s_rndne_f32 s45, s41
	s_xor_b32 s42, s40, 0x80000000
	s_rndne_f32 s44, s40
	s_fmamk_f32 s37, s37, 0x32a5705f, s43
	s_sub_f32 s41, s41, s45
	s_fmamk_f32 s42, s38, 0x3fb8aa3b, s42
	s_sub_f32 s40, s40, s44
	s_delay_alu instid0(SALU_CYCLE_1) | instskip(NEXT) | instid1(SALU_CYCLE_1)
	s_add_f32 s37, s41, s37
	s_fmamk_f32 s38, s38, 0x32a5705f, s42
	s_cvt_i32_f32 s41, s45
	s_delay_alu instid0(SALU_CYCLE_1) | instskip(NEXT) | instid1(SALU_CYCLE_1)
	v_s_exp_f32 s37, s37
	s_add_f32 s38, s40, s38
	s_cvt_i32_f32 s40, s44
	s_delay_alu instid0(SALU_CYCLE_2) | instskip(NEXT) | instid1(TRANS32_DEP_2)
	v_s_exp_f32 s38, s38
	v_ldexp_f32 v8, s37, s41
	s_wait_xcnt 0x0
	s_delay_alu instid0(TRANS32_DEP_1) | instskip(NEXT) | instid1(VALU_DEP_2)
	v_ldexp_f32 v4, s38, s40
	v_cndmask_b32_e64 v8, 0, v8, s1
	s_delay_alu instid0(VALU_DEP_1) | instskip(NEXT) | instid1(VALU_DEP_1)
	v_cndmask_b32_e64 v9, 0x7f800000, v8, s2
	v_dual_cndmask_b32 v4, 0, v4, s3 :: v_dual_cndmask_b32 v10, 0, v9, s0
	s_delay_alu instid0(VALU_DEP_1) | instskip(NEXT) | instid1(VALU_DEP_1)
	v_cndmask_b32_e64 v4, 0x7f800000, v4, s4
	v_dual_cndmask_b32 v8, 0, v4, s5 :: v_dual_mov_b32 v4, s39
	s_wait_loadcnt 0x0
	s_delay_alu instid0(VALU_DEP_1) | instskip(NEXT) | instid1(VALU_DEP_1)
	v_pk_mul_f32 v[4:5], v[4:5], v[8:9] op_sel_hi:[1,0]
	v_pk_fma_f32 v[4:5], v[0:1], v[10:11], v[4:5] op_sel_hi:[1,0,1]
	s_cbranch_execz .LBB8_19
.LBB8_17:                               ;   in Loop: Header=BB8_9 Depth=1
	s_and_not1_b32 vcc_lo, exec_lo, s29
	s_cbranch_vccnz .LBB8_20
	s_branch .LBB8_23
.LBB8_18:                               ;   in Loop: Header=BB8_9 Depth=1
	s_and_not1_b32 vcc_lo, exec_lo, s0
	s_cbranch_vccnz .LBB8_17
.LBB8_19:                               ;   in Loop: Header=BB8_9 Depth=1
	s_wait_loadcnt 0x0
	v_mov_b64_e32 v[4:5], v[0:1]
	s_add_co_i32 s24, s36, -1
	s_mov_b32 s33, s20
	s_mov_b32 s17, s28
	s_cbranch_execz .LBB8_23
.LBB8_20:                               ;   in Loop: Header=BB8_9 Depth=1
	s_wait_loadcnt 0x0
	s_delay_alu instid0(VALU_DEP_1)
	v_mov_b64_e32 v[0:1], v[4:5]
	s_mov_b32 s20, s33
	s_mov_b32 s36, s24
	;; [unrolled: 1-line block ×3, first 2 shown]
	s_branch .LBB8_9
.LBB8_21:
                                        ; implicit-def: $sgpr20_sgpr21
	s_branch .LBB8_2
.LBB8_22:
                                        ; implicit-def: $sgpr24_sgpr25
	s_load_b96 s[12:14], s[0:1], 0x44
	s_branch .LBB8_5
.LBB8_23:
	s_delay_alu instid0(VALU_DEP_1) | instskip(SKIP_1) | instid1(VALU_DEP_1)
	v_div_scale_f32 v0, null, v4, v4, v5
	s_wait_loadcnt 0x0
	v_rcp_f32_e32 v1, v0
	v_nop
	s_delay_alu instid0(TRANS32_DEP_1) | instskip(NEXT) | instid1(VALU_DEP_1)
	v_fma_f32 v6, -v0, v1, 1.0
	v_fmac_f32_e32 v1, v6, v1
	v_div_scale_f32 v6, vcc_lo, v5, v4, v5
	s_delay_alu instid0(VALU_DEP_1) | instskip(NEXT) | instid1(VALU_DEP_1)
	v_mul_f32_e32 v7, v6, v1
	v_fma_f32 v8, -v0, v7, v6
	s_delay_alu instid0(VALU_DEP_1) | instskip(NEXT) | instid1(VALU_DEP_1)
	v_fmac_f32_e32 v7, v8, v1
	v_fma_f32 v0, -v0, v7, v6
	s_delay_alu instid0(VALU_DEP_1) | instskip(NEXT) | instid1(VALU_DEP_1)
	v_div_fmas_f32 v0, v0, v1, v7
	v_div_fixup_f32 v0, v0, v4, v5
	global_store_b32 v[2:3], v0, off
.LBB8_24:
	s_endpgm
	.section	.rodata,"a",@progbits
	.p2align	6, 0x0
	.amdhsa_kernel _ZL33flash_attn_stream_k_fixup_generalILi512ELi1ELi16EEvPfPK15HIP_vector_typeIfLj2EEiiiiS1_IjLj3EES5_S5_S5_
		.amdhsa_group_segment_fixed_size 0
		.amdhsa_private_segment_fixed_size 0
		.amdhsa_kernarg_size 336
		.amdhsa_user_sgpr_count 2
		.amdhsa_user_sgpr_dispatch_ptr 0
		.amdhsa_user_sgpr_queue_ptr 0
		.amdhsa_user_sgpr_kernarg_segment_ptr 1
		.amdhsa_user_sgpr_dispatch_id 0
		.amdhsa_user_sgpr_kernarg_preload_length 0
		.amdhsa_user_sgpr_kernarg_preload_offset 0
		.amdhsa_user_sgpr_private_segment_size 0
		.amdhsa_wavefront_size32 1
		.amdhsa_uses_dynamic_stack 0
		.amdhsa_enable_private_segment 0
		.amdhsa_system_sgpr_workgroup_id_x 1
		.amdhsa_system_sgpr_workgroup_id_y 1
		.amdhsa_system_sgpr_workgroup_id_z 1
		.amdhsa_system_sgpr_workgroup_info 0
		.amdhsa_system_vgpr_workitem_id 0
		.amdhsa_next_free_vgpr 12
		.amdhsa_next_free_sgpr 46
		.amdhsa_named_barrier_count 0
		.amdhsa_reserve_vcc 1
		.amdhsa_float_round_mode_32 0
		.amdhsa_float_round_mode_16_64 0
		.amdhsa_float_denorm_mode_32 3
		.amdhsa_float_denorm_mode_16_64 3
		.amdhsa_fp16_overflow 0
		.amdhsa_memory_ordered 1
		.amdhsa_forward_progress 1
		.amdhsa_inst_pref_size 26
		.amdhsa_round_robin_scheduling 0
		.amdhsa_exception_fp_ieee_invalid_op 0
		.amdhsa_exception_fp_denorm_src 0
		.amdhsa_exception_fp_ieee_div_zero 0
		.amdhsa_exception_fp_ieee_overflow 0
		.amdhsa_exception_fp_ieee_underflow 0
		.amdhsa_exception_fp_ieee_inexact 0
		.amdhsa_exception_int_div_zero 0
	.end_amdhsa_kernel
	.section	.text._ZL33flash_attn_stream_k_fixup_generalILi512ELi1ELi16EEvPfPK15HIP_vector_typeIfLj2EEiiiiS1_IjLj3EES5_S5_S5_,"axG",@progbits,_ZL33flash_attn_stream_k_fixup_generalILi512ELi1ELi16EEvPfPK15HIP_vector_typeIfLj2EEiiiiS1_IjLj3EES5_S5_S5_,comdat
.Lfunc_end8:
	.size	_ZL33flash_attn_stream_k_fixup_generalILi512ELi1ELi16EEvPfPK15HIP_vector_typeIfLj2EEiiiiS1_IjLj3EES5_S5_S5_, .Lfunc_end8-_ZL33flash_attn_stream_k_fixup_generalILi512ELi1ELi16EEvPfPK15HIP_vector_typeIfLj2EEiiiiS1_IjLj3EES5_S5_S5_
                                        ; -- End function
	.set _ZL33flash_attn_stream_k_fixup_generalILi512ELi1ELi16EEvPfPK15HIP_vector_typeIfLj2EEiiiiS1_IjLj3EES5_S5_S5_.num_vgpr, 12
	.set _ZL33flash_attn_stream_k_fixup_generalILi512ELi1ELi16EEvPfPK15HIP_vector_typeIfLj2EEiiiiS1_IjLj3EES5_S5_S5_.num_agpr, 0
	.set _ZL33flash_attn_stream_k_fixup_generalILi512ELi1ELi16EEvPfPK15HIP_vector_typeIfLj2EEiiiiS1_IjLj3EES5_S5_S5_.numbered_sgpr, 46
	.set _ZL33flash_attn_stream_k_fixup_generalILi512ELi1ELi16EEvPfPK15HIP_vector_typeIfLj2EEiiiiS1_IjLj3EES5_S5_S5_.num_named_barrier, 0
	.set _ZL33flash_attn_stream_k_fixup_generalILi512ELi1ELi16EEvPfPK15HIP_vector_typeIfLj2EEiiiiS1_IjLj3EES5_S5_S5_.private_seg_size, 0
	.set _ZL33flash_attn_stream_k_fixup_generalILi512ELi1ELi16EEvPfPK15HIP_vector_typeIfLj2EEiiiiS1_IjLj3EES5_S5_S5_.uses_vcc, 1
	.set _ZL33flash_attn_stream_k_fixup_generalILi512ELi1ELi16EEvPfPK15HIP_vector_typeIfLj2EEiiiiS1_IjLj3EES5_S5_S5_.uses_flat_scratch, 0
	.set _ZL33flash_attn_stream_k_fixup_generalILi512ELi1ELi16EEvPfPK15HIP_vector_typeIfLj2EEiiiiS1_IjLj3EES5_S5_S5_.has_dyn_sized_stack, 0
	.set _ZL33flash_attn_stream_k_fixup_generalILi512ELi1ELi16EEvPfPK15HIP_vector_typeIfLj2EEiiiiS1_IjLj3EES5_S5_S5_.has_recursion, 0
	.set _ZL33flash_attn_stream_k_fixup_generalILi512ELi1ELi16EEvPfPK15HIP_vector_typeIfLj2EEiiiiS1_IjLj3EES5_S5_S5_.has_indirect_call, 0
	.section	.AMDGPU.csdata,"",@progbits
; Kernel info:
; codeLenInByte = 3328
; TotalNumSgprs: 48
; NumVgprs: 12
; ScratchSize: 0
; MemoryBound: 0
; FloatMode: 240
; IeeeMode: 1
; LDSByteSize: 0 bytes/workgroup (compile time only)
; SGPRBlocks: 0
; VGPRBlocks: 0
; NumSGPRsForWavesPerEU: 48
; NumVGPRsForWavesPerEU: 12
; NamedBarCnt: 0
; Occupancy: 16
; WaveLimiterHint : 0
; COMPUTE_PGM_RSRC2:SCRATCH_EN: 0
; COMPUTE_PGM_RSRC2:USER_SGPR: 2
; COMPUTE_PGM_RSRC2:TRAP_HANDLER: 0
; COMPUTE_PGM_RSRC2:TGID_X_EN: 1
; COMPUTE_PGM_RSRC2:TGID_Y_EN: 1
; COMPUTE_PGM_RSRC2:TGID_Z_EN: 1
; COMPUTE_PGM_RSRC2:TIDIG_COMP_CNT: 0
	.section	.text._ZL15flash_attn_tileILi576ELi512ELi8ELi4ELb0EEvPKcS1_S1_S1_S1_PKiPfP15HIP_vector_typeIfLj2EEffffjfiS5_IjLj3EEiiiiiiiiiiiliiliiiiil,"axG",@progbits,_ZL15flash_attn_tileILi576ELi512ELi8ELi4ELb0EEvPKcS1_S1_S1_S1_PKiPfP15HIP_vector_typeIfLj2EEffffjfiS5_IjLj3EEiiiiiiiiiiiliiliiiiil,comdat
	.globl	_ZL15flash_attn_tileILi576ELi512ELi8ELi4ELb0EEvPKcS1_S1_S1_S1_PKiPfP15HIP_vector_typeIfLj2EEffffjfiS5_IjLj3EEiiiiiiiiiiiliiliiiiil ; -- Begin function _ZL15flash_attn_tileILi576ELi512ELi8ELi4ELb0EEvPKcS1_S1_S1_S1_PKiPfP15HIP_vector_typeIfLj2EEffffjfiS5_IjLj3EEiiiiiiiiiiiliiliiiiil
	.p2align	8
	.type	_ZL15flash_attn_tileILi576ELi512ELi8ELi4ELb0EEvPKcS1_S1_S1_S1_PKiPfP15HIP_vector_typeIfLj2EEffffjfiS5_IjLj3EEiiiiiiiiiiiliiliiiiil,@function
_ZL15flash_attn_tileILi576ELi512ELi8ELi4ELb0EEvPKcS1_S1_S1_S1_PKiPfP15HIP_vector_typeIfLj2EEffffjfiS5_IjLj3EEiiiiiiiiiiiliiliiiiil: ; @_ZL15flash_attn_tileILi576ELi512ELi8ELi4ELb0EEvPKcS1_S1_S1_S1_PKiPfP15HIP_vector_typeIfLj2EEffffjfiS5_IjLj3EEiiiiiiiiiiiliiliiiiil
; %bb.0:
	s_clause 0x1
	s_load_b128 s[20:23], s[0:1], 0x5c
	s_load_b64 s[30:31], s[0:1], 0x80
	s_bfe_u32 s5, ttmp6, 0x40014
	s_lshr_b32 s4, ttmp7, 16
	s_add_co_i32 s5, s5, 1
	s_bfe_u32 s6, ttmp6, 0x40008
	s_mul_i32 s5, s4, s5
	s_getreg_b32 s27, hwreg(HW_REG_IB_STS2, 6, 4)
	s_add_co_i32 s6, s6, s5
	s_load_b64 s[38:39], s[0:1], 0xb8
	s_mov_b32 s37, 0
	s_mov_b64 s[34:35], 0
	s_wait_kmcnt 0x0
	s_ashr_i32 s2, s23, 31
	s_delay_alu instid0(SALU_CYCLE_1) | instskip(NEXT) | instid1(SALU_CYCLE_1)
	s_lshr_b32 s2, s2, 30
	s_add_co_i32 s2, s23, s2
	s_delay_alu instid0(SALU_CYCLE_1) | instskip(NEXT) | instid1(SALU_CYCLE_1)
	s_ashr_i32 s2, s2, 2
	s_cvt_f32_u32 s3, s2
	s_sub_co_i32 s7, 0, s2
	s_delay_alu instid0(SALU_CYCLE_2) | instskip(SKIP_1) | instid1(TRANS32_DEP_1)
	v_rcp_iflag_f32_e32 v1, s3
	v_nop
	v_readfirstlane_b32 s3, v1
	s_mul_f32 s3, s3, 0x4f7ffffe
	s_delay_alu instid0(SALU_CYCLE_3) | instskip(NEXT) | instid1(SALU_CYCLE_3)
	s_cvt_u32_f32 s3, s3
	s_mul_i32 s7, s7, s3
	s_delay_alu instid0(SALU_CYCLE_1) | instskip(NEXT) | instid1(SALU_CYCLE_1)
	s_mul_hi_u32 s7, s3, s7
	s_add_co_i32 s3, s3, s7
	s_cmp_eq_u32 s27, 0
	s_cselect_b32 s4, s4, s6
	s_delay_alu instid0(SALU_CYCLE_1) | instskip(NEXT) | instid1(SALU_CYCLE_1)
	s_mul_hi_u32 s3, s4, s3
	s_mul_i32 s5, s3, s2
	s_add_co_i32 s6, s3, 1
	s_sub_co_i32 s5, s4, s5
	s_delay_alu instid0(SALU_CYCLE_1)
	s_sub_co_i32 s7, s5, s2
	s_cmp_ge_u32 s5, s2
	s_cselect_b32 s3, s6, s3
	s_cselect_b32 s5, s7, s5
	s_add_co_i32 s6, s3, 1
	s_cmp_ge_u32 s5, s2
	s_cselect_b32 s28, s6, s3
	s_abs_i32 s3, s31
	s_lshl_b32 s4, s4, 2
	s_cvt_f32_u32 s2, s3
	s_sub_co_i32 s5, 0, s3
	s_mul_i32 s6, s28, s23
	s_abs_i32 s7, s23
	v_rcp_iflag_f32_e32 v1, s2
	v_nop
	s_delay_alu instid0(TRANS32_DEP_1) | instskip(SKIP_1) | instid1(SALU_CYCLE_3)
	v_readfirstlane_b32 s2, v1
	s_mul_f32 s2, s2, 0x4f7ffffe
	s_cvt_u32_f32 s2, s2
	s_delay_alu instid0(SALU_CYCLE_3) | instskip(NEXT) | instid1(SALU_CYCLE_1)
	s_mul_i32 s5, s5, s2
	s_mul_hi_u32 s5, s2, s5
	s_delay_alu instid0(SALU_CYCLE_1)
	s_add_co_i32 s5, s2, s5
	s_sub_co_i32 s2, s4, s6
	s_mul_hi_u32 s4, s7, s5
	s_xor_b32 s5, s23, s31
	s_mul_i32 s6, s4, s3
	s_ashr_i32 s24, s5, 31
	s_sub_co_i32 s5, s7, s6
	s_add_co_i32 s6, s4, 1
	s_sub_co_i32 s7, s5, s3
	s_cmp_ge_u32 s5, s3
	s_cselect_b32 s4, s6, s4
	s_cselect_b32 s5, s7, s5
	s_add_co_i32 s6, s4, 1
	s_cmp_ge_u32 s5, s3
	s_cselect_b32 s3, s6, s4
	s_load_b512 s[4:19], s[0:1], 0x0
	s_xor_b32 s3, s3, s24
	s_delay_alu instid0(SALU_CYCLE_1) | instskip(NEXT) | instid1(SALU_CYCLE_1)
	s_sub_co_i32 s29, s3, s24
	s_abs_i32 s3, s29
	s_delay_alu instid0(SALU_CYCLE_1) | instskip(NEXT) | instid1(SALU_CYCLE_3)
	s_cvt_f32_u32 s24, s3
	v_rcp_iflag_f32_e32 v1, s24
	v_nop
	s_delay_alu instid0(TRANS32_DEP_1)
	v_readfirstlane_b32 s33, v1
	s_wait_kmcnt 0x0
	s_cmp_eq_u64 s[10:11], 0
	s_cbranch_scc1 .LBB9_2
; %bb.1:
	s_abs_i32 s26, s38
	s_abs_i32 s31, s28
	s_cvt_f32_u32 s24, s26
	s_sub_co_i32 s25, 0, s26
	s_delay_alu instid0(SALU_CYCLE_2) | instskip(SKIP_1) | instid1(TRANS32_DEP_1)
	v_rcp_iflag_f32_e32 v1, s24
	v_nop
	v_readfirstlane_b32 s24, v1
	s_mul_f32 s24, s24, 0x4f7ffffe
	s_delay_alu instid0(SALU_CYCLE_3) | instskip(NEXT) | instid1(SALU_CYCLE_3)
	s_cvt_u32_f32 s24, s24
	s_mul_i32 s25, s25, s24
	s_delay_alu instid0(SALU_CYCLE_1) | instskip(NEXT) | instid1(SALU_CYCLE_1)
	s_mul_hi_u32 s25, s24, s25
	s_add_co_i32 s24, s24, s25
	s_delay_alu instid0(SALU_CYCLE_1) | instskip(SKIP_2) | instid1(SALU_CYCLE_1)
	s_mul_hi_u32 s34, s31, s24
	s_load_b64 s[24:25], s[0:1], 0xc8
	s_mul_i32 s34, s34, s26
	s_sub_co_i32 s31, s31, s34
	s_ashr_i32 s34, s28, 31
	s_sub_co_i32 s35, s31, s26
	s_cmp_ge_u32 s31, s26
	s_cselect_b32 s31, s35, s31
	s_delay_alu instid0(SALU_CYCLE_1) | instskip(SKIP_2) | instid1(SALU_CYCLE_1)
	s_sub_co_i32 s35, s31, s26
	s_cmp_ge_u32 s31, s26
	s_cselect_b32 s26, s35, s31
	s_xor_b32 s26, s26, s34
	s_delay_alu instid0(SALU_CYCLE_1) | instskip(NEXT) | instid1(SALU_CYCLE_1)
	s_sub_co_i32 s34, s26, s34
	s_ashr_i32 s35, s34, 31
	s_wait_kmcnt 0x0
	s_mul_u64 s[24:25], s[24:25], s[34:35]
	s_delay_alu instid0(SALU_CYCLE_1)
	s_add_nc_u64 s[34:35], s[10:11], s[24:25]
.LBB9_2:
	s_bfe_u32 s10, ttmp6, 0x4000c
	s_and_b32 s11, ttmp6, 15
	s_add_co_i32 s10, s10, 1
	v_bfe_u32 v6, v0, 10, 10
	s_mul_i32 s10, ttmp9, s10
	s_load_b96 s[24:26], s[0:1], 0x70
	s_add_co_i32 s11, s11, s10
	s_cmp_eq_u32 s27, 0
	v_and_b32_e32 v53, 0x3ff, v0
	s_cselect_b32 s31, ttmp9, s11
	v_mul_u32_u24_e32 v56, 0x1200, v6
	v_lshl_add_u32 v52, s31, 3, v6
	s_delay_alu instid0(VALU_DEP_3) | instskip(SKIP_2) | instid1(VALU_DEP_4)
	v_dual_mov_b32 v3, 0 :: v_dual_lshlrev_b32 v0, 4, v53
	v_lshlrev_b32_e32 v55, 3, v53
	v_cmp_gt_u32_e32 vcc_lo, 16, v53
	v_mul_hi_u32 v1, s20, v52
	s_delay_alu instid0(VALU_DEP_3) | instskip(SKIP_3) | instid1(VALU_DEP_2)
	v_mad_u32_u24 v7, 0x1200, v6, v55
	s_wait_kmcnt 0x0
	s_ashr_i32 s11, s24, 31
	s_mov_b32 s10, s24
	v_add_nc_u32_e32 v1, v52, v1
	s_lshr_b64 s[10:11], s[10:11], 2
	s_mul_i32 s20, s2, s25
	s_delay_alu instid0(VALU_DEP_1) | instskip(SKIP_1) | instid1(VALU_DEP_1)
	v_lshrrev_b32_e32 v1, s21, v1
	s_ashr_i32 s21, s20, 31
	v_mul_lo_u32 v1, v1, s22
	s_delay_alu instid0(VALU_DEP_1) | instskip(NEXT) | instid1(VALU_DEP_1)
	v_dual_mov_b32 v1, v3 :: v_dual_sub_nc_u32 v2, v52, v1
	v_mul_u64_e32 v[4:5], s[10:11], v[2:3]
	s_mul_i32 s10, s28, s26
	s_delay_alu instid0(SALU_CYCLE_1) | instskip(NEXT) | instid1(SALU_CYCLE_1)
	s_ashr_i32 s11, s10, 31
	s_add_nc_u64 s[4:5], s[4:5], s[10:11]
	s_delay_alu instid0(SALU_CYCLE_1)
	s_add_nc_u64 s[4:5], s[4:5], s[20:21]
	s_delay_alu instid0(VALU_DEP_1) | instid1(SALU_CYCLE_1)
	v_lshl_add_u64 v[4:5], v[4:5], 2, s[4:5]
	s_load_b32 s4, s[0:1], 0x40
	s_delay_alu instid0(VALU_DEP_1)
	v_add_nc_u64_e32 v[0:1], v[4:5], v[0:1]
	s_clause 0x3
	global_load_b128 v[8:11], v[0:1], off
	global_load_b128 v[12:15], v[0:1], off offset:512
	global_load_b128 v[16:19], v[0:1], off offset:1024
	;; [unrolled: 1-line block ×3, first 2 shown]
	s_wait_loadcnt 0x3
	s_wait_kmcnt 0x0
	v_fma_mixlo_f16 v3, s4, v8, 0
	v_fma_mixlo_f16 v4, s4, v9, 0
	v_fma_mixlo_f16 v5, s4, v10, 0
	v_fma_mixlo_f16 v8, s4, v11, 0
	s_wait_loadcnt 0x2
	v_fma_mixlo_f16 v9, s4, v12, 0
	v_fma_mixlo_f16 v10, s4, v13, 0
	v_fma_mixlo_f16 v11, s4, v14, 0
	v_fma_mixlo_f16 v12, s4, v15, 0
	s_wait_loadcnt 0x1
	;; [unrolled: 5-line block ×3, first 2 shown]
	v_fma_mixlo_f16 v17, s4, v20, 0
	v_fma_mixlo_f16 v18, s4, v21, 0
	;; [unrolled: 1-line block ×3, first 2 shown]
	v_lshlrev_b32_e32 v4, 16, v4
	v_and_b32_e32 v3, 0xffff, v3
	v_dual_lshlrev_b32 v8, 16, v8 :: v_dual_lshlrev_b32 v10, 16, v10
	v_and_b32_e32 v5, 0xffff, v5
	v_and_b32_e32 v9, 0xffff, v9
	v_fma_mixlo_f16 v19, s4, v22, 0
	v_dual_lshlrev_b32 v12, 16, v12 :: v_dual_lshlrev_b32 v14, 16, v14
	v_and_b32_e32 v11, 0xffff, v11
	v_and_b32_e32 v13, 0xffff, v13
	v_dual_lshlrev_b32 v16, 16, v16 :: v_dual_lshlrev_b32 v18, 16, v18
	v_and_b32_e32 v17, 0xffff, v17
	v_dual_lshlrev_b32 v20, 16, v20 :: v_dual_bitop2_b32 v3, v4, v3 bitop3:0x54
	v_or3_b32 v5, v8, v5, 0
	v_or_b32_e32 v8, v10, v9
	v_and_b32_e32 v15, 0xffff, v15
	v_and_b32_e32 v19, 0xffff, v19
	v_or3_b32 v9, v12, v11, 0
	v_or_b32_e32 v10, v14, v13
	v_or_b32_e32 v12, v18, v17
	v_or3_b32 v4, 0, 0, v3
	v_add_nc_u32_e32 v3, v55, v56
	v_or3_b32 v8, 0, 0, v8
	v_or3_b32 v11, v16, v15, 0
	;; [unrolled: 1-line block ×5, first 2 shown]
	ds_store_2addr_b64 v7, v[4:5], v[8:9] offset1:32
	ds_store_2addr_b64 v7, v[10:11], v[12:13] offset0:64 offset1:96
	s_and_saveexec_b32 s5, vcc_lo
	s_cbranch_execz .LBB9_4
; %bb.3:
	global_load_b128 v[8:11], v[0:1], off offset:2048
	s_wait_loadcnt 0x0
	v_fma_mixlo_f16 v7, s4, v8, 0
	v_mov_b32_e32 v8, v11
	s_delay_alu instid0(VALU_DEP_2) | instskip(NEXT) | instid1(VALU_DEP_2)
	v_and_b32_e32 v7, 0xffff, v7
	v_pk_mul_f32 v[4:5], s[4:5], v[8:9] op_sel_hi:[0,1]
	s_delay_alu instid0(VALU_DEP_1) | instskip(SKIP_1) | instid1(VALU_DEP_2)
	v_cvt_pk_f16_f32 v4, v4, v5
	v_fma_mixlo_f16 v5, s4, v10, 0
	v_and_b32_e32 v8, 0xffff0000, v4
	s_delay_alu instid0(VALU_DEP_2) | instskip(NEXT) | instid1(VALU_DEP_2)
	v_and_b32_e32 v5, 0xffff, v5
	v_dual_lshlrev_b32 v4, 16, v4 :: v_dual_bitop2_b32 v7, v8, v7 bitop3:0x54
	s_delay_alu instid0(VALU_DEP_1) | instskip(NEXT) | instid1(VALU_DEP_2)
	v_or3_b32 v5, v4, v5, 0
	v_or3_b32 v4, 0, 0, v7
	ds_store_b64 v3, v[4:5] offset:1024
.LBB9_4:
	s_or_b32 exec_lo, exec_lo, s5
	s_ashr_i32 s11, s25, 31
	s_mov_b32 s10, s25
	s_delay_alu instid0(SALU_CYCLE_1)
	s_and_b64 s[20:21], s[10:11], -4
	s_lshr_b64 s[10:11], s[10:11], 2
	v_add_nc_u64_e32 v[4:5], s[20:21], v[0:1]
	s_clause 0x3
	global_load_b128 v[8:11], v[4:5], off
	global_load_b128 v[12:15], v[4:5], off offset:512
	global_load_b128 v[16:19], v[4:5], off offset:1024
	;; [unrolled: 1-line block ×3, first 2 shown]
	s_wait_loadcnt 0x3
	v_fma_mixlo_f16 v7, s4, v8, 0
	v_fma_mixlo_f16 v8, s4, v9, 0
	v_fma_mixlo_f16 v9, s4, v10, 0
	v_fma_mixlo_f16 v10, s4, v11, 0
	s_wait_loadcnt 0x2
	v_fma_mixlo_f16 v11, s4, v12, 0
	v_fma_mixlo_f16 v12, s4, v13, 0
	v_fma_mixlo_f16 v13, s4, v14, 0
	v_fma_mixlo_f16 v14, s4, v15, 0
	;; [unrolled: 5-line block ×3, first 2 shown]
	s_wait_loadcnt 0x0
	v_fma_mixlo_f16 v19, s4, v20, 0
	v_fma_mixlo_f16 v20, s4, v21, 0
	v_dual_lshlrev_b32 v8, 16, v8 :: v_dual_lshlrev_b32 v10, 16, v10
	v_and_b32_e32 v7, 0xffff, v7
	v_and_b32_e32 v9, 0xffff, v9
	v_dual_lshlrev_b32 v12, 16, v12 :: v_dual_lshlrev_b32 v14, 16, v14
	v_and_b32_e32 v11, 0xffff, v11
	v_fma_mixlo_f16 v21, s4, v22, 0
	v_fma_mixlo_f16 v22, s4, v23, 0
	v_and_b32_e32 v13, 0xffff, v13
	v_dual_lshlrev_b32 v16, 16, v16 :: v_dual_lshlrev_b32 v18, 16, v18
	v_and_b32_e32 v15, 0xffff, v15
	s_delay_alu instid0(VALU_DEP_4)
	v_dual_lshlrev_b32 v20, 16, v20 :: v_dual_lshlrev_b32 v22, 16, v22
	v_and_b32_e32 v19, 0xffff, v19
	v_or_b32_e32 v7, v8, v7
	v_or3_b32 v9, v10, v9, 0
	v_or_b32_e32 v10, v12, v11
	v_and_b32_e32 v17, 0xffff, v17
	v_and_b32_e32 v21, 0xffff, v21
	v_or3_b32 v11, v14, v13, 0
	v_or_b32_e32 v12, v16, v15
	v_or_b32_e32 v14, v20, v19
	v_or3_b32 v8, 0, 0, v7
	v_or3_b32 v10, 0, 0, v10
	;; [unrolled: 1-line block ×6, first 2 shown]
	ds_store_2addr_b64 v3, v[8:9], v[10:11] offset0:144 offset1:176
	ds_store_2addr_b64 v3, v[12:13], v[14:15] offset0:208 offset1:240
	s_and_saveexec_b32 s5, vcc_lo
	s_cbranch_execz .LBB9_6
; %bb.5:
	global_load_b128 v[8:11], v[4:5], off offset:2048
	s_wait_loadcnt 0x0
	v_fma_mixlo_f16 v7, s4, v8, 0
	v_mov_b32_e32 v8, v11
	s_delay_alu instid0(VALU_DEP_2) | instskip(NEXT) | instid1(VALU_DEP_2)
	v_and_b32_e32 v7, 0xffff, v7
	v_pk_mul_f32 v[4:5], s[4:5], v[8:9] op_sel_hi:[0,1]
	s_delay_alu instid0(VALU_DEP_1) | instskip(SKIP_1) | instid1(VALU_DEP_2)
	v_cvt_pk_f16_f32 v4, v4, v5
	v_fma_mixlo_f16 v5, s4, v10, 0
	v_and_b32_e32 v8, 0xffff0000, v4
	s_delay_alu instid0(VALU_DEP_2) | instskip(NEXT) | instid1(VALU_DEP_2)
	v_and_b32_e32 v5, 0xffff, v5
	v_dual_lshlrev_b32 v4, 16, v4 :: v_dual_bitop2_b32 v7, v8, v7 bitop3:0x54
	s_delay_alu instid0(VALU_DEP_1) | instskip(NEXT) | instid1(VALU_DEP_2)
	v_or3_b32 v5, v4, v5, 0
	v_or3_b32 v4, 0, 0, v7
	ds_store_b64 v3, v[4:5] offset:2176
.LBB9_6:
	s_or_b32 exec_lo, exec_lo, s5
	v_lshl_add_u64 v[4:5], s[10:11], 3, v[0:1]
	v_add_nc_u32_e32 v7, 0x800, v3
	s_clause 0x3
	global_load_b128 v[8:11], v[4:5], off
	global_load_b128 v[12:15], v[4:5], off offset:512
	global_load_b128 v[16:19], v[4:5], off offset:1024
	;; [unrolled: 1-line block ×3, first 2 shown]
	s_wait_loadcnt 0x3
	v_fma_mixlo_f16 v8, s4, v8, 0
	v_fma_mixlo_f16 v9, s4, v9, 0
	;; [unrolled: 1-line block ×4, first 2 shown]
	s_wait_loadcnt 0x2
	v_fma_mixlo_f16 v12, s4, v12, 0
	v_fma_mixlo_f16 v13, s4, v13, 0
	;; [unrolled: 1-line block ×4, first 2 shown]
	s_wait_loadcnt 0x1
	v_fma_mixlo_f16 v16, s4, v16, 0
	v_fma_mixlo_f16 v17, s4, v17, 0
	s_wait_loadcnt 0x0
	v_fma_mixlo_f16 v20, s4, v20, 0
	v_fma_mixlo_f16 v21, s4, v21, 0
	v_dual_lshlrev_b32 v9, 16, v9 :: v_dual_lshlrev_b32 v11, 16, v11
	v_and_b32_e32 v8, 0xffff, v8
	v_and_b32_e32 v10, 0xffff, v10
	v_dual_lshlrev_b32 v13, 16, v13 :: v_dual_lshlrev_b32 v15, 16, v15
	v_and_b32_e32 v12, 0xffff, v12
	v_fma_mixlo_f16 v18, s4, v18, 0
	v_fma_mixlo_f16 v19, s4, v19, 0
	;; [unrolled: 1-line block ×4, first 2 shown]
	v_and_b32_e32 v14, 0xffff, v14
	s_delay_alu instid0(VALU_DEP_4) | instskip(SKIP_1) | instid1(VALU_DEP_4)
	v_dual_lshlrev_b32 v17, 16, v17 :: v_dual_lshlrev_b32 v19, 16, v19
	v_and_b32_e32 v16, 0xffff, v16
	v_dual_lshlrev_b32 v21, 16, v21 :: v_dual_lshlrev_b32 v23, 16, v23
	v_and_b32_e32 v20, 0xffff, v20
	v_or_b32_e32 v8, v9, v8
	v_or3_b32 v9, v11, v10, 0
	v_or_b32_e32 v10, v13, v12
	v_and_b32_e32 v18, 0xffff, v18
	v_and_b32_e32 v22, 0xffff, v22
	v_or3_b32 v11, v15, v14, 0
	v_or_b32_e32 v12, v17, v16
	v_or_b32_e32 v14, v21, v20
	v_or3_b32 v8, 0, 0, v8
	v_or3_b32 v10, 0, 0, v10
	;; [unrolled: 1-line block ×6, first 2 shown]
	ds_store_2addr_b64 v7, v[8:9], v[10:11] offset0:32 offset1:64
	ds_store_2addr_b64 v7, v[12:13], v[14:15] offset0:96 offset1:128
	s_and_saveexec_b32 s5, vcc_lo
	s_cbranch_execz .LBB9_8
; %bb.7:
	global_load_b128 v[8:11], v[4:5], off offset:2048
	s_wait_loadcnt 0x0
	v_fma_mixlo_f16 v12, s4, v8, 0
	v_mov_b32_e32 v8, v11
	s_delay_alu instid0(VALU_DEP_1) | instskip(NEXT) | instid1(VALU_DEP_3)
	v_pk_mul_f32 v[4:5], s[4:5], v[8:9] op_sel_hi:[0,1]
	v_and_b32_e32 v8, 0xffff, v12
	s_delay_alu instid0(VALU_DEP_2) | instskip(SKIP_1) | instid1(VALU_DEP_2)
	v_cvt_pk_f16_f32 v4, v4, v5
	v_fma_mixlo_f16 v5, s4, v10, 0
	v_and_b32_e32 v9, 0xffff0000, v4
	s_delay_alu instid0(VALU_DEP_2) | instskip(SKIP_1) | instid1(VALU_DEP_3)
	v_and_b32_e32 v5, 0xffff, v5
	v_lshlrev_b32_e32 v4, 16, v4
	v_or_b32_e32 v8, v9, v8
	s_delay_alu instid0(VALU_DEP_2) | instskip(NEXT) | instid1(VALU_DEP_2)
	v_or3_b32 v5, v4, v5, 0
	v_or3_b32 v4, 0, 0, v8
	ds_store_b64 v3, v[4:5] offset:3328
.LBB9_8:
	s_or_b32 exec_lo, exec_lo, s5
	v_mad_nc_u64_u32 v[0:1], s10, 12, v[0:1]
	v_add_nc_u32_e32 v24, 0xc00, v3
	s_delay_alu instid0(VALU_DEP_2)
	v_mad_u32 v1, s11, 12, v1
	s_clause 0x3
	global_load_b128 v[8:11], v[0:1], off
	global_load_b128 v[12:15], v[0:1], off offset:512
	global_load_b128 v[16:19], v[0:1], off offset:1024
	;; [unrolled: 1-line block ×3, first 2 shown]
	s_wait_loadcnt 0x3
	v_fma_mixlo_f16 v4, s4, v8, 0
	v_fma_mixlo_f16 v5, s4, v9, 0
	v_fma_mixlo_f16 v8, s4, v10, 0
	v_fma_mixlo_f16 v9, s4, v11, 0
	s_wait_loadcnt 0x2
	v_fma_mixlo_f16 v10, s4, v12, 0
	v_fma_mixlo_f16 v11, s4, v13, 0
	v_fma_mixlo_f16 v12, s4, v14, 0
	v_fma_mixlo_f16 v13, s4, v15, 0
	;; [unrolled: 5-line block ×3, first 2 shown]
	s_wait_loadcnt 0x0
	v_fma_mixlo_f16 v18, s4, v20, 0
	v_fma_mixlo_f16 v19, s4, v21, 0
	;; [unrolled: 1-line block ×3, first 2 shown]
	v_dual_lshlrev_b32 v5, 16, v5 :: v_dual_lshlrev_b32 v11, 16, v11
	v_and_b32_e32 v4, 0xffff, v4
	v_dual_lshlrev_b32 v9, 16, v9 :: v_dual_lshlrev_b32 v15, 16, v15
	v_and_b32_e32 v8, 0xffff, v8
	v_and_b32_e32 v10, 0xffff, v10
	v_fma_mixlo_f16 v20, s4, v22, 0
	v_dual_lshlrev_b32 v13, 16, v13 :: v_dual_lshlrev_b32 v19, 16, v19
	v_and_b32_e32 v12, 0xffff, v12
	v_and_b32_e32 v14, 0xffff, v14
	;; [unrolled: 1-line block ×3, first 2 shown]
	v_dual_lshlrev_b32 v17, 16, v17 :: v_dual_bitop2_b32 v4, v5, v4 bitop3:0x54
	v_lshlrev_b32_e32 v21, 16, v21
	v_or3_b32 v5, v9, v8, 0
	v_or_b32_e32 v8, v11, v10
	v_and_b32_e32 v16, 0xffff, v16
	v_and_b32_e32 v20, 0xffff, v20
	v_or3_b32 v9, v13, v12, 0
	v_or_b32_e32 v10, v15, v14
	v_or_b32_e32 v12, v19, v18
	v_or3_b32 v4, 0, 0, v4
	v_or3_b32 v8, 0, 0, v8
	;; [unrolled: 1-line block ×6, first 2 shown]
	ds_store_2addr_b64 v7, v[4:5], v[8:9] offset0:176 offset1:208
	ds_store_2addr_b64 v24, v[10:11], v[12:13] offset0:112 offset1:144
	s_and_saveexec_b32 s5, vcc_lo
	s_cbranch_execz .LBB9_10
; %bb.9:
	global_load_b128 v[8:11], v[0:1], off offset:2048
	s_wait_loadcnt 0x0
	v_fma_mixlo_f16 v4, s4, v8, 0
	v_mov_b32_e32 v8, v11
	s_delay_alu instid0(VALU_DEP_2) | instskip(NEXT) | instid1(VALU_DEP_2)
	v_and_b32_e32 v4, 0xffff, v4
	v_pk_mul_f32 v[0:1], s[4:5], v[8:9] op_sel_hi:[0,1]
	s_delay_alu instid0(VALU_DEP_1) | instskip(SKIP_1) | instid1(VALU_DEP_2)
	v_cvt_pk_f16_f32 v0, v0, v1
	v_fma_mixlo_f16 v1, s4, v10, 0
	v_and_b32_e32 v5, 0xffff0000, v0
	s_delay_alu instid0(VALU_DEP_2) | instskip(SKIP_1) | instid1(VALU_DEP_3)
	v_and_b32_e32 v1, 0xffff, v1
	v_lshlrev_b32_e32 v0, 16, v0
	v_or_b32_e32 v4, v5, v4
	s_delay_alu instid0(VALU_DEP_2) | instskip(NEXT) | instid1(VALU_DEP_2)
	v_or3_b32 v1, v0, v1, 0
	v_or3_b32 v0, 0, 0, v4
	ds_store_b64 v3, v[0:1] offset:4480
.LBB9_10:
	s_or_b32 exec_lo, exec_lo, s5
	s_cmp_eq_u64 s[14:15], 0
	s_wait_dscnt 0x0
	s_barrier_signal -1
	s_barrier_wait -1
	s_cbranch_scc1 .LBB9_12
; %bb.11:
	s_load_b32 s4, s[0:1], 0xd0
	s_wait_kmcnt 0x0
	s_mul_i32 s4, s4, s28
	s_delay_alu instid0(SALU_CYCLE_1)
	s_add_co_i32 s4, s4, s31
	s_load_b32 s30, s[14:15], s4 offset:0x0 scale_offset
.LBB9_12:
	s_wait_xcnt 0x0
	s_bfe_u32 s4, ttmp6, 0x40010
	s_and_b32 s5, ttmp7, 0xffff
	s_add_co_i32 s4, s4, 1
	s_bfe_u32 s10, ttmp6, 0x40004
	s_mul_i32 s4, s5, s4
	v_lshlrev_b32_e32 v54, 2, v53
	s_add_co_i32 s10, s10, s4
	s_cmp_eq_u32 s27, 0
	v_mbcnt_lo_u32_b32 v57, -1, 0
	s_cselect_b32 s31, s5, s10
	s_mov_b32 s5, 0
	s_lshl_b32 s4, s31, 7
	s_wait_kmcnt 0x0
	s_cmp_lt_i32 s4, s30
	s_cbranch_scc1 .LBB9_15
; %bb.13:
	v_mbcnt_lo_u32_b32 v5, -1, 0
	s_delay_alu instid0(VALU_DEP_1)
	v_dual_mov_b32 v4, 32 :: v_dual_bitop2_b32 v69, 16, v5 bitop3:0x14
	v_xor_b32_e32 v70, 8, v5
	v_xor_b32_e32 v71, 4, v5
	;; [unrolled: 1-line block ×4, first 2 shown]
	s_and_not1_b32 vcc_lo, exec_lo, s5
	s_mov_b32 s11, 0
	s_cbranch_vccz .LBB9_16
; %bb.14:
	v_dual_mov_b32 v100, 0 :: v_dual_mov_b32 v25, 0
	v_dual_mov_b32 v3, 0xfeffffff :: v_dual_mov_b32 v2, 0xfeffffff
	;; [unrolled: 1-line block ×3, first 2 shown]
	s_delay_alu instid0(VALU_DEP_3)
	v_dual_mov_b32 v24, v25 :: v_dual_mov_b32 v27, v25
	v_dual_mov_b32 v26, v25 :: v_dual_mov_b32 v104, 0
	;; [unrolled: 1-line block ×17, first 2 shown]
	s_branch .LBB9_24
.LBB9_15:
                                        ; implicit-def: $vgpr5
                                        ; implicit-def: $vgpr4
                                        ; implicit-def: $vgpr69
                                        ; implicit-def: $vgpr70
                                        ; implicit-def: $vgpr71
                                        ; implicit-def: $vgpr72
                                        ; implicit-def: $vgpr73
	s_mov_b32 s11, 0
.LBB9_16:
	s_clause 0x1
	s_load_b64 s[20:21], s[0:1], 0x8c
	s_load_b128 s[24:27], s[0:1], 0x98
	s_mul_f32 s5, s33, 0x4f7ffffe
	s_sub_co_i32 s10, 0, s3
	s_abs_i32 s36, s2
	s_mov_b32 s15, s37
	s_cvt_u32_f32 s5, s5
	s_ashr_i32 s33, s2, 31
	s_ashr_i32 s38, s29, 31
	;; [unrolled: 1-line block ×3, first 2 shown]
	s_mul_i32 s10, s10, s5
	s_xor_b32 s33, s33, s38
	s_mul_hi_u32 s10, s5, s10
	s_load_b64 s[40:41], s[0:1], 0xa8
	s_add_co_i32 s14, s5, s10
	s_ashr_i32 s5, s39, 1
	s_mul_u64 s[14:15], s[36:37], s[14:15]
	v_mad_u32 v63, v2, s5, v53
	s_mul_i32 s10, s15, s3
	v_dual_mov_b32 v90, 0 :: v_dual_mov_b32 v89, 0
	s_sub_co_i32 s10, s36, s10
	s_wait_kmcnt 0x0
	s_ashr_i32 s14, s26, 2
	s_ashr_i32 s20, s20, 2
	s_add_co_i32 s26, s15, 1
	s_sub_co_i32 s36, s10, s3
	s_cmp_ge_u32 s10, s3
	s_mul_u64 s[24:25], s[24:25], s[28:29]
	s_cselect_b32 s15, s26, s15
	s_cselect_b32 s10, s36, s10
	s_add_co_i32 s26, s15, 1
	s_cmp_ge_u32 s10, s3
	s_add_nc_u64 s[6:7], s[6:7], s[24:25]
	s_cselect_b32 s3, s26, s15
	v_mul_lo_u32 v12, s14, v6
	s_xor_b32 s3, s3, s33
	s_mov_b32 s10, 0x9000
	s_sub_co_i32 s3, s3, s33
	v_mad_u32_u24 v62, 0x90, v53, s10
	s_mul_i32 s24, s3, s21
	s_mul_i32 s26, s3, s27
	s_lshl_b32 s3, s20, 5
	v_dual_mov_b32 v29, 0 :: v_dual_lshrrev_b32 v0, 3, v53
	s_ashr_i32 s25, s24, 31
	s_delay_alu instid0(VALU_DEP_3) | instskip(SKIP_1) | instid1(VALU_DEP_2)
	v_lshl_add_u32 v2, s14, 3, v12
	s_add_nc_u64 s[6:7], s[6:7], s[24:25]
	v_lshl_add_u32 v1, v6, 2, v0
	v_and_b32_e32 v0, 28, v54
	s_mul_u64 s[24:25], s[40:41], s[28:29]
	v_dual_mov_b32 v88, 0 :: v_dual_mov_b32 v85, 0
	s_delay_alu instid0(VALU_DEP_3)
	v_mul_lo_u32 v4, s20, v1
	v_dual_mov_b32 v87, 0 :: v_dual_mov_b32 v86, 0
	v_dual_mov_b32 v91, 0 :: v_dual_mov_b32 v84, 0
	;; [unrolled: 1-line block ×5, first 2 shown]
	v_dual_add_nc_u32 v8, s3, v4 :: v_dual_ashrrev_i32 v5, 31, v4
	v_dual_mov_b32 v99, 0 :: v_dual_mov_b32 v92, 0
	v_ashrrev_i32_e32 v13, 31, v12
	s_delay_alu instid0(VALU_DEP_3) | instskip(SKIP_1) | instid1(VALU_DEP_2)
	v_dual_add_nc_u32 v10, s3, v8 :: v_dual_ashrrev_i32 v9, 31, v8
	v_dual_mov_b32 v44, 0xfeffffff :: v_dual_lshlrev_b32 v3, 2, v0
	v_dual_lshlrev_b32 v32, 2, v0 :: v_dual_add_nc_u32 v14, s3, v10
	v_ashrrev_i32_e32 v11, 31, v10
	s_delay_alu instid0(VALU_DEP_3)
	v_mad_u32_u24 v1, 0x90, v1, v3
	v_lshlrev_b32_e32 v3, 10, v6
	v_lshlrev_b64_e32 v[30:31], 2, v[4:5]
	v_ashrrev_i32_e32 v15, 31, v14
	v_lshlrev_b64_e32 v[34:35], 2, v[8:9]
	v_dual_mov_b32 v33, v29 :: v_dual_add_nc_u32 v58, 0x9000, v1
	v_dual_mov_b32 v80, 0 :: v_dual_add_nc_u32 v59, 0xa200, v1
	;; [unrolled: 1-line block ×4, first 2 shown]
	v_lshl_add_u32 v1, v54, 2, v3
	v_dual_mov_b32 v79, 0 :: v_dual_add_nc_u32 v64, 0xd800, v3
	v_ashrrev_i32_e32 v3, 31, v2
	v_lshlrev_b64_e32 v[36:37], 2, v[10:11]
	v_lshlrev_b64_e32 v[38:39], 2, v[14:15]
	v_lshlrev_b64_e32 v[40:41], 2, v[12:13]
	v_dual_mov_b32 v78, 0 :: v_dual_add_nc_u32 v65, 0x9000, v1
	v_lshlrev_b64_e32 v[42:43], 2, v[2:3]
	v_dual_mov_b32 v77, 0 :: v_dual_add_nc_u32 v66, 0x9200, v1
	v_dual_mov_b32 v82, 0 :: v_dual_add_nc_u32 v67, 0xb000, v1
	;; [unrolled: 1-line block ×3, first 2 shown]
	v_dual_mov_b32 v105, 0 :: v_dual_mov_b32 v106, 0
	v_dual_mov_b32 v107, 0 :: v_dual_mov_b32 v102, 0
	;; [unrolled: 1-line block ×7, first 2 shown]
	v_mov_b32_e32 v25, v29
	s_add_nc_u64 s[8:9], s[8:9], s[24:25]
	s_ashr_i32 s27, s26, 31
	s_ashr_i32 s21, s20, 31
	s_add_nc_u64 s[8:9], s[8:9], s[26:27]
	s_ashr_i32 s15, s14, 31
	s_add_nc_u64 s[24:25], s[0:1], 0xd0
.LBB9_17:                               ; =>This Loop Header: Depth=1
                                        ;     Child Loop BB9_19 Depth 2
	s_ashr_i32 s5, s4, 31
	v_dual_mov_b32 v72, 0 :: v_dual_mov_b32 v51, 0
	s_mul_u64 s[26:27], s[4:5], s[20:21]
	v_dual_mov_b32 v49, 0 :: v_dual_mov_b32 v48, 0
	v_dual_mov_b32 v108, 0 :: v_dual_mov_b32 v73, 0
	;; [unrolled: 1-line block ×7, first 2 shown]
	s_lshl_b64 s[26:27], s[26:27], 2
	s_mov_b32 s3, 0
	s_add_nc_u64 s[26:27], s[6:7], s[26:27]
	s_branch .LBB9_19
.LBB9_18:                               ;   in Loop: Header=BB9_19 Depth=2
	s_and_not1_b32 vcc_lo, exec_lo, s10
	s_cbranch_vccz .LBB9_21
.LBB9_19:                               ;   Parent Loop BB9_17 Depth=1
                                        ; =>  This Inner Loop Header: Depth=2
	s_lshr_b32 s10, s3, 1
	s_add_co_i32 s29, s3, 64
	s_lshl_b64 s[36:37], s[10:11], 2
	s_lshr_b32 s10, s29, 1
	s_add_nc_u64 s[36:37], s[26:27], s[36:37]
	s_delay_alu instid0(SALU_CYCLE_1) | instskip(SKIP_4) | instid1(SALU_CYCLE_1)
	v_add_nc_u64_e32 v[0:1], s[36:37], v[30:31]
	v_add_nc_u64_e32 v[2:3], s[36:37], v[34:35]
	;; [unrolled: 1-line block ×4, first 2 shown]
	s_lshl_b64 s[36:37], s[10:11], 2
	s_add_nc_u64 s[36:37], s[26:27], s[36:37]
	s_delay_alu instid0(VALU_DEP_4) | instskip(NEXT) | instid1(VALU_DEP_4)
	v_add_nc_u64_e32 v[16:17], v[0:1], v[32:33]
	v_add_nc_u64_e32 v[18:19], v[2:3], v[32:33]
	s_delay_alu instid0(VALU_DEP_4) | instskip(NEXT) | instid1(VALU_DEP_4)
	v_add_nc_u64_e32 v[20:21], v[4:5], v[32:33]
	v_add_nc_u64_e32 v[22:23], v[6:7], v[32:33]
	s_clause 0x3
	global_load_b128 v[0:3], v[16:17], off
	global_load_b128 v[4:7], v[18:19], off
	;; [unrolled: 1-line block ×4, first 2 shown]
	s_wait_xcnt 0x1
	v_lshl_add_u32 v20, s3, 1, v56
	s_wait_xcnt 0x0
	v_add_nc_u64_e32 v[22:23], s[36:37], v[30:31]
	s_wait_loadcnt 0x3
	ds_store_b128 v58, v[0:3]
	s_wait_loadcnt 0x2
	ds_store_b128 v59, v[4:7]
	;; [unrolled: 2-line block ×4, first 2 shown]
	s_wait_dscnt 0x0
	s_barrier_signal -1
	s_barrier_wait -1
	ds_load_b128 v[0:3], v62
	ds_load_b128 v[4:7], v20
	ds_load_b128 v[8:11], v20 offset:1152
	ds_load_b128 v[12:15], v20 offset:2304
	;; [unrolled: 1-line block ×6, first 2 shown]
	s_wait_dscnt 0x6
	;;#ASMSTART
	v_dot2_f32_f16 v72, v0, v4, v72
	;;#ASMEND
	;;#ASMSTART
	v_dot2_f32_f16 v72, v1, v5, v72
	;;#ASMEND
	;;#ASMSTART
	v_dot2_f32_f16 v72, v2, v6, v72
	;;#ASMEND
	;;#ASMSTART
	v_dot2_f32_f16 v72, v3, v7, v72
	;;#ASMEND
	s_wait_dscnt 0x5
	;;#ASMSTART
	v_dot2_f32_f16 v51, v0, v8, v51
	;;#ASMEND
	;;#ASMSTART
	v_dot2_f32_f16 v51, v1, v9, v51
	;;#ASMEND
	;;#ASMSTART
	v_dot2_f32_f16 v51, v2, v10, v51
	;;#ASMEND
	;;#ASMSTART
	v_dot2_f32_f16 v51, v3, v11, v51
	;;#ASMEND
	;; [unrolled: 13-line block ×5, first 2 shown]
	;;#ASMSTART
	v_dot2_f32_f16 v73, v114, v8, v73
	;;#ASMEND
	;;#ASMSTART
	v_dot2_f32_f16 v73, v115, v9, v73
	;;#ASMEND
	;; [unrolled: 3-line block ×12, first 2 shown]
	s_wait_dscnt 0x1
	;;#ASMSTART
	v_dot2_f32_f16 v111, v118, v4, v111
	;;#ASMEND
	;;#ASMSTART
	v_dot2_f32_f16 v111, v119, v5, v111
	;;#ASMEND
	;; [unrolled: 3-line block ×16, first 2 shown]
	s_wait_dscnt 0x0
	;;#ASMSTART
	v_dot2_f32_f16 v113, v122, v4, v113
	;;#ASMEND
	;;#ASMSTART
	v_dot2_f32_f16 v113, v123, v5, v113
	;;#ASMEND
	;; [unrolled: 3-line block ×16, first 2 shown]
	ds_load_b128 v[0:3], v62 offset:16
	ds_load_b128 v[4:7], v20 offset:16
	;; [unrolled: 1-line block ×8, first 2 shown]
	s_wait_dscnt 0x6
	;;#ASMSTART
	v_dot2_f32_f16 v72, v0, v4, v72
	;;#ASMEND
	;;#ASMSTART
	v_dot2_f32_f16 v72, v1, v5, v72
	;;#ASMEND
	;;#ASMSTART
	v_dot2_f32_f16 v72, v2, v6, v72
	;;#ASMEND
	;;#ASMSTART
	v_dot2_f32_f16 v72, v3, v7, v72
	;;#ASMEND
	s_wait_dscnt 0x5
	;;#ASMSTART
	v_dot2_f32_f16 v51, v0, v8, v51
	;;#ASMEND
	;;#ASMSTART
	v_dot2_f32_f16 v51, v1, v9, v51
	;;#ASMEND
	;;#ASMSTART
	v_dot2_f32_f16 v51, v2, v10, v51
	;;#ASMEND
	;;#ASMSTART
	v_dot2_f32_f16 v51, v3, v11, v51
	;;#ASMEND
	;; [unrolled: 13-line block ×5, first 2 shown]
	;;#ASMSTART
	v_dot2_f32_f16 v73, v114, v8, v73
	;;#ASMEND
	;;#ASMSTART
	v_dot2_f32_f16 v73, v115, v9, v73
	;;#ASMEND
	;; [unrolled: 3-line block ×12, first 2 shown]
	s_wait_dscnt 0x1
	;;#ASMSTART
	v_dot2_f32_f16 v111, v118, v4, v111
	;;#ASMEND
	;;#ASMSTART
	v_dot2_f32_f16 v111, v119, v5, v111
	;;#ASMEND
	;; [unrolled: 3-line block ×16, first 2 shown]
	s_wait_dscnt 0x0
	;;#ASMSTART
	v_dot2_f32_f16 v113, v122, v4, v113
	;;#ASMEND
	;;#ASMSTART
	v_dot2_f32_f16 v113, v123, v5, v113
	;;#ASMEND
	;; [unrolled: 3-line block ×16, first 2 shown]
	ds_load_b128 v[0:3], v62 offset:32
	ds_load_b128 v[4:7], v20 offset:32
	;; [unrolled: 1-line block ×8, first 2 shown]
	s_wait_dscnt 0x6
	;;#ASMSTART
	v_dot2_f32_f16 v72, v0, v4, v72
	;;#ASMEND
	;;#ASMSTART
	v_dot2_f32_f16 v72, v1, v5, v72
	;;#ASMEND
	;;#ASMSTART
	v_dot2_f32_f16 v72, v2, v6, v72
	;;#ASMEND
	;;#ASMSTART
	v_dot2_f32_f16 v72, v3, v7, v72
	;;#ASMEND
	s_wait_dscnt 0x5
	;;#ASMSTART
	v_dot2_f32_f16 v51, v0, v8, v51
	;;#ASMEND
	;;#ASMSTART
	v_dot2_f32_f16 v51, v1, v9, v51
	;;#ASMEND
	;;#ASMSTART
	v_dot2_f32_f16 v51, v2, v10, v51
	;;#ASMEND
	;;#ASMSTART
	v_dot2_f32_f16 v51, v3, v11, v51
	;;#ASMEND
	;; [unrolled: 13-line block ×5, first 2 shown]
	;;#ASMSTART
	v_dot2_f32_f16 v73, v114, v8, v73
	;;#ASMEND
	;;#ASMSTART
	v_dot2_f32_f16 v73, v115, v9, v73
	;;#ASMEND
	;; [unrolled: 3-line block ×12, first 2 shown]
	s_wait_dscnt 0x1
	;;#ASMSTART
	v_dot2_f32_f16 v111, v118, v4, v111
	;;#ASMEND
	;;#ASMSTART
	v_dot2_f32_f16 v111, v119, v5, v111
	;;#ASMEND
	;;#ASMSTART
	v_dot2_f32_f16 v111, v120, v6, v111
	;;#ASMEND
	;;#ASMSTART
	v_dot2_f32_f16 v111, v121, v7, v111
	;;#ASMEND
	;;#ASMSTART
	v_dot2_f32_f16 v109, v118, v8, v109
	;;#ASMEND
	;;#ASMSTART
	v_dot2_f32_f16 v109, v119, v9, v109
	;;#ASMEND
	;;#ASMSTART
	v_dot2_f32_f16 v109, v120, v10, v109
	;;#ASMEND
	;;#ASMSTART
	v_dot2_f32_f16 v109, v121, v11, v109
	;;#ASMEND
	;;#ASMSTART
	v_dot2_f32_f16 v74, v118, v12, v74
	;;#ASMEND
	;;#ASMSTART
	v_dot2_f32_f16 v74, v119, v13, v74
	;;#ASMEND
	;;#ASMSTART
	v_dot2_f32_f16 v74, v120, v14, v74
	;;#ASMEND
	;;#ASMSTART
	v_dot2_f32_f16 v74, v121, v15, v74
	;;#ASMEND
	;;#ASMSTART
	v_dot2_f32_f16 v71, v118, v16, v71
	;;#ASMEND
	;;#ASMSTART
	v_dot2_f32_f16 v71, v119, v17, v71
	;;#ASMEND
	;;#ASMSTART
	v_dot2_f32_f16 v71, v120, v18, v71
	;;#ASMEND
	;;#ASMSTART
	v_dot2_f32_f16 v71, v121, v19, v71
	;;#ASMEND
	s_wait_dscnt 0x0
	;;#ASMSTART
	v_dot2_f32_f16 v113, v122, v4, v113
	;;#ASMEND
	;;#ASMSTART
	v_dot2_f32_f16 v113, v123, v5, v113
	;;#ASMEND
	;; [unrolled: 3-line block ×16, first 2 shown]
	ds_load_b128 v[0:3], v62 offset:48
	ds_load_b128 v[4:7], v20 offset:48
	ds_load_b128 v[8:11], v20 offset:1200
	ds_load_b128 v[12:15], v20 offset:2352
	ds_load_b128 v[16:19], v20 offset:3504
	ds_load_b128 v[114:117], v62 offset:4656
	ds_load_b128 v[118:121], v62 offset:9264
	ds_load_b128 v[122:125], v62 offset:13872
	s_wait_dscnt 0x6
	;;#ASMSTART
	v_dot2_f32_f16 v72, v0, v4, v72
	;;#ASMEND
	;;#ASMSTART
	v_dot2_f32_f16 v72, v1, v5, v72
	;;#ASMEND
	;;#ASMSTART
	v_dot2_f32_f16 v72, v2, v6, v72
	;;#ASMEND
	;;#ASMSTART
	v_dot2_f32_f16 v72, v3, v7, v72
	;;#ASMEND
	s_wait_dscnt 0x5
	;;#ASMSTART
	v_dot2_f32_f16 v51, v0, v8, v51
	;;#ASMEND
	;;#ASMSTART
	v_dot2_f32_f16 v51, v1, v9, v51
	;;#ASMEND
	;;#ASMSTART
	v_dot2_f32_f16 v51, v2, v10, v51
	;;#ASMEND
	;;#ASMSTART
	v_dot2_f32_f16 v51, v3, v11, v51
	;;#ASMEND
	;; [unrolled: 13-line block ×5, first 2 shown]
	;;#ASMSTART
	v_dot2_f32_f16 v73, v114, v8, v73
	;;#ASMEND
	;;#ASMSTART
	v_dot2_f32_f16 v73, v115, v9, v73
	;;#ASMEND
	;; [unrolled: 3-line block ×12, first 2 shown]
	s_wait_dscnt 0x1
	;;#ASMSTART
	v_dot2_f32_f16 v111, v118, v4, v111
	;;#ASMEND
	;;#ASMSTART
	v_dot2_f32_f16 v111, v119, v5, v111
	;;#ASMEND
	;;#ASMSTART
	v_dot2_f32_f16 v111, v120, v6, v111
	;;#ASMEND
	;;#ASMSTART
	v_dot2_f32_f16 v111, v121, v7, v111
	;;#ASMEND
	;;#ASMSTART
	v_dot2_f32_f16 v109, v118, v8, v109
	;;#ASMEND
	;;#ASMSTART
	v_dot2_f32_f16 v109, v119, v9, v109
	;;#ASMEND
	;;#ASMSTART
	v_dot2_f32_f16 v109, v120, v10, v109
	;;#ASMEND
	;;#ASMSTART
	v_dot2_f32_f16 v109, v121, v11, v109
	;;#ASMEND
	;;#ASMSTART
	v_dot2_f32_f16 v74, v118, v12, v74
	;;#ASMEND
	;;#ASMSTART
	v_dot2_f32_f16 v74, v119, v13, v74
	;;#ASMEND
	;;#ASMSTART
	v_dot2_f32_f16 v74, v120, v14, v74
	;;#ASMEND
	;;#ASMSTART
	v_dot2_f32_f16 v74, v121, v15, v74
	;;#ASMEND
	;;#ASMSTART
	v_dot2_f32_f16 v71, v118, v16, v71
	;;#ASMEND
	;;#ASMSTART
	v_dot2_f32_f16 v71, v119, v17, v71
	;;#ASMEND
	;;#ASMSTART
	v_dot2_f32_f16 v71, v120, v18, v71
	;;#ASMEND
	;;#ASMSTART
	v_dot2_f32_f16 v71, v121, v19, v71
	;;#ASMEND
	s_wait_dscnt 0x0
	;;#ASMSTART
	v_dot2_f32_f16 v113, v122, v4, v113
	;;#ASMEND
	;;#ASMSTART
	v_dot2_f32_f16 v113, v123, v5, v113
	;;#ASMEND
	;;#ASMSTART
	v_dot2_f32_f16 v113, v124, v6, v113
	;;#ASMEND
	;;#ASMSTART
	v_dot2_f32_f16 v113, v125, v7, v113
	;;#ASMEND
	;;#ASMSTART
	v_dot2_f32_f16 v112, v122, v8, v112
	;;#ASMEND
	;;#ASMSTART
	v_dot2_f32_f16 v112, v123, v9, v112
	;;#ASMEND
	;;#ASMSTART
	v_dot2_f32_f16 v112, v124, v10, v112
	;;#ASMEND
	;;#ASMSTART
	v_dot2_f32_f16 v112, v125, v11, v112
	;;#ASMEND
	;;#ASMSTART
	v_dot2_f32_f16 v110, v122, v12, v110
	;;#ASMEND
	;;#ASMSTART
	v_dot2_f32_f16 v110, v123, v13, v110
	;;#ASMEND
	;;#ASMSTART
	v_dot2_f32_f16 v110, v124, v14, v110
	;;#ASMEND
	;;#ASMSTART
	v_dot2_f32_f16 v110, v125, v15, v110
	;;#ASMEND
	;;#ASMSTART
	v_dot2_f32_f16 v75, v122, v16, v75
	;;#ASMEND
	;;#ASMSTART
	v_dot2_f32_f16 v75, v123, v17, v75
	;;#ASMEND
	;;#ASMSTART
	v_dot2_f32_f16 v75, v124, v18, v75
	;;#ASMEND
	;;#ASMSTART
	v_dot2_f32_f16 v75, v125, v19, v75
	;;#ASMEND
	ds_load_b128 v[0:3], v62 offset:64
	ds_load_b128 v[4:7], v20 offset:64
	;; [unrolled: 1-line block ×8, first 2 shown]
	s_wait_dscnt 0x6
	;;#ASMSTART
	v_dot2_f32_f16 v72, v0, v4, v72
	;;#ASMEND
	;;#ASMSTART
	v_dot2_f32_f16 v72, v1, v5, v72
	;;#ASMEND
	;;#ASMSTART
	v_dot2_f32_f16 v72, v2, v6, v72
	;;#ASMEND
	;;#ASMSTART
	v_dot2_f32_f16 v72, v3, v7, v72
	;;#ASMEND
	s_wait_dscnt 0x5
	;;#ASMSTART
	v_dot2_f32_f16 v51, v0, v8, v51
	;;#ASMEND
	;;#ASMSTART
	v_dot2_f32_f16 v51, v1, v9, v51
	;;#ASMEND
	;;#ASMSTART
	v_dot2_f32_f16 v51, v2, v10, v51
	;;#ASMEND
	;;#ASMSTART
	v_dot2_f32_f16 v51, v3, v11, v51
	;;#ASMEND
	;; [unrolled: 13-line block ×5, first 2 shown]
	;;#ASMSTART
	v_dot2_f32_f16 v73, v114, v8, v73
	;;#ASMEND
	;;#ASMSTART
	v_dot2_f32_f16 v73, v115, v9, v73
	;;#ASMEND
	;; [unrolled: 3-line block ×12, first 2 shown]
	s_wait_dscnt 0x1
	;;#ASMSTART
	v_dot2_f32_f16 v111, v118, v4, v111
	;;#ASMEND
	;;#ASMSTART
	v_dot2_f32_f16 v111, v119, v5, v111
	;;#ASMEND
	;; [unrolled: 3-line block ×16, first 2 shown]
	s_wait_dscnt 0x0
	;;#ASMSTART
	v_dot2_f32_f16 v113, v122, v4, v113
	;;#ASMEND
	;;#ASMSTART
	v_dot2_f32_f16 v113, v123, v5, v113
	;;#ASMEND
	;; [unrolled: 3-line block ×16, first 2 shown]
	ds_load_b128 v[0:3], v62 offset:80
	ds_load_b128 v[4:7], v20 offset:80
	;; [unrolled: 1-line block ×8, first 2 shown]
	s_wait_dscnt 0x6
	;;#ASMSTART
	v_dot2_f32_f16 v72, v0, v4, v72
	;;#ASMEND
	;;#ASMSTART
	v_dot2_f32_f16 v72, v1, v5, v72
	;;#ASMEND
	;;#ASMSTART
	v_dot2_f32_f16 v72, v2, v6, v72
	;;#ASMEND
	;;#ASMSTART
	v_dot2_f32_f16 v72, v3, v7, v72
	;;#ASMEND
	s_wait_dscnt 0x5
	;;#ASMSTART
	v_dot2_f32_f16 v51, v0, v8, v51
	;;#ASMEND
	;;#ASMSTART
	v_dot2_f32_f16 v51, v1, v9, v51
	;;#ASMEND
	;;#ASMSTART
	v_dot2_f32_f16 v51, v2, v10, v51
	;;#ASMEND
	;;#ASMSTART
	v_dot2_f32_f16 v51, v3, v11, v51
	;;#ASMEND
	;; [unrolled: 13-line block ×5, first 2 shown]
	;;#ASMSTART
	v_dot2_f32_f16 v73, v114, v8, v73
	;;#ASMEND
	;;#ASMSTART
	v_dot2_f32_f16 v73, v115, v9, v73
	;;#ASMEND
	;;#ASMSTART
	v_dot2_f32_f16 v73, v116, v10, v73
	;;#ASMEND
	;;#ASMSTART
	v_dot2_f32_f16 v73, v117, v11, v73
	;;#ASMEND
	;;#ASMSTART
	v_dot2_f32_f16 v70, v114, v12, v70
	;;#ASMEND
	;;#ASMSTART
	v_dot2_f32_f16 v70, v115, v13, v70
	;;#ASMEND
	;;#ASMSTART
	v_dot2_f32_f16 v70, v116, v14, v70
	;;#ASMEND
	;;#ASMSTART
	v_dot2_f32_f16 v70, v117, v15, v70
	;;#ASMEND
	;;#ASMSTART
	v_dot2_f32_f16 v50, v114, v16, v50
	;;#ASMEND
	;;#ASMSTART
	v_dot2_f32_f16 v50, v115, v17, v50
	;;#ASMEND
	;;#ASMSTART
	v_dot2_f32_f16 v50, v116, v18, v50
	;;#ASMEND
	;;#ASMSTART
	v_dot2_f32_f16 v50, v117, v19, v50
	;;#ASMEND
	s_wait_dscnt 0x1
	;;#ASMSTART
	v_dot2_f32_f16 v111, v118, v4, v111
	;;#ASMEND
	;;#ASMSTART
	v_dot2_f32_f16 v111, v119, v5, v111
	;;#ASMEND
	;; [unrolled: 3-line block ×16, first 2 shown]
	s_wait_dscnt 0x0
	;;#ASMSTART
	v_dot2_f32_f16 v113, v122, v4, v113
	;;#ASMEND
	;;#ASMSTART
	v_dot2_f32_f16 v113, v123, v5, v113
	;;#ASMEND
	;; [unrolled: 3-line block ×16, first 2 shown]
	ds_load_b128 v[16:19], v62 offset:96
	ds_load_b128 v[0:3], v20 offset:96
	;; [unrolled: 1-line block ×8, first 2 shown]
	s_wait_dscnt 0x6
	;;#ASMSTART
	v_dot2_f32_f16 v72, v16, v0, v72
	;;#ASMEND
	;;#ASMSTART
	v_dot2_f32_f16 v72, v17, v1, v72
	;;#ASMEND
	;;#ASMSTART
	v_dot2_f32_f16 v72, v18, v2, v72
	;;#ASMEND
	;;#ASMSTART
	v_dot2_f32_f16 v72, v19, v3, v72
	;;#ASMEND
	s_wait_dscnt 0x5
	;;#ASMSTART
	v_dot2_f32_f16 v51, v16, v4, v51
	;;#ASMEND
	;;#ASMSTART
	v_dot2_f32_f16 v51, v17, v5, v51
	;;#ASMEND
	;;#ASMSTART
	v_dot2_f32_f16 v51, v18, v6, v51
	;;#ASMEND
	;;#ASMSTART
	v_dot2_f32_f16 v51, v19, v7, v51
	;;#ASMEND
	;; [unrolled: 13-line block ×5, first 2 shown]
	;;#ASMSTART
	v_dot2_f32_f16 v73, v114, v4, v73
	;;#ASMEND
	;;#ASMSTART
	v_dot2_f32_f16 v73, v115, v5, v73
	;;#ASMEND
	;; [unrolled: 3-line block ×12, first 2 shown]
	s_wait_dscnt 0x1
	;;#ASMSTART
	v_dot2_f32_f16 v111, v118, v0, v111
	;;#ASMEND
	;;#ASMSTART
	v_dot2_f32_f16 v111, v119, v1, v111
	;;#ASMEND
	;; [unrolled: 3-line block ×16, first 2 shown]
	s_wait_dscnt 0x0
	;;#ASMSTART
	v_dot2_f32_f16 v113, v122, v0, v113
	;;#ASMEND
	;;#ASMSTART
	v_dot2_f32_f16 v113, v123, v1, v113
	;;#ASMEND
	;; [unrolled: 3-line block ×16, first 2 shown]
	ds_load_b128 v[0:3], v62 offset:112
	ds_load_b128 v[4:7], v20 offset:112
	v_add_nc_u64_e32 v[114:115], s[36:37], v[34:35]
	v_add_nc_u64_e32 v[116:117], s[36:37], v[36:37]
	v_add_nc_u64_e32 v[118:119], s[36:37], v[38:39]
	ds_load_b128 v[8:11], v20 offset:1264
	ds_load_b128 v[12:15], v20 offset:2416
	;; [unrolled: 1-line block ×3, first 2 shown]
	v_add_nc_u64_e32 v[122:123], v[22:23], v[32:33]
	v_add_nc_u64_e32 v[124:125], v[114:115], v[32:33]
	;; [unrolled: 1-line block ×3, first 2 shown]
	ds_load_b128 v[20:23], v62 offset:4720
	v_add_nc_u64_e32 v[128:129], v[118:119], v[32:33]
	ds_load_b128 v[114:117], v62 offset:9328
	ds_load_b128 v[118:121], v62 offset:13936
	s_wait_dscnt 0x6
	;;#ASMSTART
	v_dot2_f32_f16 v72, v0, v4, v72
	;;#ASMEND
	;;#ASMSTART
	v_dot2_f32_f16 v72, v1, v5, v72
	;;#ASMEND
	;;#ASMSTART
	v_dot2_f32_f16 v72, v2, v6, v72
	;;#ASMEND
	;;#ASMSTART
	v_dot2_f32_f16 v72, v3, v7, v72
	;;#ASMEND
	s_wait_dscnt 0x5
	;;#ASMSTART
	v_dot2_f32_f16 v51, v0, v8, v51
	;;#ASMEND
	;;#ASMSTART
	v_dot2_f32_f16 v51, v1, v9, v51
	;;#ASMEND
	;;#ASMSTART
	v_dot2_f32_f16 v51, v2, v10, v51
	;;#ASMEND
	;;#ASMSTART
	v_dot2_f32_f16 v51, v3, v11, v51
	;;#ASMEND
	;; [unrolled: 13-line block ×5, first 2 shown]
	;;#ASMSTART
	v_dot2_f32_f16 v73, v20, v8, v73
	;;#ASMEND
	;;#ASMSTART
	v_dot2_f32_f16 v73, v21, v9, v73
	;;#ASMEND
	;; [unrolled: 3-line block ×12, first 2 shown]
	s_wait_dscnt 0x1
	;;#ASMSTART
	v_dot2_f32_f16 v111, v114, v4, v111
	;;#ASMEND
	;;#ASMSTART
	v_dot2_f32_f16 v111, v115, v5, v111
	;;#ASMEND
	;; [unrolled: 3-line block ×16, first 2 shown]
	s_wait_dscnt 0x0
	;;#ASMSTART
	v_dot2_f32_f16 v113, v118, v4, v113
	;;#ASMEND
	;;#ASMSTART
	v_dot2_f32_f16 v113, v119, v5, v113
	;;#ASMEND
	;; [unrolled: 3-line block ×16, first 2 shown]
	s_barrier_signal -1
	s_barrier_wait -1
	s_clause 0x3
	global_load_b128 v[0:3], v[122:123], off
	global_load_b128 v[4:7], v[124:125], off
	;; [unrolled: 1-line block ×4, first 2 shown]
	v_lshl_add_u32 v20, s29, 1, v56
	s_add_co_i32 s29, s3, 0x80
	s_wait_loadcnt 0x3
	ds_store_b128 v58, v[0:3]
	s_wait_loadcnt 0x2
	ds_store_b128 v59, v[4:7]
	;; [unrolled: 2-line block ×4, first 2 shown]
	s_wait_dscnt 0x0
	s_barrier_signal -1
	s_barrier_wait -1
	ds_load_b128 v[0:3], v62
	ds_load_b128 v[4:7], v20
	ds_load_b128 v[8:11], v20 offset:1152
	ds_load_b128 v[12:15], v20 offset:2304
	;; [unrolled: 1-line block ×6, first 2 shown]
	s_wait_dscnt 0x6
	;;#ASMSTART
	v_dot2_f32_f16 v72, v0, v4, v72
	;;#ASMEND
	;;#ASMSTART
	v_dot2_f32_f16 v72, v1, v5, v72
	;;#ASMEND
	;;#ASMSTART
	v_dot2_f32_f16 v72, v2, v6, v72
	;;#ASMEND
	;;#ASMSTART
	v_dot2_f32_f16 v72, v3, v7, v72
	;;#ASMEND
	s_wait_dscnt 0x5
	;;#ASMSTART
	v_dot2_f32_f16 v51, v0, v8, v51
	;;#ASMEND
	;;#ASMSTART
	v_dot2_f32_f16 v51, v1, v9, v51
	;;#ASMEND
	;;#ASMSTART
	v_dot2_f32_f16 v51, v2, v10, v51
	;;#ASMEND
	;;#ASMSTART
	v_dot2_f32_f16 v51, v3, v11, v51
	;;#ASMEND
	;; [unrolled: 13-line block ×5, first 2 shown]
	;;#ASMSTART
	v_dot2_f32_f16 v73, v114, v8, v73
	;;#ASMEND
	;;#ASMSTART
	v_dot2_f32_f16 v73, v115, v9, v73
	;;#ASMEND
	;;#ASMSTART
	v_dot2_f32_f16 v73, v116, v10, v73
	;;#ASMEND
	;;#ASMSTART
	v_dot2_f32_f16 v73, v117, v11, v73
	;;#ASMEND
	;;#ASMSTART
	v_dot2_f32_f16 v70, v114, v12, v70
	;;#ASMEND
	;;#ASMSTART
	v_dot2_f32_f16 v70, v115, v13, v70
	;;#ASMEND
	;;#ASMSTART
	v_dot2_f32_f16 v70, v116, v14, v70
	;;#ASMEND
	;;#ASMSTART
	v_dot2_f32_f16 v70, v117, v15, v70
	;;#ASMEND
	;;#ASMSTART
	v_dot2_f32_f16 v50, v114, v16, v50
	;;#ASMEND
	;;#ASMSTART
	v_dot2_f32_f16 v50, v115, v17, v50
	;;#ASMEND
	;;#ASMSTART
	v_dot2_f32_f16 v50, v116, v18, v50
	;;#ASMEND
	;;#ASMSTART
	v_dot2_f32_f16 v50, v117, v19, v50
	;;#ASMEND
	s_wait_dscnt 0x1
	;;#ASMSTART
	v_dot2_f32_f16 v111, v118, v4, v111
	;;#ASMEND
	;;#ASMSTART
	v_dot2_f32_f16 v111, v119, v5, v111
	;;#ASMEND
	;; [unrolled: 3-line block ×16, first 2 shown]
	s_wait_dscnt 0x0
	;;#ASMSTART
	v_dot2_f32_f16 v113, v122, v4, v113
	;;#ASMEND
	;;#ASMSTART
	v_dot2_f32_f16 v113, v123, v5, v113
	;;#ASMEND
	;;#ASMSTART
	v_dot2_f32_f16 v113, v124, v6, v113
	;;#ASMEND
	;;#ASMSTART
	v_dot2_f32_f16 v113, v125, v7, v113
	;;#ASMEND
	;;#ASMSTART
	v_dot2_f32_f16 v112, v122, v8, v112
	;;#ASMEND
	;;#ASMSTART
	v_dot2_f32_f16 v112, v123, v9, v112
	;;#ASMEND
	;;#ASMSTART
	v_dot2_f32_f16 v112, v124, v10, v112
	;;#ASMEND
	;;#ASMSTART
	v_dot2_f32_f16 v112, v125, v11, v112
	;;#ASMEND
	;;#ASMSTART
	v_dot2_f32_f16 v110, v122, v12, v110
	;;#ASMEND
	;;#ASMSTART
	v_dot2_f32_f16 v110, v123, v13, v110
	;;#ASMEND
	;;#ASMSTART
	v_dot2_f32_f16 v110, v124, v14, v110
	;;#ASMEND
	;;#ASMSTART
	v_dot2_f32_f16 v110, v125, v15, v110
	;;#ASMEND
	;;#ASMSTART
	v_dot2_f32_f16 v75, v122, v16, v75
	;;#ASMEND
	;;#ASMSTART
	v_dot2_f32_f16 v75, v123, v17, v75
	;;#ASMEND
	;;#ASMSTART
	v_dot2_f32_f16 v75, v124, v18, v75
	;;#ASMEND
	;;#ASMSTART
	v_dot2_f32_f16 v75, v125, v19, v75
	;;#ASMEND
	ds_load_b128 v[0:3], v62 offset:16
	ds_load_b128 v[4:7], v20 offset:16
	;; [unrolled: 1-line block ×8, first 2 shown]
	s_wait_dscnt 0x6
	;;#ASMSTART
	v_dot2_f32_f16 v72, v0, v4, v72
	;;#ASMEND
	;;#ASMSTART
	v_dot2_f32_f16 v72, v1, v5, v72
	;;#ASMEND
	;;#ASMSTART
	v_dot2_f32_f16 v72, v2, v6, v72
	;;#ASMEND
	;;#ASMSTART
	v_dot2_f32_f16 v72, v3, v7, v72
	;;#ASMEND
	s_wait_dscnt 0x5
	;;#ASMSTART
	v_dot2_f32_f16 v51, v0, v8, v51
	;;#ASMEND
	;;#ASMSTART
	v_dot2_f32_f16 v51, v1, v9, v51
	;;#ASMEND
	;;#ASMSTART
	v_dot2_f32_f16 v51, v2, v10, v51
	;;#ASMEND
	;;#ASMSTART
	v_dot2_f32_f16 v51, v3, v11, v51
	;;#ASMEND
	;; [unrolled: 13-line block ×5, first 2 shown]
	;;#ASMSTART
	v_dot2_f32_f16 v73, v114, v8, v73
	;;#ASMEND
	;;#ASMSTART
	v_dot2_f32_f16 v73, v115, v9, v73
	;;#ASMEND
	;; [unrolled: 3-line block ×12, first 2 shown]
	s_wait_dscnt 0x1
	;;#ASMSTART
	v_dot2_f32_f16 v111, v118, v4, v111
	;;#ASMEND
	;;#ASMSTART
	v_dot2_f32_f16 v111, v119, v5, v111
	;;#ASMEND
	;; [unrolled: 3-line block ×16, first 2 shown]
	s_wait_dscnt 0x0
	;;#ASMSTART
	v_dot2_f32_f16 v113, v122, v4, v113
	;;#ASMEND
	;;#ASMSTART
	v_dot2_f32_f16 v113, v123, v5, v113
	;;#ASMEND
	;; [unrolled: 3-line block ×16, first 2 shown]
	ds_load_b128 v[0:3], v62 offset:32
	ds_load_b128 v[4:7], v20 offset:32
	ds_load_b128 v[8:11], v20 offset:1184
	ds_load_b128 v[12:15], v20 offset:2336
	ds_load_b128 v[16:19], v20 offset:3488
	ds_load_b128 v[114:117], v62 offset:4640
	ds_load_b128 v[118:121], v62 offset:9248
	ds_load_b128 v[122:125], v62 offset:13856
	s_wait_dscnt 0x6
	;;#ASMSTART
	v_dot2_f32_f16 v72, v0, v4, v72
	;;#ASMEND
	;;#ASMSTART
	v_dot2_f32_f16 v72, v1, v5, v72
	;;#ASMEND
	;;#ASMSTART
	v_dot2_f32_f16 v72, v2, v6, v72
	;;#ASMEND
	;;#ASMSTART
	v_dot2_f32_f16 v72, v3, v7, v72
	;;#ASMEND
	s_wait_dscnt 0x5
	;;#ASMSTART
	v_dot2_f32_f16 v51, v0, v8, v51
	;;#ASMEND
	;;#ASMSTART
	v_dot2_f32_f16 v51, v1, v9, v51
	;;#ASMEND
	;;#ASMSTART
	v_dot2_f32_f16 v51, v2, v10, v51
	;;#ASMEND
	;;#ASMSTART
	v_dot2_f32_f16 v51, v3, v11, v51
	;;#ASMEND
	;; [unrolled: 13-line block ×5, first 2 shown]
	;;#ASMSTART
	v_dot2_f32_f16 v73, v114, v8, v73
	;;#ASMEND
	;;#ASMSTART
	v_dot2_f32_f16 v73, v115, v9, v73
	;;#ASMEND
	;;#ASMSTART
	v_dot2_f32_f16 v73, v116, v10, v73
	;;#ASMEND
	;;#ASMSTART
	v_dot2_f32_f16 v73, v117, v11, v73
	;;#ASMEND
	;;#ASMSTART
	v_dot2_f32_f16 v70, v114, v12, v70
	;;#ASMEND
	;;#ASMSTART
	v_dot2_f32_f16 v70, v115, v13, v70
	;;#ASMEND
	;;#ASMSTART
	v_dot2_f32_f16 v70, v116, v14, v70
	;;#ASMEND
	;;#ASMSTART
	v_dot2_f32_f16 v70, v117, v15, v70
	;;#ASMEND
	;;#ASMSTART
	v_dot2_f32_f16 v50, v114, v16, v50
	;;#ASMEND
	;;#ASMSTART
	v_dot2_f32_f16 v50, v115, v17, v50
	;;#ASMEND
	;;#ASMSTART
	v_dot2_f32_f16 v50, v116, v18, v50
	;;#ASMEND
	;;#ASMSTART
	v_dot2_f32_f16 v50, v117, v19, v50
	;;#ASMEND
	s_wait_dscnt 0x1
	;;#ASMSTART
	v_dot2_f32_f16 v111, v118, v4, v111
	;;#ASMEND
	;;#ASMSTART
	v_dot2_f32_f16 v111, v119, v5, v111
	;;#ASMEND
	;; [unrolled: 3-line block ×16, first 2 shown]
	s_wait_dscnt 0x0
	;;#ASMSTART
	v_dot2_f32_f16 v113, v122, v4, v113
	;;#ASMEND
	;;#ASMSTART
	v_dot2_f32_f16 v113, v123, v5, v113
	;;#ASMEND
	;;#ASMSTART
	v_dot2_f32_f16 v113, v124, v6, v113
	;;#ASMEND
	;;#ASMSTART
	v_dot2_f32_f16 v113, v125, v7, v113
	;;#ASMEND
	;;#ASMSTART
	v_dot2_f32_f16 v112, v122, v8, v112
	;;#ASMEND
	;;#ASMSTART
	v_dot2_f32_f16 v112, v123, v9, v112
	;;#ASMEND
	;;#ASMSTART
	v_dot2_f32_f16 v112, v124, v10, v112
	;;#ASMEND
	;;#ASMSTART
	v_dot2_f32_f16 v112, v125, v11, v112
	;;#ASMEND
	;;#ASMSTART
	v_dot2_f32_f16 v110, v122, v12, v110
	;;#ASMEND
	;;#ASMSTART
	v_dot2_f32_f16 v110, v123, v13, v110
	;;#ASMEND
	;;#ASMSTART
	v_dot2_f32_f16 v110, v124, v14, v110
	;;#ASMEND
	;;#ASMSTART
	v_dot2_f32_f16 v110, v125, v15, v110
	;;#ASMEND
	;;#ASMSTART
	v_dot2_f32_f16 v75, v122, v16, v75
	;;#ASMEND
	;;#ASMSTART
	v_dot2_f32_f16 v75, v123, v17, v75
	;;#ASMEND
	;;#ASMSTART
	v_dot2_f32_f16 v75, v124, v18, v75
	;;#ASMEND
	;;#ASMSTART
	v_dot2_f32_f16 v75, v125, v19, v75
	;;#ASMEND
	ds_load_b128 v[0:3], v62 offset:48
	ds_load_b128 v[4:7], v20 offset:48
	ds_load_b128 v[8:11], v20 offset:1200
	ds_load_b128 v[12:15], v20 offset:2352
	ds_load_b128 v[16:19], v20 offset:3504
	ds_load_b128 v[114:117], v62 offset:4656
	ds_load_b128 v[118:121], v62 offset:9264
	ds_load_b128 v[122:125], v62 offset:13872
	s_wait_dscnt 0x6
	;;#ASMSTART
	v_dot2_f32_f16 v72, v0, v4, v72
	;;#ASMEND
	;;#ASMSTART
	v_dot2_f32_f16 v72, v1, v5, v72
	;;#ASMEND
	;;#ASMSTART
	v_dot2_f32_f16 v72, v2, v6, v72
	;;#ASMEND
	;;#ASMSTART
	v_dot2_f32_f16 v72, v3, v7, v72
	;;#ASMEND
	s_wait_dscnt 0x5
	;;#ASMSTART
	v_dot2_f32_f16 v51, v0, v8, v51
	;;#ASMEND
	;;#ASMSTART
	v_dot2_f32_f16 v51, v1, v9, v51
	;;#ASMEND
	;;#ASMSTART
	v_dot2_f32_f16 v51, v2, v10, v51
	;;#ASMEND
	;;#ASMSTART
	v_dot2_f32_f16 v51, v3, v11, v51
	;;#ASMEND
	;; [unrolled: 13-line block ×5, first 2 shown]
	;;#ASMSTART
	v_dot2_f32_f16 v73, v114, v8, v73
	;;#ASMEND
	;;#ASMSTART
	v_dot2_f32_f16 v73, v115, v9, v73
	;;#ASMEND
	;; [unrolled: 3-line block ×12, first 2 shown]
	s_wait_dscnt 0x1
	;;#ASMSTART
	v_dot2_f32_f16 v111, v118, v4, v111
	;;#ASMEND
	;;#ASMSTART
	v_dot2_f32_f16 v111, v119, v5, v111
	;;#ASMEND
	;; [unrolled: 3-line block ×16, first 2 shown]
	s_wait_dscnt 0x0
	;;#ASMSTART
	v_dot2_f32_f16 v113, v122, v4, v113
	;;#ASMEND
	;;#ASMSTART
	v_dot2_f32_f16 v113, v123, v5, v113
	;;#ASMEND
	;; [unrolled: 3-line block ×16, first 2 shown]
	ds_load_b128 v[0:3], v62 offset:64
	ds_load_b128 v[4:7], v20 offset:64
	;; [unrolled: 1-line block ×8, first 2 shown]
	s_wait_dscnt 0x6
	;;#ASMSTART
	v_dot2_f32_f16 v72, v0, v4, v72
	;;#ASMEND
	;;#ASMSTART
	v_dot2_f32_f16 v72, v1, v5, v72
	;;#ASMEND
	;;#ASMSTART
	v_dot2_f32_f16 v72, v2, v6, v72
	;;#ASMEND
	;;#ASMSTART
	v_dot2_f32_f16 v72, v3, v7, v72
	;;#ASMEND
	s_wait_dscnt 0x5
	;;#ASMSTART
	v_dot2_f32_f16 v51, v0, v8, v51
	;;#ASMEND
	;;#ASMSTART
	v_dot2_f32_f16 v51, v1, v9, v51
	;;#ASMEND
	;;#ASMSTART
	v_dot2_f32_f16 v51, v2, v10, v51
	;;#ASMEND
	;;#ASMSTART
	v_dot2_f32_f16 v51, v3, v11, v51
	;;#ASMEND
	;; [unrolled: 13-line block ×5, first 2 shown]
	;;#ASMSTART
	v_dot2_f32_f16 v73, v114, v8, v73
	;;#ASMEND
	;;#ASMSTART
	v_dot2_f32_f16 v73, v115, v9, v73
	;;#ASMEND
	;; [unrolled: 3-line block ×12, first 2 shown]
	s_wait_dscnt 0x1
	;;#ASMSTART
	v_dot2_f32_f16 v111, v118, v4, v111
	;;#ASMEND
	;;#ASMSTART
	v_dot2_f32_f16 v111, v119, v5, v111
	;;#ASMEND
	;; [unrolled: 3-line block ×16, first 2 shown]
	s_wait_dscnt 0x0
	;;#ASMSTART
	v_dot2_f32_f16 v113, v122, v4, v113
	;;#ASMEND
	;;#ASMSTART
	v_dot2_f32_f16 v113, v123, v5, v113
	;;#ASMEND
	;; [unrolled: 3-line block ×16, first 2 shown]
	ds_load_b128 v[0:3], v62 offset:80
	ds_load_b128 v[4:7], v20 offset:80
	;; [unrolled: 1-line block ×8, first 2 shown]
	s_wait_dscnt 0x6
	;;#ASMSTART
	v_dot2_f32_f16 v72, v0, v4, v72
	;;#ASMEND
	;;#ASMSTART
	v_dot2_f32_f16 v72, v1, v5, v72
	;;#ASMEND
	;;#ASMSTART
	v_dot2_f32_f16 v72, v2, v6, v72
	;;#ASMEND
	;;#ASMSTART
	v_dot2_f32_f16 v72, v3, v7, v72
	;;#ASMEND
	s_wait_dscnt 0x5
	;;#ASMSTART
	v_dot2_f32_f16 v51, v0, v8, v51
	;;#ASMEND
	;;#ASMSTART
	v_dot2_f32_f16 v51, v1, v9, v51
	;;#ASMEND
	;;#ASMSTART
	v_dot2_f32_f16 v51, v2, v10, v51
	;;#ASMEND
	;;#ASMSTART
	v_dot2_f32_f16 v51, v3, v11, v51
	;;#ASMEND
	;; [unrolled: 13-line block ×5, first 2 shown]
	;;#ASMSTART
	v_dot2_f32_f16 v73, v114, v8, v73
	;;#ASMEND
	;;#ASMSTART
	v_dot2_f32_f16 v73, v115, v9, v73
	;;#ASMEND
	;; [unrolled: 3-line block ×12, first 2 shown]
	s_wait_dscnt 0x1
	;;#ASMSTART
	v_dot2_f32_f16 v111, v118, v4, v111
	;;#ASMEND
	;;#ASMSTART
	v_dot2_f32_f16 v111, v119, v5, v111
	;;#ASMEND
	;; [unrolled: 3-line block ×16, first 2 shown]
	s_wait_dscnt 0x0
	;;#ASMSTART
	v_dot2_f32_f16 v113, v122, v4, v113
	;;#ASMEND
	;;#ASMSTART
	v_dot2_f32_f16 v113, v123, v5, v113
	;;#ASMEND
	;; [unrolled: 3-line block ×16, first 2 shown]
	ds_load_b128 v[16:19], v62 offset:96
	ds_load_b128 v[0:3], v20 offset:96
	;; [unrolled: 1-line block ×8, first 2 shown]
	s_wait_dscnt 0x6
	;;#ASMSTART
	v_dot2_f32_f16 v72, v16, v0, v72
	;;#ASMEND
	;;#ASMSTART
	v_dot2_f32_f16 v72, v17, v1, v72
	;;#ASMEND
	;;#ASMSTART
	v_dot2_f32_f16 v72, v18, v2, v72
	;;#ASMEND
	;;#ASMSTART
	v_dot2_f32_f16 v72, v19, v3, v72
	;;#ASMEND
	s_wait_dscnt 0x5
	;;#ASMSTART
	v_dot2_f32_f16 v51, v16, v4, v51
	;;#ASMEND
	;;#ASMSTART
	v_dot2_f32_f16 v51, v17, v5, v51
	;;#ASMEND
	;;#ASMSTART
	v_dot2_f32_f16 v51, v18, v6, v51
	;;#ASMEND
	;;#ASMSTART
	v_dot2_f32_f16 v51, v19, v7, v51
	;;#ASMEND
	;; [unrolled: 13-line block ×5, first 2 shown]
	;;#ASMSTART
	v_dot2_f32_f16 v73, v114, v4, v73
	;;#ASMEND
	;;#ASMSTART
	v_dot2_f32_f16 v73, v115, v5, v73
	;;#ASMEND
	;; [unrolled: 3-line block ×12, first 2 shown]
	s_wait_dscnt 0x1
	;;#ASMSTART
	v_dot2_f32_f16 v111, v118, v0, v111
	;;#ASMEND
	;;#ASMSTART
	v_dot2_f32_f16 v111, v119, v1, v111
	;;#ASMEND
	;; [unrolled: 3-line block ×16, first 2 shown]
	s_wait_dscnt 0x0
	;;#ASMSTART
	v_dot2_f32_f16 v113, v122, v0, v113
	;;#ASMEND
	;;#ASMSTART
	v_dot2_f32_f16 v113, v123, v1, v113
	;;#ASMEND
	;;#ASMSTART
	v_dot2_f32_f16 v113, v124, v2, v113
	;;#ASMEND
	;;#ASMSTART
	v_dot2_f32_f16 v113, v125, v3, v113
	;;#ASMEND
	;;#ASMSTART
	v_dot2_f32_f16 v112, v122, v4, v112
	;;#ASMEND
	;;#ASMSTART
	v_dot2_f32_f16 v112, v123, v5, v112
	;;#ASMEND
	;;#ASMSTART
	v_dot2_f32_f16 v112, v124, v6, v112
	;;#ASMEND
	;;#ASMSTART
	v_dot2_f32_f16 v112, v125, v7, v112
	;;#ASMEND
	;;#ASMSTART
	v_dot2_f32_f16 v110, v122, v8, v110
	;;#ASMEND
	;;#ASMSTART
	v_dot2_f32_f16 v110, v123, v9, v110
	;;#ASMEND
	;;#ASMSTART
	v_dot2_f32_f16 v110, v124, v10, v110
	;;#ASMEND
	;;#ASMSTART
	v_dot2_f32_f16 v110, v125, v11, v110
	;;#ASMEND
	;;#ASMSTART
	v_dot2_f32_f16 v75, v122, v12, v75
	;;#ASMEND
	;;#ASMSTART
	v_dot2_f32_f16 v75, v123, v13, v75
	;;#ASMEND
	;;#ASMSTART
	v_dot2_f32_f16 v75, v124, v14, v75
	;;#ASMEND
	;;#ASMSTART
	v_dot2_f32_f16 v75, v125, v15, v75
	;;#ASMEND
	ds_load_b128 v[0:3], v62 offset:112
	ds_load_b128 v[4:7], v20 offset:112
	s_lshr_b32 s10, s29, 1
	ds_load_b128 v[8:11], v20 offset:1264
	ds_load_b128 v[12:15], v20 offset:2416
	s_lshl_b64 s[36:37], s[10:11], 2
	ds_load_b128 v[16:19], v20 offset:3568
	s_add_nc_u64 s[36:37], s[26:27], s[36:37]
	s_cmp_gt_u32 s3, 0x17f
	v_add_nc_u64_e32 v[22:23], s[36:37], v[30:31]
	v_add_nc_u64_e32 v[114:115], s[36:37], v[34:35]
	;; [unrolled: 1-line block ×4, first 2 shown]
	s_mov_b32 s10, -1
	s_delay_alu instid0(VALU_DEP_4) | instskip(NEXT) | instid1(VALU_DEP_4)
	v_add_nc_u64_e32 v[122:123], v[22:23], v[32:33]
	v_add_nc_u64_e32 v[124:125], v[114:115], v[32:33]
	s_delay_alu instid0(VALU_DEP_4)
	v_add_nc_u64_e32 v[126:127], v[116:117], v[32:33]
	ds_load_b128 v[20:23], v62 offset:4720
	v_add_nc_u64_e32 v[128:129], v[118:119], v[32:33]
	ds_load_b128 v[114:117], v62 offset:9328
	ds_load_b128 v[118:121], v62 offset:13936
	s_wait_dscnt 0x6
	;;#ASMSTART
	v_dot2_f32_f16 v72, v0, v4, v72
	;;#ASMEND
	;;#ASMSTART
	v_dot2_f32_f16 v72, v1, v5, v72
	;;#ASMEND
	;;#ASMSTART
	v_dot2_f32_f16 v72, v2, v6, v72
	;;#ASMEND
	;;#ASMSTART
	v_dot2_f32_f16 v72, v3, v7, v72
	;;#ASMEND
	s_wait_dscnt 0x5
	;;#ASMSTART
	v_dot2_f32_f16 v51, v0, v8, v51
	;;#ASMEND
	;;#ASMSTART
	v_dot2_f32_f16 v51, v1, v9, v51
	;;#ASMEND
	;;#ASMSTART
	v_dot2_f32_f16 v51, v2, v10, v51
	;;#ASMEND
	;;#ASMSTART
	v_dot2_f32_f16 v51, v3, v11, v51
	;;#ASMEND
	;; [unrolled: 13-line block ×5, first 2 shown]
	;;#ASMSTART
	v_dot2_f32_f16 v73, v20, v8, v73
	;;#ASMEND
	;;#ASMSTART
	v_dot2_f32_f16 v73, v21, v9, v73
	;;#ASMEND
	;; [unrolled: 3-line block ×12, first 2 shown]
	s_wait_dscnt 0x1
	;;#ASMSTART
	v_dot2_f32_f16 v111, v114, v4, v111
	;;#ASMEND
	;;#ASMSTART
	v_dot2_f32_f16 v111, v115, v5, v111
	;;#ASMEND
	;; [unrolled: 3-line block ×16, first 2 shown]
	s_wait_dscnt 0x0
	;;#ASMSTART
	v_dot2_f32_f16 v113, v118, v4, v113
	;;#ASMEND
	;;#ASMSTART
	v_dot2_f32_f16 v113, v119, v5, v113
	;;#ASMEND
	;; [unrolled: 3-line block ×16, first 2 shown]
	s_barrier_signal -1
	s_barrier_wait -1
	s_clause 0x3
	global_load_b128 v[0:3], v[122:123], off
	global_load_b128 v[4:7], v[124:125], off
	;; [unrolled: 1-line block ×4, first 2 shown]
	v_lshl_add_u32 v12, s29, 1, v56
	s_wait_loadcnt 0x3
	ds_store_b128 v58, v[0:3]
	s_wait_loadcnt 0x2
	ds_store_b128 v59, v[4:7]
	;; [unrolled: 2-line block ×4, first 2 shown]
	s_wait_dscnt 0x0
	s_barrier_signal -1
	s_barrier_wait -1
	ds_load_b128 v[0:3], v62
	ds_load_b128 v[4:7], v12
	ds_load_b128 v[8:11], v12 offset:1152
	ds_load_b128 v[14:17], v12 offset:2304
	ds_load_b128 v[18:21], v12 offset:3456
	ds_load_b128 v[114:117], v62 offset:4608
	ds_load_b128 v[118:121], v62 offset:9216
	ds_load_b128 v[122:125], v62 offset:13824
	s_wait_dscnt 0x6
	;;#ASMSTART
	v_dot2_f32_f16 v72, v0, v4, v72
	;;#ASMEND
	;;#ASMSTART
	v_dot2_f32_f16 v72, v1, v5, v72
	;;#ASMEND
	;;#ASMSTART
	v_dot2_f32_f16 v72, v2, v6, v72
	;;#ASMEND
	;;#ASMSTART
	v_dot2_f32_f16 v72, v3, v7, v72
	;;#ASMEND
	s_wait_dscnt 0x5
	;;#ASMSTART
	v_dot2_f32_f16 v51, v0, v8, v51
	;;#ASMEND
	;;#ASMSTART
	v_dot2_f32_f16 v51, v1, v9, v51
	;;#ASMEND
	;;#ASMSTART
	v_dot2_f32_f16 v51, v2, v10, v51
	;;#ASMEND
	;;#ASMSTART
	v_dot2_f32_f16 v51, v3, v11, v51
	;;#ASMEND
	s_wait_dscnt 0x4
	;;#ASMSTART
	v_dot2_f32_f16 v49, v0, v14, v49
	;;#ASMEND
	;;#ASMSTART
	v_dot2_f32_f16 v49, v1, v15, v49
	;;#ASMEND
	;;#ASMSTART
	v_dot2_f32_f16 v49, v2, v16, v49
	;;#ASMEND
	;;#ASMSTART
	v_dot2_f32_f16 v49, v3, v17, v49
	;;#ASMEND
	s_wait_dscnt 0x3
	;;#ASMSTART
	v_dot2_f32_f16 v48, v0, v18, v48
	;;#ASMEND
	;;#ASMSTART
	v_dot2_f32_f16 v48, v1, v19, v48
	;;#ASMEND
	;;#ASMSTART
	v_dot2_f32_f16 v48, v2, v20, v48
	;;#ASMEND
	;;#ASMSTART
	v_dot2_f32_f16 v48, v3, v21, v48
	;;#ASMEND
	s_wait_dscnt 0x2
	;;#ASMSTART
	v_dot2_f32_f16 v108, v114, v4, v108
	;;#ASMEND
	;;#ASMSTART
	v_dot2_f32_f16 v108, v115, v5, v108
	;;#ASMEND
	;;#ASMSTART
	v_dot2_f32_f16 v108, v116, v6, v108
	;;#ASMEND
	;;#ASMSTART
	v_dot2_f32_f16 v108, v117, v7, v108
	;;#ASMEND
	;;#ASMSTART
	v_dot2_f32_f16 v73, v114, v8, v73
	;;#ASMEND
	;;#ASMSTART
	v_dot2_f32_f16 v73, v115, v9, v73
	;;#ASMEND
	;; [unrolled: 3-line block ×12, first 2 shown]
	s_wait_dscnt 0x1
	;;#ASMSTART
	v_dot2_f32_f16 v111, v118, v4, v111
	;;#ASMEND
	;;#ASMSTART
	v_dot2_f32_f16 v111, v119, v5, v111
	;;#ASMEND
	;; [unrolled: 3-line block ×16, first 2 shown]
	s_wait_dscnt 0x0
	;;#ASMSTART
	v_dot2_f32_f16 v113, v122, v4, v113
	;;#ASMEND
	;;#ASMSTART
	v_dot2_f32_f16 v113, v123, v5, v113
	;;#ASMEND
	;; [unrolled: 3-line block ×16, first 2 shown]
	ds_load_b128 v[0:3], v62 offset:16
	ds_load_b128 v[4:7], v12 offset:16
	;; [unrolled: 1-line block ×8, first 2 shown]
	s_wait_dscnt 0x6
	;;#ASMSTART
	v_dot2_f32_f16 v72, v0, v4, v72
	;;#ASMEND
	;;#ASMSTART
	v_dot2_f32_f16 v72, v1, v5, v72
	;;#ASMEND
	;;#ASMSTART
	v_dot2_f32_f16 v72, v2, v6, v72
	;;#ASMEND
	;;#ASMSTART
	v_dot2_f32_f16 v72, v3, v7, v72
	;;#ASMEND
	s_wait_dscnt 0x5
	;;#ASMSTART
	v_dot2_f32_f16 v51, v0, v8, v51
	;;#ASMEND
	;;#ASMSTART
	v_dot2_f32_f16 v51, v1, v9, v51
	;;#ASMEND
	;;#ASMSTART
	v_dot2_f32_f16 v51, v2, v10, v51
	;;#ASMEND
	;;#ASMSTART
	v_dot2_f32_f16 v51, v3, v11, v51
	;;#ASMEND
	;; [unrolled: 13-line block ×5, first 2 shown]
	;;#ASMSTART
	v_dot2_f32_f16 v73, v114, v8, v73
	;;#ASMEND
	;;#ASMSTART
	v_dot2_f32_f16 v73, v115, v9, v73
	;;#ASMEND
	;; [unrolled: 3-line block ×12, first 2 shown]
	s_wait_dscnt 0x1
	;;#ASMSTART
	v_dot2_f32_f16 v111, v118, v4, v111
	;;#ASMEND
	;;#ASMSTART
	v_dot2_f32_f16 v111, v119, v5, v111
	;;#ASMEND
	;; [unrolled: 3-line block ×16, first 2 shown]
	s_wait_dscnt 0x0
	;;#ASMSTART
	v_dot2_f32_f16 v113, v122, v4, v113
	;;#ASMEND
	;;#ASMSTART
	v_dot2_f32_f16 v113, v123, v5, v113
	;;#ASMEND
	;; [unrolled: 3-line block ×16, first 2 shown]
	ds_load_b128 v[0:3], v62 offset:32
	ds_load_b128 v[4:7], v12 offset:32
	ds_load_b128 v[8:11], v12 offset:1184
	ds_load_b128 v[14:17], v12 offset:2336
	ds_load_b128 v[18:21], v12 offset:3488
	ds_load_b128 v[114:117], v62 offset:4640
	ds_load_b128 v[118:121], v62 offset:9248
	ds_load_b128 v[122:125], v62 offset:13856
	s_wait_dscnt 0x6
	;;#ASMSTART
	v_dot2_f32_f16 v72, v0, v4, v72
	;;#ASMEND
	;;#ASMSTART
	v_dot2_f32_f16 v72, v1, v5, v72
	;;#ASMEND
	;;#ASMSTART
	v_dot2_f32_f16 v72, v2, v6, v72
	;;#ASMEND
	;;#ASMSTART
	v_dot2_f32_f16 v72, v3, v7, v72
	;;#ASMEND
	s_wait_dscnt 0x5
	;;#ASMSTART
	v_dot2_f32_f16 v51, v0, v8, v51
	;;#ASMEND
	;;#ASMSTART
	v_dot2_f32_f16 v51, v1, v9, v51
	;;#ASMEND
	;;#ASMSTART
	v_dot2_f32_f16 v51, v2, v10, v51
	;;#ASMEND
	;;#ASMSTART
	v_dot2_f32_f16 v51, v3, v11, v51
	;;#ASMEND
	;; [unrolled: 13-line block ×5, first 2 shown]
	;;#ASMSTART
	v_dot2_f32_f16 v73, v114, v8, v73
	;;#ASMEND
	;;#ASMSTART
	v_dot2_f32_f16 v73, v115, v9, v73
	;;#ASMEND
	;; [unrolled: 3-line block ×12, first 2 shown]
	s_wait_dscnt 0x1
	;;#ASMSTART
	v_dot2_f32_f16 v111, v118, v4, v111
	;;#ASMEND
	;;#ASMSTART
	v_dot2_f32_f16 v111, v119, v5, v111
	;;#ASMEND
	;; [unrolled: 3-line block ×16, first 2 shown]
	s_wait_dscnt 0x0
	;;#ASMSTART
	v_dot2_f32_f16 v113, v122, v4, v113
	;;#ASMEND
	;;#ASMSTART
	v_dot2_f32_f16 v113, v123, v5, v113
	;;#ASMEND
	;;#ASMSTART
	v_dot2_f32_f16 v113, v124, v6, v113
	;;#ASMEND
	;;#ASMSTART
	v_dot2_f32_f16 v113, v125, v7, v113
	;;#ASMEND
	;;#ASMSTART
	v_dot2_f32_f16 v112, v122, v8, v112
	;;#ASMEND
	;;#ASMSTART
	v_dot2_f32_f16 v112, v123, v9, v112
	;;#ASMEND
	;;#ASMSTART
	v_dot2_f32_f16 v112, v124, v10, v112
	;;#ASMEND
	;;#ASMSTART
	v_dot2_f32_f16 v112, v125, v11, v112
	;;#ASMEND
	;;#ASMSTART
	v_dot2_f32_f16 v110, v122, v14, v110
	;;#ASMEND
	;;#ASMSTART
	v_dot2_f32_f16 v110, v123, v15, v110
	;;#ASMEND
	;;#ASMSTART
	v_dot2_f32_f16 v110, v124, v16, v110
	;;#ASMEND
	;;#ASMSTART
	v_dot2_f32_f16 v110, v125, v17, v110
	;;#ASMEND
	;;#ASMSTART
	v_dot2_f32_f16 v75, v122, v18, v75
	;;#ASMEND
	;;#ASMSTART
	v_dot2_f32_f16 v75, v123, v19, v75
	;;#ASMEND
	;;#ASMSTART
	v_dot2_f32_f16 v75, v124, v20, v75
	;;#ASMEND
	;;#ASMSTART
	v_dot2_f32_f16 v75, v125, v21, v75
	;;#ASMEND
	ds_load_b128 v[0:3], v62 offset:48
	ds_load_b128 v[4:7], v12 offset:48
	;; [unrolled: 1-line block ×8, first 2 shown]
	s_wait_dscnt 0x6
	;;#ASMSTART
	v_dot2_f32_f16 v72, v0, v4, v72
	;;#ASMEND
	;;#ASMSTART
	v_dot2_f32_f16 v72, v1, v5, v72
	;;#ASMEND
	;;#ASMSTART
	v_dot2_f32_f16 v72, v2, v6, v72
	;;#ASMEND
	;;#ASMSTART
	v_dot2_f32_f16 v72, v3, v7, v72
	;;#ASMEND
	s_wait_dscnt 0x5
	;;#ASMSTART
	v_dot2_f32_f16 v51, v0, v8, v51
	;;#ASMEND
	;;#ASMSTART
	v_dot2_f32_f16 v51, v1, v9, v51
	;;#ASMEND
	;;#ASMSTART
	v_dot2_f32_f16 v51, v2, v10, v51
	;;#ASMEND
	;;#ASMSTART
	v_dot2_f32_f16 v51, v3, v11, v51
	;;#ASMEND
	;; [unrolled: 13-line block ×5, first 2 shown]
	;;#ASMSTART
	v_dot2_f32_f16 v73, v114, v8, v73
	;;#ASMEND
	;;#ASMSTART
	v_dot2_f32_f16 v73, v115, v9, v73
	;;#ASMEND
	;; [unrolled: 3-line block ×12, first 2 shown]
	s_wait_dscnt 0x1
	;;#ASMSTART
	v_dot2_f32_f16 v111, v118, v4, v111
	;;#ASMEND
	;;#ASMSTART
	v_dot2_f32_f16 v111, v119, v5, v111
	;;#ASMEND
	;; [unrolled: 3-line block ×16, first 2 shown]
	s_wait_dscnt 0x0
	;;#ASMSTART
	v_dot2_f32_f16 v113, v122, v4, v113
	;;#ASMEND
	;;#ASMSTART
	v_dot2_f32_f16 v113, v123, v5, v113
	;;#ASMEND
	;;#ASMSTART
	v_dot2_f32_f16 v113, v124, v6, v113
	;;#ASMEND
	;;#ASMSTART
	v_dot2_f32_f16 v113, v125, v7, v113
	;;#ASMEND
	;;#ASMSTART
	v_dot2_f32_f16 v112, v122, v8, v112
	;;#ASMEND
	;;#ASMSTART
	v_dot2_f32_f16 v112, v123, v9, v112
	;;#ASMEND
	;;#ASMSTART
	v_dot2_f32_f16 v112, v124, v10, v112
	;;#ASMEND
	;;#ASMSTART
	v_dot2_f32_f16 v112, v125, v11, v112
	;;#ASMEND
	;;#ASMSTART
	v_dot2_f32_f16 v110, v122, v14, v110
	;;#ASMEND
	;;#ASMSTART
	v_dot2_f32_f16 v110, v123, v15, v110
	;;#ASMEND
	;;#ASMSTART
	v_dot2_f32_f16 v110, v124, v16, v110
	;;#ASMEND
	;;#ASMSTART
	v_dot2_f32_f16 v110, v125, v17, v110
	;;#ASMEND
	;;#ASMSTART
	v_dot2_f32_f16 v75, v122, v18, v75
	;;#ASMEND
	;;#ASMSTART
	v_dot2_f32_f16 v75, v123, v19, v75
	;;#ASMEND
	;;#ASMSTART
	v_dot2_f32_f16 v75, v124, v20, v75
	;;#ASMEND
	;;#ASMSTART
	v_dot2_f32_f16 v75, v125, v21, v75
	;;#ASMEND
	ds_load_b128 v[0:3], v62 offset:64
	ds_load_b128 v[4:7], v12 offset:64
	;; [unrolled: 1-line block ×8, first 2 shown]
	s_wait_dscnt 0x6
	;;#ASMSTART
	v_dot2_f32_f16 v72, v0, v4, v72
	;;#ASMEND
	;;#ASMSTART
	v_dot2_f32_f16 v72, v1, v5, v72
	;;#ASMEND
	;;#ASMSTART
	v_dot2_f32_f16 v72, v2, v6, v72
	;;#ASMEND
	;;#ASMSTART
	v_dot2_f32_f16 v72, v3, v7, v72
	;;#ASMEND
	s_wait_dscnt 0x5
	;;#ASMSTART
	v_dot2_f32_f16 v51, v0, v8, v51
	;;#ASMEND
	;;#ASMSTART
	v_dot2_f32_f16 v51, v1, v9, v51
	;;#ASMEND
	;;#ASMSTART
	v_dot2_f32_f16 v51, v2, v10, v51
	;;#ASMEND
	;;#ASMSTART
	v_dot2_f32_f16 v51, v3, v11, v51
	;;#ASMEND
	;; [unrolled: 13-line block ×5, first 2 shown]
	;;#ASMSTART
	v_dot2_f32_f16 v73, v114, v8, v73
	;;#ASMEND
	;;#ASMSTART
	v_dot2_f32_f16 v73, v115, v9, v73
	;;#ASMEND
	;; [unrolled: 3-line block ×12, first 2 shown]
	s_wait_dscnt 0x1
	;;#ASMSTART
	v_dot2_f32_f16 v111, v118, v4, v111
	;;#ASMEND
	;;#ASMSTART
	v_dot2_f32_f16 v111, v119, v5, v111
	;;#ASMEND
	;; [unrolled: 3-line block ×16, first 2 shown]
	s_wait_dscnt 0x0
	;;#ASMSTART
	v_dot2_f32_f16 v113, v122, v4, v113
	;;#ASMEND
	;;#ASMSTART
	v_dot2_f32_f16 v113, v123, v5, v113
	;;#ASMEND
	;;#ASMSTART
	v_dot2_f32_f16 v113, v124, v6, v113
	;;#ASMEND
	;;#ASMSTART
	v_dot2_f32_f16 v113, v125, v7, v113
	;;#ASMEND
	;;#ASMSTART
	v_dot2_f32_f16 v112, v122, v8, v112
	;;#ASMEND
	;;#ASMSTART
	v_dot2_f32_f16 v112, v123, v9, v112
	;;#ASMEND
	;;#ASMSTART
	v_dot2_f32_f16 v112, v124, v10, v112
	;;#ASMEND
	;;#ASMSTART
	v_dot2_f32_f16 v112, v125, v11, v112
	;;#ASMEND
	;;#ASMSTART
	v_dot2_f32_f16 v110, v122, v14, v110
	;;#ASMEND
	;;#ASMSTART
	v_dot2_f32_f16 v110, v123, v15, v110
	;;#ASMEND
	;;#ASMSTART
	v_dot2_f32_f16 v110, v124, v16, v110
	;;#ASMEND
	;;#ASMSTART
	v_dot2_f32_f16 v110, v125, v17, v110
	;;#ASMEND
	;;#ASMSTART
	v_dot2_f32_f16 v75, v122, v18, v75
	;;#ASMEND
	;;#ASMSTART
	v_dot2_f32_f16 v75, v123, v19, v75
	;;#ASMEND
	;;#ASMSTART
	v_dot2_f32_f16 v75, v124, v20, v75
	;;#ASMEND
	;;#ASMSTART
	v_dot2_f32_f16 v75, v125, v21, v75
	;;#ASMEND
	ds_load_b128 v[0:3], v62 offset:80
	ds_load_b128 v[4:7], v12 offset:80
	;; [unrolled: 1-line block ×8, first 2 shown]
	s_wait_dscnt 0x6
	;;#ASMSTART
	v_dot2_f32_f16 v72, v0, v4, v72
	;;#ASMEND
	;;#ASMSTART
	v_dot2_f32_f16 v72, v1, v5, v72
	;;#ASMEND
	;;#ASMSTART
	v_dot2_f32_f16 v72, v2, v6, v72
	;;#ASMEND
	;;#ASMSTART
	v_dot2_f32_f16 v72, v3, v7, v72
	;;#ASMEND
	s_wait_dscnt 0x5
	;;#ASMSTART
	v_dot2_f32_f16 v51, v0, v8, v51
	;;#ASMEND
	;;#ASMSTART
	v_dot2_f32_f16 v51, v1, v9, v51
	;;#ASMEND
	;;#ASMSTART
	v_dot2_f32_f16 v51, v2, v10, v51
	;;#ASMEND
	;;#ASMSTART
	v_dot2_f32_f16 v51, v3, v11, v51
	;;#ASMEND
	;; [unrolled: 13-line block ×5, first 2 shown]
	;;#ASMSTART
	v_dot2_f32_f16 v73, v114, v8, v73
	;;#ASMEND
	;;#ASMSTART
	v_dot2_f32_f16 v73, v115, v9, v73
	;;#ASMEND
	;; [unrolled: 3-line block ×12, first 2 shown]
	s_wait_dscnt 0x1
	;;#ASMSTART
	v_dot2_f32_f16 v111, v118, v4, v111
	;;#ASMEND
	;;#ASMSTART
	v_dot2_f32_f16 v111, v119, v5, v111
	;;#ASMEND
	;; [unrolled: 3-line block ×16, first 2 shown]
	s_wait_dscnt 0x0
	;;#ASMSTART
	v_dot2_f32_f16 v113, v122, v4, v113
	;;#ASMEND
	;;#ASMSTART
	v_dot2_f32_f16 v113, v123, v5, v113
	;;#ASMEND
	;; [unrolled: 3-line block ×16, first 2 shown]
	ds_load_b128 v[0:3], v62 offset:96
	ds_load_b128 v[4:7], v12 offset:96
	;; [unrolled: 1-line block ×8, first 2 shown]
	s_wait_dscnt 0x6
	;;#ASMSTART
	v_dot2_f32_f16 v72, v0, v4, v72
	;;#ASMEND
	;;#ASMSTART
	v_dot2_f32_f16 v72, v1, v5, v72
	;;#ASMEND
	;;#ASMSTART
	v_dot2_f32_f16 v72, v2, v6, v72
	;;#ASMEND
	;;#ASMSTART
	v_dot2_f32_f16 v72, v3, v7, v72
	;;#ASMEND
	s_wait_dscnt 0x5
	;;#ASMSTART
	v_dot2_f32_f16 v51, v0, v8, v51
	;;#ASMEND
	;;#ASMSTART
	v_dot2_f32_f16 v51, v1, v9, v51
	;;#ASMEND
	;;#ASMSTART
	v_dot2_f32_f16 v51, v2, v10, v51
	;;#ASMEND
	;;#ASMSTART
	v_dot2_f32_f16 v51, v3, v11, v51
	;;#ASMEND
	;; [unrolled: 13-line block ×5, first 2 shown]
	;;#ASMSTART
	v_dot2_f32_f16 v73, v114, v8, v73
	;;#ASMEND
	;;#ASMSTART
	v_dot2_f32_f16 v73, v115, v9, v73
	;;#ASMEND
	;; [unrolled: 3-line block ×12, first 2 shown]
	s_wait_dscnt 0x1
	;;#ASMSTART
	v_dot2_f32_f16 v111, v118, v4, v111
	;;#ASMEND
	;;#ASMSTART
	v_dot2_f32_f16 v111, v119, v5, v111
	;;#ASMEND
	;; [unrolled: 3-line block ×16, first 2 shown]
	s_wait_dscnt 0x0
	;;#ASMSTART
	v_dot2_f32_f16 v113, v122, v4, v113
	;;#ASMEND
	;;#ASMSTART
	v_dot2_f32_f16 v113, v123, v5, v113
	;;#ASMEND
	;; [unrolled: 3-line block ×16, first 2 shown]
	ds_load_b128 v[16:19], v62 offset:112
	ds_load_b128 v[0:3], v12 offset:112
	;; [unrolled: 1-line block ×8, first 2 shown]
	s_wait_dscnt 0x6
	;;#ASMSTART
	v_dot2_f32_f16 v72, v16, v0, v72
	;;#ASMEND
	;;#ASMSTART
	v_dot2_f32_f16 v72, v17, v1, v72
	;;#ASMEND
	;;#ASMSTART
	v_dot2_f32_f16 v72, v18, v2, v72
	;;#ASMEND
	;;#ASMSTART
	v_dot2_f32_f16 v72, v19, v3, v72
	;;#ASMEND
	s_wait_dscnt 0x5
	;;#ASMSTART
	v_dot2_f32_f16 v51, v16, v4, v51
	;;#ASMEND
	;;#ASMSTART
	v_dot2_f32_f16 v51, v17, v5, v51
	;;#ASMEND
	;;#ASMSTART
	v_dot2_f32_f16 v51, v18, v6, v51
	;;#ASMEND
	;;#ASMSTART
	v_dot2_f32_f16 v51, v19, v7, v51
	;;#ASMEND
	;; [unrolled: 13-line block ×5, first 2 shown]
	;;#ASMSTART
	v_dot2_f32_f16 v73, v20, v4, v73
	;;#ASMEND
	;;#ASMSTART
	v_dot2_f32_f16 v73, v21, v5, v73
	;;#ASMEND
	;; [unrolled: 3-line block ×12, first 2 shown]
	s_wait_dscnt 0x1
	;;#ASMSTART
	v_dot2_f32_f16 v111, v114, v0, v111
	;;#ASMEND
	;;#ASMSTART
	v_dot2_f32_f16 v111, v115, v1, v111
	;;#ASMEND
	;; [unrolled: 3-line block ×16, first 2 shown]
	s_wait_dscnt 0x0
	;;#ASMSTART
	v_dot2_f32_f16 v113, v118, v0, v113
	;;#ASMEND
	;;#ASMSTART
	v_dot2_f32_f16 v113, v119, v1, v113
	;;#ASMEND
	;; [unrolled: 3-line block ×16, first 2 shown]
	s_cbranch_scc1 .LBB9_18
; %bb.20:                               ;   in Loop: Header=BB9_19 Depth=2
	s_barrier_signal -1
	s_barrier_wait -1
	s_addk_co_i32 s3, 0xc0
	s_mov_b32 s10, 0
	s_branch .LBB9_18
.LBB9_21:                               ;   in Loop: Header=BB9_17 Depth=1
	v_dual_add_nc_u32 v0, s4, v63 :: v_dual_lshlrev_b32 v28, 2, v54
	s_mul_u64 s[26:27], s[4:5], s[14:15]
	v_xor_b32_e32 v69, 16, v57
	s_lshl_b64 s[26:27], s[26:27], 2
	s_clause 0x3
	global_load_u16 v10, v0, s[34:35] scale_offset
	global_load_u16 v11, v0, s[34:35] offset:64 scale_offset
	global_load_u16 v12, v0, s[34:35] offset:128 scale_offset
	;; [unrolled: 1-line block ×3, first 2 shown]
	s_add_nc_u64 s[26:27], s[8:9], s[26:27]
	s_wait_loadcnt 0x0
	s_wait_xcnt 0x0
	v_add_nc_u64_e32 v[0:1], s[26:27], v[40:41]
	s_barrier_signal -1
	s_barrier_wait -1
	v_cmp_gt_i32_e32 vcc_lo, 32, v69
	v_add_nc_u32_e32 v122, v64, v55
	s_delay_alu instid0(VALU_DEP_3)
	v_add_nc_u64_e32 v[0:1], v[0:1], v[28:29]
	s_clause 0x1
	global_load_b128 v[2:5], v[0:1], off
	global_load_b128 v[6:9], v[0:1], off offset:512
	s_wait_xcnt 0x0
	v_cvt_f32_f16_e32 v1, v10
	v_cvt_f32_f16_e32 v10, v11
	v_cvt_f32_f16_e32 v11, v12
	v_cvt_f32_f16_e32 v12, v13
	v_cndmask_b32_e32 v0, v57, v69, vcc_lo
	v_add_f32_e32 v18, v72, v1
	s_delay_alu instid0(VALU_DEP_4) | instskip(NEXT) | instid1(VALU_DEP_4)
	v_dual_add_f32 v19, v108, v10 :: v_dual_add_f32 v20, v111, v11
	v_dual_add_f32 v21, v113, v12 :: v_dual_add_f32 v22, v51, v1
	;; [unrolled: 1-line block ×14, first 2 shown]
	v_add_f32_e32 v73, 0x40051340, v48
	v_max3_num_f32 v1, v44, v1, v10
	v_max3_num_f32 v13, v47, v13, v14
	;; [unrolled: 1-line block ×3, first 2 shown]
	v_dual_lshlrev_b32 v0, 2, v0 :: v_dual_bitop2_b32 v70, 8, v57 bitop3:0x14
	v_add_f32_e32 v10, 0x40051340, v113
	v_max3_num_f32 v17, v45, v73, v74
	v_max3_num_f32 v1, v1, v11, v12
	s_delay_alu instid0(VALU_DEP_4)
	v_cmp_gt_i32_e32 vcc_lo, 32, v70
	v_add_f32_e32 v75, 0x40051340, v112
	v_max3_num_f32 v11, v13, v15, v16
	v_max3_num_f32 v12, v14, v71, v72
	ds_bpermute_b32 v13, v0, v1
	v_cndmask_b32_e32 v16, v57, v70, vcc_lo
	v_max3_num_f32 v10, v17, v75, v10
	ds_bpermute_b32 v14, v0, v11
	ds_bpermute_b32 v15, v0, v12
	v_dual_lshlrev_b32 v16, 2, v16 :: v_dual_bitop2_b32 v72, 2, v57 bitop3:0x14
	ds_bpermute_b32 v0, v0, v10
	s_wait_dscnt 0x2
	v_dual_max_num_f32 v13, v13, v13 :: v_dual_max_num_f32 v14, v14, v14
	s_wait_dscnt 0x1
	s_delay_alu instid0(VALU_DEP_1) | instskip(SKIP_1) | instid1(VALU_DEP_2)
	v_dual_max_num_f32 v15, v15, v15 :: v_dual_max_num_f32 v1, v1, v13
	s_wait_dscnt 0x0
	v_dual_max_num_f32 v0, v0, v0 :: v_dual_max_num_f32 v11, v11, v14
	s_delay_alu instid0(VALU_DEP_1)
	v_dual_max_num_f32 v12, v12, v15 :: v_dual_max_num_f32 v0, v10, v0
	ds_bpermute_b32 v10, v16, v1
	ds_bpermute_b32 v13, v16, v11
	ds_bpermute_b32 v14, v16, v12
	v_xor_b32_e32 v71, 4, v57
	ds_bpermute_b32 v15, v16, v0
	s_wait_dscnt 0x3
	v_max_num_f32_e32 v10, v10, v10
	v_cmp_gt_i32_e32 vcc_lo, 32, v71
	s_wait_dscnt 0x1
	v_dual_max_num_f32 v13, v13, v13 :: v_dual_max_num_f32 v14, v14, v14
	s_wait_dscnt 0x0
	v_dual_max_num_f32 v15, v15, v15 :: v_dual_max_num_f32 v1, v1, v10
	s_delay_alu instid0(VALU_DEP_2) | instskip(NEXT) | instid1(VALU_DEP_3)
	v_dual_cndmask_b32 v16, v57, v71, vcc_lo :: v_dual_max_num_f32 v10, v11, v13
	v_max_num_f32_e32 v11, v12, v14
	s_delay_alu instid0(VALU_DEP_3) | instskip(SKIP_1) | instid1(VALU_DEP_4)
	v_max_num_f32_e32 v0, v0, v15
	v_cmp_gt_i32_e32 vcc_lo, 32, v72
	v_lshlrev_b32_e32 v16, 2, v16
	ds_bpermute_b32 v12, v16, v1
	ds_bpermute_b32 v13, v16, v10
	ds_bpermute_b32 v14, v16, v11
	ds_bpermute_b32 v15, v16, v0
	v_cndmask_b32_e32 v16, v57, v72, vcc_lo
	s_wait_dscnt 0x2
	v_dual_max_num_f32 v12, v12, v12 :: v_dual_max_num_f32 v13, v13, v13
	s_wait_dscnt 0x1
	s_delay_alu instid0(VALU_DEP_2) | instskip(SKIP_1) | instid1(VALU_DEP_2)
	v_dual_max_num_f32 v14, v14, v14 :: v_dual_lshlrev_b32 v16, 2, v16
	s_wait_dscnt 0x0
	v_dual_max_num_f32 v15, v15, v15 :: v_dual_max_num_f32 v12, v1, v12
	s_delay_alu instid0(VALU_DEP_2) | instskip(NEXT) | instid1(VALU_DEP_2)
	v_dual_max_num_f32 v10, v10, v13 :: v_dual_max_num_f32 v11, v11, v14
	v_max_num_f32_e32 v13, v0, v15
	ds_bpermute_b32 v14, v16, v12
	ds_bpermute_b32 v15, v16, v10
	;; [unrolled: 1-line block ×3, first 2 shown]
	v_xor_b32_e32 v73, 1, v57
	ds_bpermute_b32 v16, v16, v13
	v_add_nc_u64_e32 v[0:1], s[26:27], v[42:43]
	s_or_b32 s26, s4, 16
	s_delay_alu instid0(SALU_CYCLE_1) | instskip(NEXT) | instid1(SALU_CYCLE_1)
	s_ashr_i32 s27, s26, 31
	s_mul_u64 s[26:27], s[26:27], s[14:15]
	s_delay_alu instid0(VALU_DEP_1) | instskip(SKIP_1) | instid1(SALU_CYCLE_1)
	v_add_nc_u64_e32 v[0:1], v[0:1], v[28:29]
	s_lshl_b64 s[26:27], s[26:27], 2
	s_add_nc_u64 s[26:27], s[8:9], s[26:27]
	s_wait_dscnt 0x3
	v_max_num_f32_e32 v14, v14, v14
	v_cmp_gt_i32_e32 vcc_lo, 32, v73
	s_wait_dscnt 0x1
	v_dual_max_num_f32 v15, v15, v15 :: v_dual_max_num_f32 v17, v17, v17
	s_wait_dscnt 0x0
	v_max_num_f32_e32 v16, v16, v16
	v_dual_max_num_f32 v114, v12, v14 :: v_dual_cndmask_b32 v74, v57, v73, vcc_lo
	s_delay_alu instid0(VALU_DEP_3) | instskip(NEXT) | instid1(VALU_DEP_3)
	v_dual_max_num_f32 v115, v10, v15 :: v_dual_max_num_f32 v116, v11, v17
	v_max_num_f32_e32 v117, v13, v16
	s_clause 0x1
	global_load_b128 v[10:13], v[0:1], off
	global_load_b128 v[14:17], v[0:1], off offset:512
	v_lshlrev_b32_e32 v74, 2, v74
	s_wait_loadcnt 0x3
	ds_store_b128 v65, v[2:5]
	s_wait_loadcnt 0x2
	ds_store_b128 v66, v[6:9]
	ds_bpermute_b32 v118, v74, v114
	ds_bpermute_b32 v119, v74, v115
	;; [unrolled: 1-line block ×4, first 2 shown]
	v_add_nc_u32_e32 v75, 0x9000, v55
	v_add_nc_u32_e32 v74, 0x9800, v55
	s_wait_dscnt 0x2
	s_wait_xcnt 0x0
	v_dual_max_num_f32 v0, v118, v118 :: v_dual_max_num_f32 v1, v119, v119
	s_wait_dscnt 0x0
	v_dual_max_num_f32 v118, v120, v120 :: v_dual_max_num_f32 v119, v121, v121
	s_delay_alu instid0(VALU_DEP_2) | instskip(NEXT) | instid1(VALU_DEP_2)
	v_dual_max_num_f32 v0, v114, v0 :: v_dual_max_num_f32 v1, v115, v1
	v_dual_max_num_f32 v2, v116, v118 :: v_dual_max_num_f32 v3, v117, v119
	s_delay_alu instid0(VALU_DEP_2) | instskip(SKIP_1) | instid1(VALU_DEP_4)
	v_dual_sub_f32 v4, v18, v0 :: v_dual_sub_f32 v6, v19, v0
	v_dual_sub_f32 v7, v20, v0 :: v_dual_sub_f32 v8, v21, v0
	;; [unrolled: 1-line block ×4, first 2 shown]
	v_sub_f32_e32 v19, v51, v1
	v_dual_sub_f32 v23, v47, v1 :: v_dual_sub_f32 v47, v49, v2
	v_dual_sub_f32 v49, v109, v2 :: v_dual_sub_f32 v108, v111, v2
	v_sub_f32_e32 v109, v110, v2
	v_dual_sub_f32 v51, v50, v3 :: v_dual_sub_f32 v110, v112, v3
	v_dual_sub_f32 v112, v45, v3 :: v_dual_mul_f32 v45, 0x3fb8aa3b, v8
	v_dual_mul_f32 v20, 0x3fb8aa3b, v6 :: v_dual_mul_f32 v21, 0x3fb8aa3b, v7
	v_dual_mul_f32 v50, 0x3fb8aa3b, v44 :: v_dual_sub_f32 v111, v113, v3
	v_dual_mul_f32 v18, 0x3fb8aa3b, v4 :: v_dual_mul_f32 v113, 0x3fb8aa3b, v5
	v_dual_mul_f32 v114, 0x3fb8aa3b, v9 :: v_dual_mul_f32 v115, 0x3fb8aa3b, v19
	;; [unrolled: 1-line block ×3, first 2 shown]
	v_fma_f32 v133, 0x3fb8aa3b, v7, -v21
	v_rndne_f32_e32 v134, v21
	v_fma_f32 v135, 0x3fb8aa3b, v8, -v45
	v_fma_f32 v136, 0x3fb8aa3b, v44, -v50
	v_rndne_f32_e32 v151, v45
	v_rndne_f32_e32 v153, v50
	v_fma_f32 v137, 0x3fb8aa3b, v5, -v113
	v_fma_f32 v138, 0x3fb8aa3b, v9, -v114
	v_fma_f32 v139, 0x3fb8aa3b, v19, -v115
	v_fma_f32 v140, 0x3fb8aa3b, v22, -v116
	v_rndne_f32_e32 v154, v113
	v_rndne_f32_e32 v155, v114
	;; [unrolled: 1-line block ×3, first 2 shown]
	v_dual_fmac_f32 v133, 0x32a5705f, v7 :: v_dual_fmac_f32 v136, 0x32a5705f, v44
	v_dual_sub_f32 v21, v21, v134 :: v_dual_sub_f32 v50, v50, v153
	v_dual_fmac_f32 v135, 0x32a5705f, v8 :: v_dual_fmac_f32 v138, 0x32a5705f, v9
	v_sub_f32_e32 v45, v45, v151
	v_dual_mul_f32 v118, 0x3fb8aa3b, v47 :: v_dual_mul_f32 v119, 0x3fb8aa3b, v49
	s_delay_alu instid0(VALU_DEP_4) | instskip(NEXT) | instid1(VALU_DEP_3)
	v_dual_add_f32 v21, v21, v133 :: v_dual_sub_f32 v114, v114, v155
	v_dual_add_f32 v50, v50, v136 :: v_dual_add_f32 v45, v45, v135
	v_sub_f32_e32 v115, v115, v156
	s_delay_alu instid0(VALU_DEP_3)
	v_dual_fmac_f32 v137, 0x32a5705f, v5 :: v_dual_add_f32 v114, v114, v138
	v_dual_fmac_f32 v139, 0x32a5705f, v19 :: v_dual_fmac_f32 v140, 0x32a5705f, v22
	v_sub_f32_e32 v113, v113, v154
	v_fma_f32 v129, 0x3fb8aa3b, v4, -v18
	v_rndne_f32_e32 v130, v18
	v_fma_f32 v131, 0x3fb8aa3b, v6, -v20
	v_rndne_f32_e32 v132, v20
	v_fma_f32 v142, 0x3fb8aa3b, v47, -v118
	v_dual_add_f32 v115, v115, v139 :: v_dual_add_f32 v113, v113, v137
	v_dual_sub_f32 v46, v46, v2 :: v_dual_sub_f32 v48, v48, v3
	v_dual_fmac_f32 v129, 0x32a5705f, v4 :: v_dual_sub_f32 v18, v18, v130
	v_dual_fmac_f32 v131, 0x32a5705f, v6 :: v_dual_sub_f32 v20, v20, v132
	v_rndne_f32_e32 v157, v116
	v_fmac_f32_e32 v142, 0x32a5705f, v47
	v_exp_f32_e32 v113, v113
	v_cvt_i32_f32_e32 v154, v154
	v_dual_mul_f32 v123, 0x3fb8aa3b, v46 :: v_dual_mul_f32 v124, 0x3fb8aa3b, v48
	v_dual_mul_f32 v127, 0x3fb8aa3b, v111 :: v_dual_mul_f32 v128, 0x3fb8aa3b, v112
	v_fma_f32 v141, 0x3fb8aa3b, v23, -v117
	v_dual_add_f32 v18, v18, v129 :: v_dual_add_f32 v20, v20, v131
	v_rndne_f32_e32 v129, v117
	v_rndne_f32_e32 v131, v118
	s_delay_alu instid0(VALU_DEP_4)
	v_dual_sub_f32 v116, v116, v157 :: v_dual_fmac_f32 v141, 0x32a5705f, v23
	v_exp_f32_e32 v114, v114
	v_cvt_i32_f32_e32 v155, v155
	v_ldexp_f32 v113, v113, v154
	v_cmp_ngt_f32_e32 vcc_lo, 0xc2ce8ed0, v5
	v_dual_mul_f32 v125, 0x3fb8aa3b, v51 :: v_dual_mul_f32 v126, 0x3fb8aa3b, v110
	v_fma_f32 v146, 0x3fb8aa3b, v46, -v123
	v_fma_f32 v147, 0x3fb8aa3b, v48, -v124
	;; [unrolled: 1-line block ×3, first 2 shown]
	v_rndne_f32_e32 v137, v123
	v_rndne_f32_e32 v138, v124
	v_dual_sub_f32 v117, v117, v129 :: v_dual_sub_f32 v118, v118, v131
	v_add_f32_e32 v116, v116, v140
	v_exp_f32_e32 v115, v115
	v_cvt_i32_f32_e32 v156, v156
	v_ldexp_f32 v114, v114, v155
	v_cndmask_b32_e32 v113, 0, v113, vcc_lo
	v_cmp_ngt_f32_e32 vcc_lo, 0xc2ce8ed0, v9
	v_fma_f32 v143, 0x3fb8aa3b, v49, -v119
	v_fma_f32 v150, 0x3fb8aa3b, v111, -v127
	v_rndne_f32_e32 v133, v119
	v_rndne_f32_e32 v139, v125
	;; [unrolled: 1-line block ×3, first 2 shown]
	v_add_f32_e32 v117, v117, v141
	v_rndne_f32_e32 v141, v127
	v_dual_add_f32 v118, v118, v142 :: v_dual_fmac_f32 v143, 0x32a5705f, v49
	v_rndne_f32_e32 v142, v128
	v_dual_fmac_f32 v146, 0x32a5705f, v46 :: v_dual_fmac_f32 v147, 0x32a5705f, v48
	v_dual_fmac_f32 v152, 0x32a5705f, v112 :: v_dual_sub_f32 v123, v123, v137
	v_sub_f32_e32 v124, v124, v138
	v_exp_f32_e32 v116, v116
	v_cvt_i32_f32_e32 v157, v157
	v_ldexp_f32 v115, v115, v156
	v_cndmask_b32_e32 v114, 0, v114, vcc_lo
	v_cmp_ngt_f32_e32 vcc_lo, 0xc2ce8ed0, v19
	v_fma_f32 v148, 0x3fb8aa3b, v51, -v125
	v_fma_f32 v149, 0x3fb8aa3b, v110, -v126
	v_dual_fmac_f32 v150, 0x32a5705f, v111 :: v_dual_sub_f32 v119, v119, v133
	v_dual_sub_f32 v125, v125, v139 :: v_dual_sub_f32 v126, v126, v140
	v_dual_sub_f32 v127, v127, v141 :: v_dual_sub_f32 v128, v128, v142
	s_delay_alu instid0(VALU_DEP_3)
	v_add_f32_e32 v119, v119, v143
	v_dual_add_f32 v123, v123, v146 :: v_dual_add_f32 v124, v124, v147
	v_exp_f32_e32 v117, v117
	v_cvt_i32_f32_e32 v129, v129
	v_ldexp_f32 v116, v116, v157
	v_cndmask_b32_e32 v115, 0, v115, vcc_lo
	v_cmp_ngt_f32_e32 vcc_lo, 0xc2ce8ed0, v22
	v_dual_add_f32 v127, v127, v150 :: v_dual_add_f32 v128, v128, v152
	v_exp_f32_e32 v124, v124
	v_cvt_i32_f32_e32 v138, v138
	v_ldexp_f32 v117, v117, v129
	v_cndmask_b32_e32 v116, 0, v116, vcc_lo
	v_cmp_ngt_f32_e32 vcc_lo, 0xc2ce8ed0, v23
	v_exp_f32_e32 v128, v128
	v_cvt_i32_f32_e32 v142, v142
	v_ldexp_f32 v124, v124, v138
	v_exp_f32_e32 v18, v18
	v_cndmask_b32_e32 v117, 0, v117, vcc_lo
	v_cmp_ngt_f32_e32 vcc_lo, 0xc2ce8ed0, v48
	v_cvt_i32_f32_e32 v130, v130
	v_ldexp_f32 v128, v128, v142
	v_exp_f32_e32 v20, v20
	v_cvt_i32_f32_e32 v132, v132
	v_cndmask_b32_e32 v124, 0, v124, vcc_lo
	v_cmp_ngt_f32_e32 vcc_lo, 0xc2ce8ed0, v112
	v_ldexp_f32 v18, v18, v130
	v_exp_f32_e32 v21, v21
	v_cvt_i32_f32_e32 v134, v134
	v_ldexp_f32 v20, v20, v132
	v_cndmask_b32_e32 v128, 0, v128, vcc_lo
	v_cmp_ngt_f32_e32 vcc_lo, 0xc2ce8ed0, v4
	v_exp_f32_e32 v45, v45
	v_cvt_i32_f32_e32 v151, v151
	v_ldexp_f32 v21, v21, v134
	v_dual_mul_f32 v120, 0x3fb8aa3b, v108 :: v_dual_mul_f32 v121, 0x3fb8aa3b, v109
	v_cndmask_b32_e32 v18, 0, v18, vcc_lo
	v_cmp_ngt_f32_e32 vcc_lo, 0xc2ce8ed0, v6
	v_exp_f32_e32 v50, v50
	v_cvt_i32_f32_e32 v153, v153
	v_ldexp_f32 v45, v45, v151
	v_fma_f32 v144, 0x3fb8aa3b, v108, -v120
	v_cndmask_b32_e32 v20, 0, v20, vcc_lo
	v_cmp_ngt_f32_e32 vcc_lo, 0xc2ce8ed0, v7
	v_rndne_f32_e32 v135, v120
	v_dual_fmac_f32 v148, 0x32a5705f, v51 :: v_dual_fmac_f32 v149, 0x32a5705f, v110
	v_exp_f32_e32 v118, v118
	v_cndmask_b32_e32 v129, 0, v21, vcc_lo
	v_cmp_ngt_f32_e32 vcc_lo, 0xc2ce8ed0, v8
	v_cvt_i32_f32_e32 v131, v131
	v_ldexp_f32 v50, v50, v153
	v_fma_f32 v145, 0x3fb8aa3b, v109, -v121
	v_rndne_f32_e32 v136, v121
	v_cndmask_b32_e32 v45, 0, v45, vcc_lo
	v_cmp_ngt_f32_e32 vcc_lo, 0xc2ce8ed0, v44
	s_delay_alu instid0(VALU_DEP_4) | instskip(NEXT) | instid1(VALU_DEP_4)
	v_dual_fmac_f32 v144, 0x32a5705f, v108 :: v_dual_fmac_f32 v145, 0x32a5705f, v109
	v_dual_sub_f32 v120, v120, v135 :: v_dual_sub_f32 v121, v121, v136
	v_dual_add_f32 v125, v125, v148 :: v_dual_add_f32 v126, v126, v149
	v_exp_f32_e32 v119, v119
	v_cvt_i32_f32_e32 v133, v133
	v_ldexp_f32 v118, v118, v131
	v_cndmask_b32_e32 v50, 0, v50, vcc_lo
	v_cmp_ngt_f32_e32 vcc_lo, 0xc2ce8ed0, v47
	v_dual_add_f32 v120, v120, v144 :: v_dual_add_f32 v121, v121, v145
	v_exp_f32_e32 v125, v125
	v_cvt_i32_f32_e32 v139, v139
	v_ldexp_f32 v119, v119, v133
	v_cndmask_b32_e32 v118, 0, v118, vcc_lo
	v_cmp_ngt_f32_e32 vcc_lo, 0xc2ce8ed0, v49
	v_exp_f32_e32 v120, v120
	v_cvt_i32_f32_e32 v135, v135
	v_ldexp_f32 v125, v125, v139
	v_exp_f32_e32 v121, v121
	v_cndmask_b32_e32 v119, 0, v119, vcc_lo
	v_cmp_ngt_f32_e32 vcc_lo, 0xc2ce8ed0, v51
	v_cvt_i32_f32_e32 v136, v136
	v_ldexp_f32 v120, v120, v135
	v_exp_f32_e32 v126, v126
	v_cvt_i32_f32_e32 v140, v140
	v_cndmask_b32_e32 v125, 0, v125, vcc_lo
	v_cmp_ngt_f32_e32 vcc_lo, 0xc2ce8ed0, v108
	v_ldexp_f32 v121, v121, v136
	v_exp_f32_e32 v127, v127
	v_cvt_i32_f32_e32 v141, v141
	v_ldexp_f32 v126, v126, v140
	v_cndmask_b32_e32 v120, 0, v120, vcc_lo
	v_cmp_ngt_f32_e32 vcc_lo, 0xc2ce8ed0, v109
	v_exp_f32_e32 v123, v123
	v_cvt_i32_f32_e32 v137, v137
	v_ldexp_f32 v127, v127, v141
	v_cndmask_b32_e32 v121, 0, v121, vcc_lo
	v_cmp_ngt_f32_e32 vcc_lo, 0xc2ce8ed0, v110
	s_delay_alu instid0(TRANS32_DEP_1) | instid1(VALU_DEP_4)
	v_ldexp_f32 v123, v123, v137
	v_cndmask_b32_e32 v126, 0, v126, vcc_lo
	v_cmp_ngt_f32_e32 vcc_lo, 0xc2ce8ed0, v111
	v_cndmask_b32_e32 v127, 0, v127, vcc_lo
	v_cmp_ngt_f32_e32 vcc_lo, 0xc2ce8ed0, v46
	v_cndmask_b32_e32 v123, 0, v123, vcc_lo
	v_cmp_nlt_f32_e32 vcc_lo, 0x42b17218, v4
	v_cndmask_b32_e32 v4, 0x7f800000, v18, vcc_lo
	v_cmp_nlt_f32_e32 vcc_lo, 0x42b17218, v5
	;; [unrolled: 2-line block ×9, first 2 shown]
	s_delay_alu instid0(VALU_DEP_2) | instskip(SKIP_2) | instid1(VALU_DEP_2)
	v_cvt_pk_f16_f32 v114, v8, v9
	v_cndmask_b32_e32 v6, 0x7f800000, v50, vcc_lo
	v_cmp_nlt_f32_e32 vcc_lo, 0x42b17218, v23
	v_cvt_f16_f32_e32 v116, v6
	v_cndmask_b32_e32 v7, 0x7f800000, v117, vcc_lo
	v_cmp_nlt_f32_e32 vcc_lo, 0x42b17218, v47
	s_delay_alu instid0(VALU_DEP_3) | instskip(NEXT) | instid1(VALU_DEP_3)
	v_and_b32_e32 v132, 0xffff, v116
	v_cvt_f16_f32_e32 v117, v7
	v_cndmask_b32_e32 v44, 0x7f800000, v118, vcc_lo
	v_cmp_nlt_f32_e32 vcc_lo, 0x42b17218, v48
	s_delay_alu instid0(VALU_DEP_4) | instskip(NEXT) | instid1(VALU_DEP_4)
	v_mul_u32_u24_e32 v132, 0x10001, v132
	v_and_b32_e32 v133, 0xffff, v117
	v_cndmask_b32_e32 v45, 0x7f800000, v124, vcc_lo
	v_cmp_nlt_f32_e32 vcc_lo, 0x42b17218, v49
	s_delay_alu instid0(VALU_DEP_4) | instskip(NEXT) | instid1(VALU_DEP_4)
	v_pk_mul_f16 v102, v102, v132
	v_mul_u32_u24_e32 v133, 0x10001, v133
	v_pk_mul_f16 v107, v107, v132
	v_pk_mul_f16 v104, v104, v132
	v_cndmask_b32_e32 v50, 0x7f800000, v119, vcc_lo
	v_cmp_nlt_f32_e32 vcc_lo, 0x42b17218, v51
	v_pk_mul_f16 v93, v93, v133
	v_pk_mul_f16 v96, v96, v133
	;; [unrolled: 1-line block ×4, first 2 shown]
	v_cndmask_b32_e32 v51, 0x7f800000, v125, vcc_lo
	v_cmp_nlt_f32_e32 vcc_lo, 0x42b17218, v108
	v_cvt_pk_f16_f32 v108, v4, v5
	v_pk_mul_f16 v99, v99, v133
	v_pk_mul_f16 v94, v94, v133
	;; [unrolled: 1-line block ×3, first 2 shown]
	v_cndmask_b32_e32 v48, 0x7f800000, v120, vcc_lo
	v_cmp_nlt_f32_e32 vcc_lo, 0x42b17218, v109
	v_cvt_pk_f16_f32 v109, v44, v45
	v_pk_mul_f16 v103, v103, v132
	v_pk_mul_f16 v101, v101, v132
	;; [unrolled: 1-line block ×3, first 2 shown]
	v_cndmask_b32_e32 v22, 0x7f800000, v121, vcc_lo
	v_cmp_nlt_f32_e32 vcc_lo, 0x42b17218, v110
	v_cvt_pk_f16_f32 v110, v20, v21
	v_pk_mul_f16 v105, v105, v132
	v_cndmask_b32_e32 v49, 0x7f800000, v126, vcc_lo
	v_cmp_nlt_f32_e32 vcc_lo, 0x42b17218, v111
	v_cvt_pk_f16_f32 v111, v50, v51
	s_delay_alu instid0(VALU_DEP_3) | instskip(SKIP_2) | instid1(VALU_DEP_2)
	v_cvt_pk_f16_f32 v113, v48, v49
	v_cndmask_b32_e32 v23, 0x7f800000, v127, vcc_lo
	v_cmp_nlt_f32_e32 vcc_lo, 0x42b17218, v46
	v_cvt_pk_f16_f32 v115, v22, v23
	v_cndmask_b32_e32 v46, 0x7f800000, v123, vcc_lo
	v_cmp_nlt_f32_e32 vcc_lo, 0x42b17218, v112
	v_cvt_pk_f16_f32 v112, v18, v19
	ds_store_2addr_b64 v122, v[108:109], v[110:111] offset1:32
	ds_store_2addr_b64 v122, v[112:113], v[114:115] offset0:64 offset1:96
	s_wait_loadcnt 0x1
	ds_store_b128 v67, v[10:13]
	s_wait_loadcnt 0x0
	ds_store_b128 v68, v[14:17]
	v_cndmask_b32_e32 v47, 0x7f800000, v128, vcc_lo
	v_cvt_f16_f32_e32 v118, v46
	s_wait_dscnt 0x0
	s_barrier_signal -1
	s_barrier_wait -1
	v_cvt_f16_f32_e32 v119, v47
	v_and_b32_e32 v134, 0xffff, v118
	s_delay_alu instid0(VALU_DEP_2)
	v_and_b32_e32 v128, 0xffff, v119
	ds_load_b128 v[10:13], v64
	ds_load_b128 v[14:17], v64 offset:16
	ds_load_2addr_b64 v[108:111], v75 offset0:64 offset1:96
	ds_load_2addr_b64 v[112:115], v75 offset1:32
	ds_load_2addr_b64 v[116:119], v75 offset0:192 offset1:224
	ds_load_2addr_b64 v[120:123], v75 offset0:128 offset1:160
	ds_load_2addr_b64 v[124:127], v74 offset1:32
	v_mul_u32_u24_e32 v134, 0x10001, v134
	v_mul_u32_u24_e32 v135, 0x10001, v128
	ds_load_2addr_b64 v[128:131], v74 offset0:64 offset1:96
	v_pk_mul_f16 v85, v85, v134
	v_pk_mul_f16 v88, v88, v134
	;; [unrolled: 1-line block ×11, first 2 shown]
	s_wait_dscnt 0x7
	v_and_b32_e32 v135, 0xffff, v10
	v_lshrrev_b32_e32 v10, 16, v10
	v_and_b32_e32 v136, 0xffff, v11
	v_lshrrev_b32_e32 v11, 16, v11
	s_wait_dscnt 0x6
	v_and_b32_e32 v140, 0xffff, v15
	v_lshrrev_b32_e32 v15, 16, v15
	v_mul_u32_u24_e32 v135, 0x10001, v135
	v_mul_u32_u24_e32 v10, 0x10001, v10
	v_mul_u32_u24_e32 v136, 0x10001, v136
	v_and_b32_e32 v137, 0xffff, v12
	v_lshrrev_b32_e32 v12, 16, v12
	v_and_b32_e32 v138, 0xffff, v13
	v_lshrrev_b32_e32 v13, 16, v13
	v_mul_u32_u24_e32 v11, 0x10001, v11
	v_mul_u32_u24_e32 v141, 0x10001, v15
	s_wait_dscnt 0x5
	v_pk_fma_f16 v15, v108, v135, v102
	v_pk_fma_f16 v93, v108, v10, v93
	;; [unrolled: 1-line block ×6, first 2 shown]
	s_wait_dscnt 0x4
	v_pk_fma_f16 v99, v113, v10, v99
	v_pk_fma_f16 v94, v114, v10, v94
	v_pk_fma_f16 v95, v115, v10, v95
	v_pk_mul_f16 v10, v112, v10
	v_pk_mul_f16 v107, v112, v136
	v_lshrrev_b32_e32 v139, 16, v14
	v_and_b32_e32 v14, 0xffff, v14
	v_mul_u32_u24_e32 v137, 0x10001, v137
	v_mul_u32_u24_e32 v12, 0x10001, v12
	;; [unrolled: 1-line block ×4, first 2 shown]
	v_pk_fma_f16 v76, v108, v11, v76
	v_pk_fma_f16 v79, v109, v11, v79
	;; [unrolled: 1-line block ×11, first 2 shown]
	v_mul_u32_u24_e32 v14, 0x10001, v14
	v_mul_u32_u24_e32 v139, 0x10001, v139
	;; [unrolled: 1-line block ×3, first 2 shown]
	v_pk_fma_f16 v103, v114, v135, v103
	v_pk_fma_f16 v101, v115, v135, v101
	v_pk_mul_f16 v104, v112, v135
	s_wait_dscnt 0x3
	v_pk_fma_f16 v93, v116, v12, v93
	v_pk_fma_f16 v76, v116, v13, v76
	;; [unrolled: 1-line block ×8, first 2 shown]
	s_wait_dscnt 0x2
	v_pk_fma_f16 v82, v120, v13, v82
	v_pk_fma_f16 v83, v121, v13, v83
	;; [unrolled: 1-line block ×15, first 2 shown]
	s_wait_dscnt 0x1
	v_pk_fma_f16 v84, v125, v14, v13
	v_pk_fma_f16 v101, v124, v139, v10
	v_pk_fma_f16 v103, v124, v140, v12
	v_pk_fma_f16 v104, v127, v141, v11
	ds_load_2addr_b64 v[10:13], v74 offset0:128 offset1:160
	v_pk_fma_f16 v15, v116, v137, v15
	v_pk_fma_f16 v102, v117, v137, v102
	;; [unrolled: 1-line block ×5, first 2 shown]
	v_pk_mul_f16 v90, v90, v134
	v_pk_mul_f16 v91, v91, v134
	v_pk_fma_f16 v85, v108, v136, v85
	v_pk_fma_f16 v78, v126, v14, v78
	;; [unrolled: 1-line block ×4, first 2 shown]
	s_wait_dscnt 0x1
	v_pk_fma_f16 v107, v128, v14, v15
	v_pk_fma_f16 v102, v129, v14, v102
	;; [unrolled: 1-line block ×5, first 2 shown]
	v_and_b32_e32 v14, 0xffff, v16
	v_lshrrev_b32_e32 v76, 16, v17
	v_pk_fma_f16 v88, v109, v136, v88
	v_pk_fma_f16 v89, v110, v136, v89
	;; [unrolled: 1-line block ×6, first 2 shown]
	v_lshrrev_b32_e32 v15, 16, v16
	v_and_b32_e32 v16, 0xffff, v17
	v_mul_u32_u24_e32 v80, 0x10001, v14
	v_mul_u32_u24_e32 v113, 0x10001, v76
	v_pk_mul_f16 v86, v86, v134
	v_pk_mul_f16 v87, v87, v134
	v_pk_fma_f16 v88, v117, v138, v88
	v_pk_fma_f16 v90, v119, v138, v90
	;; [unrolled: 1-line block ×3, first 2 shown]
	v_mul_u32_u24_e32 v111, 0x10001, v15
	v_mul_u32_u24_e32 v112, 0x10001, v16
	ds_load_2addr_b64 v[14:17], v74 offset0:192 offset1:224
	s_wait_dscnt 0x1
	v_pk_fma_f16 v117, v12, v80, v78
	v_pk_fma_f16 v119, v12, v113, v77
	ds_load_b128 v[76:79], v64 offset:32
	v_pk_fma_f16 v86, v114, v136, v86
	v_pk_fma_f16 v87, v115, v136, v87
	;; [unrolled: 1-line block ×35, first 2 shown]
	s_wait_dscnt 0x1
	v_pk_fma_f16 v107, v14, v80, v107
	v_pk_fma_f16 v93, v14, v111, v93
	;; [unrolled: 1-line block ×3, first 2 shown]
	v_add_nc_u32_e32 v10, 0xa000, v55
	v_pk_fma_f16 v96, v15, v111, v96
	v_pk_fma_f16 v97, v16, v111, v97
	;; [unrolled: 1-line block ×7, first 2 shown]
	ds_load_b128 v[12:15], v64 offset:48
	s_wait_dscnt 0x1
	v_and_b32_e32 v84, 0xffff, v76
	v_pk_fma_f16 v114, v131, v141, v81
	v_pk_fma_f16 v91, v11, v112, v91
	;; [unrolled: 1-line block ×5, first 2 shown]
	ds_load_2addr_b64 v[80:83], v10 offset1:32
	v_pk_fma_f16 v89, v16, v112, v89
	v_pk_fma_f16 v90, v17, v112, v90
	v_mul_u32_u24_e32 v112, 0x10001, v84
	ds_load_2addr_b64 v[84:87], v10 offset0:64 offset1:96
	v_pk_fma_f16 v16, v16, v113, v110
	v_lshrrev_b32_e32 v76, 16, v76
	v_and_b32_e32 v110, 0xffff, v77
	v_lshrrev_b32_e32 v77, 16, v77
	v_pk_fma_f16 v17, v17, v113, v114
	v_pk_add_f32 v[4:5], v[4:5], v[20:21]
	v_mul_u32_u24_e32 v76, 0x10001, v76
	v_mul_u32_u24_e32 v110, 0x10001, v110
	;; [unrolled: 1-line block ×3, first 2 shown]
	v_lshrrev_b32_e32 v77, 16, v78
	s_wait_dscnt 0x1
	v_pk_fma_f16 v100, v80, v112, v100
	v_pk_fma_f16 v101, v80, v76, v101
	;; [unrolled: 1-line block ×16, first 2 shown]
	s_wait_dscnt 0x0
	v_pk_fma_f16 v93, v84, v76, v93
	v_pk_fma_f16 v96, v85, v76, v96
	ds_load_2addr_b64 v[80:83], v10 offset0:128 offset1:160
	v_pk_fma_f16 v97, v86, v76, v97
	v_pk_fma_f16 v98, v87, v76, v98
	v_and_b32_e32 v76, 0xffff, v78
	v_pk_fma_f16 v107, v84, v112, v107
	v_pk_fma_f16 v102, v85, v112, v102
	;; [unrolled: 1-line block ×10, first 2 shown]
	v_and_b32_e32 v86, 0xffff, v79
	v_lshrrev_b32_e32 v108, 16, v79
	v_mul_u32_u24_e32 v109, 0x10001, v76
	v_mul_u32_u24_e32 v110, 0x10001, v77
	ds_load_2addr_b64 v[76:79], v10 offset0:192 offset1:224
	v_pk_fma_f16 v105, v87, v112, v105
	v_mul_u32_u24_e32 v108, 0x10001, v108
	v_mul_u32_u24_e32 v86, 0x10001, v86
	v_pk_fma_f16 v17, v87, v121, v17
	s_wait_dscnt 0x1
	v_pk_fma_f16 v100, v80, v109, v100
	v_pk_fma_f16 v101, v80, v110, v101
	;; [unrolled: 1-line block ×5, first 2 shown]
	v_add_nc_u32_e32 v11, 0xa800, v55
	v_pk_fma_f16 v103, v80, v86, v103
	v_pk_fma_f16 v99, v81, v110, v99
	;; [unrolled: 1-line block ×11, first 2 shown]
	s_wait_dscnt 0x0
	v_pk_fma_f16 v107, v76, v109, v107
	v_pk_fma_f16 v102, v77, v109, v102
	;; [unrolled: 1-line block ×6, first 2 shown]
	ds_load_2addr_b64 v[80:83], v11 offset1:32
	v_pk_fma_f16 v97, v78, v110, v97
	v_pk_fma_f16 v98, v79, v110, v98
	;; [unrolled: 1-line block ×8, first 2 shown]
	ds_load_2addr_b64 v[84:87], v11 offset0:64 offset1:96
	v_and_b32_e32 v76, 0xffff, v12
	v_lshrrev_b32_e32 v12, 16, v12
	v_and_b32_e32 v77, 0xffff, v13
	v_lshrrev_b32_e32 v13, 16, v13
	v_pk_fma_f16 v16, v78, v108, v16
	v_mul_u32_u24_e32 v76, 0x10001, v76
	v_mul_u32_u24_e32 v12, 0x10001, v12
	;; [unrolled: 1-line block ×4, first 2 shown]
	v_pk_fma_f16 v108, v79, v108, v17
	s_wait_dscnt 0x1
	v_pk_fma_f16 v100, v80, v76, v100
	v_pk_fma_f16 v101, v80, v12, v101
	;; [unrolled: 1-line block ×9, first 2 shown]
	s_wait_dscnt 0x0
	v_pk_fma_f16 v107, v84, v76, v107
	v_pk_fma_f16 v102, v85, v76, v102
	;; [unrolled: 1-line block ×4, first 2 shown]
	ds_load_2addr_b64 v[76:79], v11 offset0:128 offset1:160
	v_pk_fma_f16 v95, v83, v12, v95
	v_pk_fma_f16 v93, v84, v12, v93
	;; [unrolled: 1-line block ×6, first 2 shown]
	v_and_b32_e32 v17, 0xffff, v14
	v_dual_lshrrev_b32 v14, 16, v14 :: v_dual_lshrrev_b32 v109, 16, v15
	v_pk_fma_f16 v91, v81, v119, v91
	v_pk_fma_f16 v81, v81, v13, v114
	;; [unrolled: 1-line block ×10, first 2 shown]
	v_and_b32_e32 v83, 0xffff, v15
	v_pk_fma_f16 v86, v86, v13, v16
	v_mul_u32_u24_e32 v110, 0x10001, v17
	v_mul_u32_u24_e32 v111, 0x10001, v14
	ds_load_2addr_b64 v[14:17], v11 offset0:192 offset1:224
	v_mul_u32_u24_e32 v109, 0x10001, v109
	v_pk_fma_f16 v90, v87, v119, v90
	v_mul_u32_u24_e32 v116, 0x10001, v83
	v_pk_fma_f16 v13, v87, v13, v108
	s_wait_dscnt 0x1
	v_pk_fma_f16 v100, v76, v110, v100
	v_pk_fma_f16 v108, v76, v109, v80
	;; [unrolled: 1-line block ×4, first 2 shown]
	ds_load_b128 v[80:83], v64 offset:64
	v_pk_fma_f16 v101, v76, v111, v101
	v_pk_fma_f16 v103, v76, v116, v103
	;; [unrolled: 1-line block ×10, first 2 shown]
	s_wait_dscnt 0x1
	v_pk_fma_f16 v120, v14, v116, v12
	v_add_nc_u32_e32 v12, 0xb000, v55
	v_pk_fma_f16 v115, v79, v116, v115
	v_pk_fma_f16 v104, v79, v109, v104
	;; [unrolled: 1-line block ×7, first 2 shown]
	ds_load_2addr_b64 v[76:79], v12 offset1:32
	v_pk_fma_f16 v122, v15, v109, v85
	v_pk_fma_f16 v123, v16, v109, v86
	ds_load_b128 v[84:87], v64 offset:80
	s_wait_dscnt 0x2
	v_and_b32_e32 v88, 0xffff, v80
	v_pk_fma_f16 v96, v15, v111, v96
	v_pk_fma_f16 v15, v16, v110, v106
	;; [unrolled: 1-line block ×7, first 2 shown]
	v_mul_u32_u24_e32 v111, 0x10001, v88
	ds_load_2addr_b64 v[88:91], v12 offset0:64 offset1:96
	v_lshrrev_b32_e32 v80, 16, v80
	v_and_b32_e32 v110, 0xffff, v81
	v_lshrrev_b32_e32 v81, 16, v81
	v_pk_fma_f16 v13, v17, v109, v13
	v_pk_add_f32 v[4:5], v[18:19], v[4:5]
	v_mul_u32_u24_e32 v80, 0x10001, v80
	v_mul_u32_u24_e32 v110, 0x10001, v110
	;; [unrolled: 1-line block ×3, first 2 shown]
	s_wait_dscnt 0x2
	v_pk_fma_f16 v100, v76, v111, v100
	v_pk_fma_f16 v109, v77, v111, v112
	v_pk_fma_f16 v101, v76, v80, v101
	v_pk_fma_f16 v103, v76, v110, v103
	v_pk_fma_f16 v108, v76, v81, v108
	v_pk_fma_f16 v99, v77, v80, v99
	v_pk_fma_f16 v112, v77, v110, v117
	v_pk_fma_f16 v116, v77, v81, v118
	v_and_b32_e32 v76, 0xffff, v82
	v_lshrrev_b32_e32 v77, 16, v82
	v_pk_fma_f16 v113, v78, v111, v113
	v_pk_fma_f16 v94, v78, v80, v94
	;; [unrolled: 1-line block ×8, first 2 shown]
	s_wait_dscnt 0x0
	v_pk_fma_f16 v107, v88, v111, v107
	v_pk_fma_f16 v118, v89, v111, v14
	;; [unrolled: 1-line block ×6, first 2 shown]
	ds_load_2addr_b64 v[14:17], v12 offset0:128 offset1:160
	v_pk_fma_f16 v97, v90, v80, v97
	v_pk_fma_f16 v80, v91, v80, v98
	;; [unrolled: 1-line block ×7, first 2 shown]
	v_and_b32_e32 v90, 0xffff, v83
	v_lshrrev_b32_e32 v83, 16, v83
	v_mul_u32_u24_e32 v110, 0x10001, v76
	v_mul_u32_u24_e32 v120, 0x10001, v77
	ds_load_2addr_b64 v[76:79], v12 offset0:192 offset1:224
	v_pk_fma_f16 v88, v88, v81, v121
	v_pk_fma_f16 v89, v89, v81, v122
	v_mul_u32_u24_e32 v90, 0x10001, v90
	v_mul_u32_u24_e32 v121, 0x10001, v83
	v_pk_fma_f16 v91, v91, v81, v13
	v_add_nc_u32_e32 v13, 0xb800, v55
	v_lshrrev_b32_e32 v81, 16, v84
	s_wait_dscnt 0x1
	v_pk_fma_f16 v100, v14, v110, v100
	v_pk_fma_f16 v109, v15, v110, v109
	;; [unrolled: 1-line block ×12, first 2 shown]
	s_wait_dscnt 0x0
	v_pk_fma_f16 v107, v76, v110, v107
	v_pk_fma_f16 v118, v77, v110, v118
	;; [unrolled: 1-line block ×5, first 2 shown]
	v_and_b32_e32 v80, 0xffff, v84
	v_pk_fma_f16 v117, v16, v121, v117
	v_pk_fma_f16 v95, v17, v120, v95
	;; [unrolled: 1-line block ×6, first 2 shown]
	ds_load_2addr_b64 v[14:17], v13 offset1:32
	v_pk_fma_f16 v97, v78, v120, v97
	v_pk_fma_f16 v98, v76, v90, v98
	;; [unrolled: 1-line block ×7, first 2 shown]
	v_and_b32_e32 v84, 0xffff, v85
	v_lshrrev_b32_e32 v85, 16, v85
	v_mul_u32_u24_e32 v88, 0x10001, v80
	v_mul_u32_u24_e32 v89, 0x10001, v81
	ds_load_2addr_b64 v[80:83], v13 offset0:64 offset1:96
	v_pk_fma_f16 v90, v79, v90, v105
	v_mul_u32_u24_e32 v84, 0x10001, v84
	v_mul_u32_u24_e32 v85, 0x10001, v85
	v_pk_fma_f16 v91, v79, v121, v91
	v_and_b32_e32 v79, 0xffff, v87
	v_pk_add_f32 v[4:5], v[8:9], v[4:5]
	s_wait_dscnt 0x1
	v_pk_fma_f16 v100, v14, v88, v100
	v_pk_fma_f16 v105, v14, v85, v108
	;; [unrolled: 1-line block ×12, first 2 shown]
	s_wait_dscnt 0x0
	v_pk_fma_f16 v107, v80, v88, v107
	v_pk_fma_f16 v117, v81, v88, v118
	;; [unrolled: 1-line block ×8, first 2 shown]
	v_lshrrev_b32_e32 v80, 16, v87
	v_pk_fma_f16 v114, v16, v84, v114
	v_pk_fma_f16 v95, v17, v89, v95
	;; [unrolled: 1-line block ×5, first 2 shown]
	ds_load_2addr_b64 v[14:17], v13 offset0:128 offset1:160
	v_pk_fma_f16 v97, v82, v89, v97
	v_pk_fma_f16 v89, v83, v89, v111
	;; [unrolled: 1-line block ×5, first 2 shown]
	v_and_b32_e32 v76, 0xffff, v86
	v_pk_fma_f16 v119, v82, v85, v78
	v_mul_u32_u24_e32 v122, 0x10001, v80
	v_pk_fma_f16 v123, v83, v85, v91
	ds_load_b128 v[80:83], v64 offset:96
	v_lshrrev_b32_e32 v77, 16, v86
	v_mul_u32_u24_e32 v84, 0x10001, v76
	v_mul_u32_u24_e32 v121, 0x10001, v79
	v_pk_fma_f32 v[26:27], v[26:27], v[6:7], v[4:5]
	s_delay_alu instid0(VALU_DEP_4)
	v_mul_u32_u24_e32 v120, 0x10001, v77
	ds_load_2addr_b64 v[76:79], v13 offset0:192 offset1:224
	s_wait_dscnt 0x2
	v_pk_fma_f16 v100, v14, v84, v100
	v_pk_fma_f16 v101, v14, v120, v101
	;; [unrolled: 1-line block ×4, first 2 shown]
	v_add_nc_u32_e32 v14, 0xc000, v55
	v_pk_fma_f16 v108, v15, v84, v108
	v_pk_fma_f16 v99, v15, v120, v99
	;; [unrolled: 1-line block ×12, first 2 shown]
	s_wait_dscnt 0x0
	v_pk_fma_f16 v104, v76, v84, v107
	v_pk_fma_f16 v107, v77, v84, v117
	;; [unrolled: 1-line block ×4, first 2 shown]
	ds_load_2addr_b64 v[84:87], v14 offset1:32
	v_pk_fma_f16 v125, v76, v120, v93
	ds_load_2addr_b64 v[92:95], v14 offset0:64 offset1:96
	v_pk_fma_f16 v96, v77, v120, v96
	v_pk_fma_f16 v97, v78, v120, v97
	;; [unrolled: 1-line block ×6, first 2 shown]
	ds_load_b128 v[88:91], v64 offset:112
	v_and_b32_e32 v78, 0xffff, v81
	v_lshrrev_b32_e32 v81, 16, v81
	v_pk_fma_f16 v98, v76, v121, v98
	v_pk_fma_f16 v102, v77, v121, v102
	;; [unrolled: 1-line block ×3, first 2 shown]
	v_and_b32_e32 v76, 0xffff, v80
	v_mul_u32_u24_e32 v127, 0x10001, v81
	v_lshrrev_b32_e32 v77, 16, v80
	v_pk_fma_f16 v80, v79, v121, v110
	v_mul_u32_u24_e32 v121, 0x10001, v78
	v_mul_u32_u24_e32 v76, 0x10001, v76
	s_wait_dscnt 0x2
	v_pk_fma_f16 v139, v86, v127, v16
	v_pk_fma_f16 v142, v87, v127, v17
	v_add_nc_u64_e32 v[16:17], s[26:27], v[40:41]
	s_wait_dscnt 0x1
	v_pk_fma_f16 v153, v95, v121, v80
	v_add_nc_u64_e32 v[80:81], s[26:27], v[42:43]
	v_mul_u32_u24_e32 v110, 0x10001, v77
	v_pk_fma_f16 v122, v79, v122, v123
	v_pk_fma_f16 v135, v85, v127, v15
	v_add_nc_u32_e32 v15, 0xc800, v55
	v_add_nc_u64_e32 v[16:17], v[16:17], v[28:29]
	v_pk_fma_f16 v128, v84, v76, v100
	v_add_nc_u64_e32 v[80:81], v[80:81], v[28:29]
	v_pk_fma_f16 v129, v84, v110, v101
	v_pk_fma_f16 v130, v84, v121, v103
	;; [unrolled: 1-line block ×18, first 2 shown]
	ds_load_2addr_b64 v[76:79], v14 offset0:128 offset1:160
	v_pk_fma_f16 v148, v94, v110, v97
	v_pk_fma_f16 v149, v95, v110, v120
	;; [unrolled: 1-line block ×8, first 2 shown]
	ds_load_2addr_b64 v[84:87], v14 offset0:192 offset1:224
	v_pk_fma_f16 v127, v95, v127, v122
	ds_load_2addr_b64 v[92:95], v15 offset1:32
	ds_load_2addr_b64 v[96:99], v15 offset0:64 offset1:96
	ds_load_2addr_b64 v[100:103], v15 offset0:128 offset1:160
	;; [unrolled: 1-line block ×3, first 2 shown]
	s_wait_dscnt 0x0
	s_barrier_signal -1
	s_barrier_wait -1
	s_clause 0x3
	global_load_b128 v[108:111], v[16:17], off
	global_load_b128 v[112:115], v[16:17], off offset:512
	global_load_b128 v[116:119], v[80:81], off
	global_load_b128 v[120:123], v[80:81], off offset:512
	s_wait_xcnt 0x2
	v_and_b32_e32 v16, 0xffff, v82
	v_lshrrev_b32_e32 v17, 16, v82
	s_wait_xcnt 0x0
	v_and_b32_e32 v80, 0xffff, v83
	v_lshrrev_b32_e32 v81, 16, v83
	s_wait_loadcnt 0x3
	ds_store_b128 v65, v[108:111]
	s_wait_loadcnt 0x2
	ds_store_b128 v66, v[112:115]
	;; [unrolled: 2-line block ×4, first 2 shown]
	v_mul_u32_u24_e32 v16, 0x10001, v16
	v_mul_u32_u24_e32 v17, 0x10001, v17
	;; [unrolled: 1-line block ×4, first 2 shown]
	s_wait_dscnt 0x0
	v_pk_fma_f16 v82, v76, v16, v128
	v_pk_fma_f16 v83, v76, v17, v129
	;; [unrolled: 1-line block ×21, first 2 shown]
	v_and_b32_e32 v126, 0xffff, v88
	v_lshrrev_b32_e32 v88, 16, v88
	v_and_b32_e32 v145, 0xffff, v89
	v_lshrrev_b32_e32 v89, 16, v89
	v_pk_fma_f16 v138, v85, v16, v144
	v_pk_fma_f16 v143, v85, v80, v151
	v_pk_fma_f16 v144, v86, v80, v152
	v_pk_fma_f16 v80, v87, v80, v153
	v_mul_u32_u24_e32 v126, 0x10001, v126
	v_mul_u32_u24_e32 v88, 0x10001, v88
	;; [unrolled: 1-line block ×4, first 2 shown]
	v_pk_fma_f16 v16, v87, v16, v146
	v_pk_fma_f16 v140, v85, v17, v147
	;; [unrolled: 1-line block ×25, first 2 shown]
	v_and_b32_e32 v79, 0xffff, v90
	v_lshrrev_b32_e32 v80, 16, v90
	v_and_b32_e32 v90, 0xffff, v91
	v_lshrrev_b32_e32 v91, 16, v91
	v_pk_fma_f16 v132, v96, v126, v137
	v_pk_fma_f16 v134, v98, v126, v139
	v_pk_fma_f16 v16, v99, v126, v16
	v_pk_fma_f16 v125, v96, v88, v125
	v_pk_fma_f16 v126, v97, v88, v140
	v_pk_fma_f16 v135, v98, v88, v141
	v_pk_fma_f16 v17, v99, v88, v17
	v_pk_fma_f16 v88, v96, v145, v142
	v_pk_fma_f16 v136, v97, v145, v143
	v_pk_fma_f16 v137, v98, v145, v144
	v_pk_fma_f16 v84, v96, v89, v84
	v_pk_fma_f16 v85, v97, v89, v85
	v_pk_fma_f16 v96, v98, v89, v86
	v_mul_u32_u24_e32 v86, 0x10001, v79
	v_mul_u32_u24_e32 v97, 0x10001, v80
	;; [unrolled: 1-line block ×4, first 2 shown]
	s_barrier_signal -1
	v_pk_fma_f16 v139, v100, v86, v82
	v_pk_fma_f16 v140, v100, v97, v83
	v_pk_fma_f16 v141, v100, v90, v87
	v_pk_fma_f16 v100, v100, v98, v76
	v_pk_fma_f16 v92, v101, v86, v92
	v_pk_fma_f16 v127, v101, v97, v127
	v_pk_fma_f16 v128, v101, v90, v128
	v_pk_fma_f16 v101, v101, v98, v77
	v_pk_fma_f16 v93, v102, v86, v93
	v_pk_fma_f16 v129, v102, v97, v129
	v_pk_fma_f16 v130, v102, v90, v130
	v_pk_fma_f16 v102, v102, v98, v78
	s_barrier_wait -1
	ds_load_b128 v[76:79], v64 offset:128
	v_pk_fma_f16 v94, v103, v86, v94
	v_pk_fma_f16 v108, v103, v97, v124
	;; [unrolled: 1-line block ×16, first 2 shown]
	ds_load_b128 v[84:87], v64 offset:144
	v_pk_fma_f16 v99, v99, v89, v81
	ds_load_2addr_b64 v[80:83], v75 offset1:32
	s_wait_dscnt 0x2
	v_and_b32_e32 v88, 0xffff, v76
	v_pk_fma_f16 v116, v106, v90, v137
	v_pk_fma_f16 v117, v107, v90, v138
	v_lshrrev_b32_e32 v76, 16, v76
	v_pk_fma_f16 v96, v106, v98, v96
	v_mul_u32_u24_e32 v118, 0x10001, v88
	ds_load_2addr_b64 v[88:91], v75 offset0:64 offset1:96
	v_and_b32_e32 v106, 0xffff, v77
	v_lshrrev_b32_e32 v77, 16, v77
	v_mul_u32_u24_e32 v76, 0x10001, v76
	v_pk_fma_f16 v98, v107, v98, v99
	s_or_b32 s26, s4, 32
	v_mul_u32_u24_e32 v106, 0x10001, v106
	v_mul_u32_u24_e32 v119, 0x10001, v77
	v_lshrrev_b32_e32 v77, 16, v78
	s_ashr_i32 s27, s26, 31
	s_delay_alu instid0(SALU_CYCLE_1)
	s_mul_u64 s[26:27], s[26:27], s[14:15]
	s_wait_dscnt 0x1
	v_pk_fma_f16 v107, v80, v76, v140
	v_pk_fma_f16 v121, v81, v76, v127
	;; [unrolled: 1-line block ×7, first 2 shown]
	s_wait_dscnt 0x0
	v_pk_fma_f16 v112, v88, v76, v112
	v_pk_fma_f16 v113, v89, v76, v113
	;; [unrolled: 1-line block ×4, first 2 shown]
	v_and_b32_e32 v76, 0xffff, v78
	v_pk_fma_f16 v92, v81, v118, v92
	v_pk_fma_f16 v122, v81, v106, v128
	;; [unrolled: 1-line block ×12, first 2 shown]
	ds_load_2addr_b64 v[80:83], v75 offset0:128 offset1:160
	v_pk_fma_f16 v97, v88, v106, v97
	v_pk_fma_f16 v115, v89, v106, v115
	;; [unrolled: 1-line block ×7, first 2 shown]
	v_and_b32_e32 v96, 0xffff, v79
	v_lshrrev_b32_e32 v104, 16, v79
	v_mul_u32_u24_e32 v105, 0x10001, v76
	v_mul_u32_u24_e32 v117, 0x10001, v77
	ds_load_2addr_b64 v[76:79], v75 offset0:192 offset1:224
	v_pk_fma_f16 v16, v91, v118, v16
	v_mul_u32_u24_e32 v96, 0x10001, v96
	v_mul_u32_u24_e32 v104, 0x10001, v104
	v_pk_fma_f16 v98, v91, v119, v98
	s_lshl_b64 s[26:27], s[26:27], 2
	s_delay_alu instid0(SALU_CYCLE_1)
	s_add_nc_u64 s[26:27], s[8:9], s[26:27]
	s_wait_dscnt 0x1
	v_pk_fma_f16 v99, v80, v105, v99
	v_pk_fma_f16 v107, v80, v117, v107
	;; [unrolled: 1-line block ×16, first 2 shown]
	s_wait_dscnt 0x0
	v_pk_fma_f16 v103, v76, v105, v103
	v_pk_fma_f16 v110, v77, v105, v110
	v_pk_fma_f16 v111, v78, v105, v111
	v_pk_fma_f16 v16, v79, v105, v16
	v_pk_fma_f16 v105, v76, v117, v112
	v_pk_fma_f16 v112, v77, v117, v113
	ds_load_2addr_b64 v[80:83], v74 offset1:32
	v_pk_fma_f16 v113, v78, v117, v114
	v_pk_fma_f16 v97, v76, v96, v97
	;; [unrolled: 1-line block ×7, first 2 shown]
	v_and_b32_e32 v76, 0xffff, v84
	v_lshrrev_b32_e32 v77, 16, v84
	v_pk_fma_f16 v84, v78, v104, v90
	ds_load_2addr_b64 v[88:91], v74 offset0:64 offset1:96
	v_and_b32_e32 v78, 0xffff, v85
	v_lshrrev_b32_e32 v85, 16, v85
	v_pk_fma_f16 v17, v79, v117, v17
	v_mul_u32_u24_e32 v76, 0x10001, v76
	v_mul_u32_u24_e32 v117, 0x10001, v77
	;; [unrolled: 1-line block ×4, first 2 shown]
	v_pk_fma_f16 v98, v79, v104, v98
	s_wait_dscnt 0x1
	v_pk_fma_f16 v99, v80, v76, v99
	v_pk_fma_f16 v104, v80, v117, v107
	v_pk_fma_f16 v107, v80, v123, v118
	v_pk_fma_f16 v100, v80, v85, v100
	v_pk_fma_f16 v92, v81, v76, v92
	v_pk_fma_f16 v118, v81, v117, v119
	v_pk_fma_f16 v119, v81, v123, v120
	v_pk_fma_f16 v101, v81, v85, v101
	v_pk_fma_f16 v93, v82, v76, v93
	v_pk_fma_f16 v120, v82, v117, v121
	v_pk_fma_f16 v121, v82, v123, v122
	v_pk_fma_f16 v102, v82, v85, v102
	s_wait_dscnt 0x0
	v_pk_fma_f16 v103, v88, v76, v103
	v_pk_fma_f16 v105, v88, v117, v105
	;; [unrolled: 1-line block ×4, first 2 shown]
	v_and_b32_e32 v80, 0xffff, v86
	v_lshrrev_b32_e32 v81, 16, v86
	v_and_b32_e32 v82, 0xffff, v87
	v_pk_fma_f16 v106, v90, v85, v84
	v_lshrrev_b32_e32 v84, 16, v87
	v_pk_fma_f16 v94, v83, v76, v94
	v_pk_fma_f16 v108, v83, v117, v108
	;; [unrolled: 1-line block ×8, first 2 shown]
	ds_load_2addr_b64 v[76:79], v74 offset0:128 offset1:160
	v_pk_fma_f16 v113, v90, v117, v113
	v_pk_fma_f16 v17, v91, v117, v17
	;; [unrolled: 1-line block ×5, first 2 shown]
	v_mul_u32_u24_e32 v90, 0x10001, v80
	v_mul_u32_u24_e32 v116, 0x10001, v81
	;; [unrolled: 1-line block ×3, first 2 shown]
	ds_load_2addr_b64 v[80:83], v74 offset0:192 offset1:224
	v_mul_u32_u24_e32 v122, 0x10001, v84
	v_pk_fma_f16 v98, v91, v85, v98
	ds_load_b128 v[84:87], v64 offset:160
	v_pk_fma_f16 v96, v91, v123, v96
	s_wait_dscnt 0x2
	v_pk_fma_f16 v99, v76, v90, v99
	v_pk_fma_f16 v123, v77, v90, v92
	;; [unrolled: 1-line block ×9, first 2 shown]
	s_wait_dscnt 0x1
	v_pk_fma_f16 v103, v80, v90, v103
	v_pk_fma_f16 v110, v81, v90, v110
	;; [unrolled: 1-line block ×10, first 2 shown]
	ds_load_b128 v[88:91], v64 offset:176
	s_wait_dscnt 0x1
	v_and_b32_e32 v92, 0xffff, v84
	v_pk_fma_f16 v101, v77, v122, v101
	v_pk_fma_f16 v120, v78, v116, v120
	;; [unrolled: 1-line block ×8, first 2 shown]
	ds_load_2addr_b64 v[76:79], v10 offset1:32
	v_pk_fma_f16 v17, v83, v116, v17
	v_mul_u32_u24_e32 v116, 0x10001, v92
	ds_load_2addr_b64 v[92:95], v10 offset0:64 offset1:96
	v_pk_fma_f16 v115, v82, v117, v115
	v_lshrrev_b32_e32 v84, 16, v84
	v_pk_fma_f16 v82, v82, v122, v106
	v_and_b32_e32 v106, 0xffff, v85
	v_lshrrev_b32_e32 v85, 16, v85
	v_pk_fma_f16 v96, v83, v117, v96
	v_mul_u32_u24_e32 v84, 0x10001, v84
	v_pk_fma_f16 v98, v83, v122, v98
	v_mul_u32_u24_e32 v106, 0x10001, v106
	v_mul_u32_u24_e32 v85, 0x10001, v85
	s_wait_dscnt 0x1
	v_pk_fma_f16 v104, v76, v84, v104
	v_pk_fma_f16 v118, v77, v84, v118
	;; [unrolled: 1-line block ×4, first 2 shown]
	s_wait_dscnt 0x0
	v_pk_fma_f16 v103, v92, v116, v103
	v_pk_fma_f16 v110, v93, v116, v110
	;; [unrolled: 1-line block ×10, first 2 shown]
	v_and_b32_e32 v80, 0xffff, v86
	v_lshrrev_b32_e32 v81, 16, v86
	v_pk_fma_f16 v99, v76, v116, v99
	v_pk_fma_f16 v107, v76, v106, v107
	;; [unrolled: 1-line block ×13, first 2 shown]
	ds_load_2addr_b64 v[76:79], v10 offset0:128 offset1:160
	v_pk_fma_f16 v114, v94, v106, v115
	v_pk_fma_f16 v96, v95, v106, v96
	;; [unrolled: 1-line block ×3, first 2 shown]
	v_and_b32_e32 v94, 0xffff, v87
	v_lshrrev_b32_e32 v87, 16, v87
	v_mul_u32_u24_e32 v106, 0x10001, v80
	v_mul_u32_u24_e32 v115, 0x10001, v81
	ds_load_2addr_b64 v[80:83], v10 offset0:192 offset1:224
	v_pk_fma_f16 v16, v95, v116, v16
	v_mul_u32_u24_e32 v94, 0x10001, v94
	v_mul_u32_u24_e32 v116, 0x10001, v87
	v_pk_fma_f16 v95, v95, v85, v98
	v_lshrrev_b32_e32 v85, 16, v88
	s_wait_dscnt 0x1
	v_pk_fma_f16 v98, v76, v106, v99
	v_pk_fma_f16 v99, v76, v115, v104
	;; [unrolled: 1-line block ×8, first 2 shown]
	s_wait_dscnt 0x0
	v_pk_fma_f16 v103, v80, v106, v103
	v_pk_fma_f16 v110, v81, v106, v110
	;; [unrolled: 1-line block ×7, first 2 shown]
	v_and_b32_e32 v84, 0xffff, v88
	v_pk_fma_f16 v100, v76, v116, v100
	v_pk_fma_f16 v101, v77, v116, v101
	v_pk_fma_f16 v120, v78, v115, v120
	v_pk_fma_f16 v121, v78, v94, v121
	v_pk_fma_f16 v102, v78, v116, v102
	v_pk_fma_f16 v108, v79, v115, v108
	v_pk_fma_f16 v109, v79, v94, v109
	v_pk_fma_f16 v123, v79, v116, v124
	v_pk_fma_f16 v105, v80, v115, v105
	ds_load_2addr_b64 v[76:79], v11 offset1:32
	v_pk_fma_f16 v97, v81, v94, v97
	v_pk_fma_f16 v114, v82, v94, v114
	v_pk_fma_f16 v80, v80, v116, v92
	v_pk_fma_f16 v81, v81, v116, v93
	v_pk_fma_f16 v82, v82, v116, v86
	v_and_b32_e32 v88, 0xffff, v89
	v_lshrrev_b32_e32 v89, 16, v89
	v_mul_u32_u24_e32 v92, 0x10001, v84
	v_mul_u32_u24_e32 v93, 0x10001, v85
	ds_load_2addr_b64 v[84:87], v11 offset0:64 offset1:96
	v_pk_fma_f16 v17, v83, v115, v17
	v_pk_fma_f16 v94, v83, v94, v96
	v_mul_u32_u24_e32 v88, 0x10001, v88
	v_mul_u32_u24_e32 v89, 0x10001, v89
	v_pk_fma_f16 v95, v83, v116, v95
	v_and_b32_e32 v83, 0xffff, v91
	s_wait_dscnt 0x1
	v_pk_fma_f16 v96, v76, v92, v98
	v_pk_fma_f16 v98, v76, v93, v99
	;; [unrolled: 1-line block ×12, first 2 shown]
	s_wait_dscnt 0x0
	v_pk_fma_f16 v103, v84, v92, v103
	v_pk_fma_f16 v110, v85, v92, v110
	;; [unrolled: 1-line block ×14, first 2 shown]
	v_and_b32_e32 v80, 0xffff, v90
	v_dual_lshrrev_b32 v81, 16, v90 :: v_dual_lshrrev_b32 v84, 16, v91
	v_pk_fma_f16 v100, v76, v89, v100
	v_pk_fma_f16 v101, v77, v89, v101
	;; [unrolled: 1-line block ×4, first 2 shown]
	ds_load_2addr_b64 v[76:79], v11 offset0:128 offset1:160
	v_pk_fma_f16 v114, v86, v89, v82
	v_mul_u32_u24_e32 v90, 0x10001, v80
	v_mul_u32_u24_e32 v91, 0x10001, v81
	;; [unrolled: 1-line block ×3, first 2 shown]
	ds_load_2addr_b64 v[80:83], v11 offset0:192 offset1:224
	v_mul_u32_u24_e32 v122, 0x10001, v84
	v_pk_fma_f16 v123, v87, v89, v95
	ds_load_b128 v[84:87], v64 offset:192
	s_wait_dscnt 0x2
	v_pk_fma_f16 v96, v76, v90, v96
	v_pk_fma_f16 v98, v76, v91, v98
	;; [unrolled: 1-line block ×12, first 2 shown]
	s_wait_dscnt 0x1
	v_pk_fma_f16 v103, v80, v90, v103
	v_pk_fma_f16 v110, v81, v90, v110
	;; [unrolled: 1-line block ×12, first 2 shown]
	ds_load_b128 v[88:91], v64 offset:208
	s_wait_dscnt 0x1
	v_and_b32_e32 v92, 0xffff, v84
	v_pk_fma_f16 v100, v76, v122, v100
	v_pk_fma_f16 v101, v77, v122, v101
	;; [unrolled: 1-line block ×4, first 2 shown]
	ds_load_2addr_b64 v[76:79], v12 offset1:32
	v_pk_fma_f16 v80, v80, v122, v94
	v_pk_fma_f16 v82, v82, v122, v114
	v_mul_u32_u24_e32 v114, 0x10001, v92
	ds_load_2addr_b64 v[92:95], v12 offset0:64 offset1:96
	v_pk_fma_f16 v81, v81, v122, v113
	v_lshrrev_b32_e32 v84, 16, v84
	v_and_b32_e32 v113, 0xffff, v85
	v_lshrrev_b32_e32 v85, 16, v85
	v_pk_fma_f16 v122, v83, v122, v123
	s_delay_alu instid0(VALU_DEP_4) | instskip(NEXT) | instid1(VALU_DEP_4)
	v_mul_u32_u24_e32 v84, 0x10001, v84
	v_mul_u32_u24_e32 v113, 0x10001, v113
	s_delay_alu instid0(VALU_DEP_4)
	v_mul_u32_u24_e32 v85, 0x10001, v85
	s_wait_dscnt 0x1
	v_pk_fma_f16 v96, v76, v114, v96
	v_pk_fma_f16 v98, v76, v84, v98
	;; [unrolled: 1-line block ×8, first 2 shown]
	s_wait_dscnt 0x0
	v_pk_fma_f16 v103, v92, v114, v103
	v_pk_fma_f16 v110, v93, v114, v110
	;; [unrolled: 1-line block ×12, first 2 shown]
	v_and_b32_e32 v80, 0xffff, v86
	v_lshrrev_b32_e32 v81, 16, v86
	v_pk_fma_f16 v99, v76, v113, v99
	v_pk_fma_f16 v100, v76, v85, v100
	;; [unrolled: 1-line block ×8, first 2 shown]
	ds_load_2addr_b64 v[76:79], v12 offset0:128 offset1:160
	v_pk_fma_f16 v112, v94, v113, v112
	v_pk_fma_f16 v113, v95, v113, v121
	;; [unrolled: 1-line block ×3, first 2 shown]
	v_and_b32_e32 v94, 0xffff, v87
	v_lshrrev_b32_e32 v87, 16, v87
	v_mul_u32_u24_e32 v121, 0x10001, v80
	v_mul_u32_u24_e32 v123, 0x10001, v81
	ds_load_2addr_b64 v[80:83], v12 offset0:192 offset1:224
	v_mul_u32_u24_e32 v94, 0x10001, v94
	v_mul_u32_u24_e32 v124, 0x10001, v87
	v_pk_fma_f16 v95, v95, v85, v122
	v_lshrrev_b32_e32 v85, 16, v88
	s_wait_dscnt 0x1
	v_pk_fma_f16 v96, v76, v121, v96
	v_pk_fma_f16 v104, v77, v121, v104
	;; [unrolled: 1-line block ×8, first 2 shown]
	s_wait_dscnt 0x0
	v_pk_fma_f16 v103, v80, v121, v103
	v_pk_fma_f16 v110, v81, v121, v110
	;; [unrolled: 1-line block ×5, first 2 shown]
	v_and_b32_e32 v84, 0xffff, v88
	v_pk_fma_f16 v115, v77, v94, v115
	v_pk_fma_f16 v101, v77, v124, v101
	;; [unrolled: 1-line block ×10, first 2 shown]
	ds_load_2addr_b64 v[76:79], v13 offset1:32
	v_pk_fma_f16 v106, v82, v123, v106
	v_pk_fma_f16 v97, v81, v94, v97
	;; [unrolled: 1-line block ×6, first 2 shown]
	v_and_b32_e32 v88, 0xffff, v89
	v_lshrrev_b32_e32 v89, 16, v89
	v_mul_u32_u24_e32 v92, 0x10001, v84
	v_mul_u32_u24_e32 v93, 0x10001, v85
	ds_load_2addr_b64 v[84:87], v13 offset0:64 offset1:96
	v_pk_fma_f16 v17, v83, v123, v17
	v_pk_fma_f16 v94, v83, v94, v113
	v_mul_u32_u24_e32 v88, 0x10001, v88
	v_mul_u32_u24_e32 v89, 0x10001, v89
	v_pk_fma_f16 v95, v83, v124, v95
	v_and_b32_e32 v83, 0xffff, v91
	s_wait_dscnt 0x1
	v_pk_fma_f16 v96, v76, v92, v96
	v_pk_fma_f16 v98, v76, v93, v98
	;; [unrolled: 1-line block ×12, first 2 shown]
	s_wait_dscnt 0x0
	v_pk_fma_f16 v103, v84, v92, v103
	v_pk_fma_f16 v110, v85, v92, v110
	;; [unrolled: 1-line block ×14, first 2 shown]
	v_and_b32_e32 v80, 0xffff, v90
	v_dual_lshrrev_b32 v81, 16, v90 :: v_dual_lshrrev_b32 v84, 16, v91
	v_pk_fma_f16 v100, v76, v89, v100
	v_pk_fma_f16 v101, v77, v89, v101
	;; [unrolled: 1-line block ×4, first 2 shown]
	ds_load_2addr_b64 v[76:79], v13 offset0:128 offset1:160
	v_pk_fma_f16 v120, v86, v89, v82
	v_mul_u32_u24_e32 v90, 0x10001, v80
	v_mul_u32_u24_e32 v91, 0x10001, v81
	;; [unrolled: 1-line block ×3, first 2 shown]
	ds_load_2addr_b64 v[80:83], v13 offset0:192 offset1:224
	v_mul_u32_u24_e32 v122, 0x10001, v84
	v_pk_fma_f16 v123, v87, v89, v95
	ds_load_b128 v[84:87], v64 offset:224
	s_wait_dscnt 0x2
	v_pk_fma_f16 v96, v76, v90, v96
	v_pk_fma_f16 v98, v76, v91, v98
	;; [unrolled: 1-line block ×12, first 2 shown]
	s_wait_dscnt 0x1
	v_pk_fma_f16 v103, v80, v90, v103
	v_pk_fma_f16 v110, v81, v90, v110
	;; [unrolled: 1-line block ×12, first 2 shown]
	ds_load_b128 v[88:91], v64 offset:240
	s_wait_dscnt 0x1
	v_and_b32_e32 v92, 0xffff, v84
	v_pk_fma_f16 v80, v80, v122, v94
	v_pk_fma_f16 v82, v82, v122, v120
	;; [unrolled: 1-line block ×4, first 2 shown]
	v_mul_u32_u24_e32 v120, 0x10001, v92
	ds_load_2addr_b64 v[92:95], v14 offset0:64 offset1:96
	v_pk_fma_f16 v102, v78, v122, v102
	v_pk_fma_f16 v119, v79, v122, v119
	ds_load_2addr_b64 v[76:79], v14 offset1:32
	v_lshrrev_b32_e32 v84, 16, v84
	v_pk_fma_f16 v81, v81, v122, v114
	v_and_b32_e32 v114, 0xffff, v85
	v_lshrrev_b32_e32 v85, 16, v85
	v_pk_fma_f16 v122, v83, v122, v123
	v_mul_u32_u24_e32 v84, 0x10001, v84
	s_delay_alu instid0(VALU_DEP_4) | instskip(NEXT) | instid1(VALU_DEP_4)
	v_mul_u32_u24_e32 v114, 0x10001, v114
	v_mul_u32_u24_e32 v126, 0x10001, v85
	s_wait_dscnt 0x1
	v_pk_fma_f16 v146, v95, v120, v16
	v_pk_fma_f16 v149, v95, v84, v17
	v_add_nc_u64_e32 v[16:17], s[26:27], v[40:41]
	s_wait_dscnt 0x0
	v_pk_fma_f16 v128, v76, v84, v98
	v_pk_fma_f16 v132, v77, v84, v107
	;; [unrolled: 1-line block ×7, first 2 shown]
	v_add_nc_u64_e32 v[84:85], s[26:27], v[42:43]
	v_add_nc_u64_e32 v[16:17], v[16:17], v[28:29]
	v_pk_fma_f16 v127, v76, v120, v96
	v_pk_fma_f16 v129, v76, v114, v99
	;; [unrolled: 1-line block ×5, first 2 shown]
	v_add_nc_u64_e32 v[84:85], v[84:85], v[28:29]
	v_pk_fma_f16 v134, v77, v126, v101
	v_pk_fma_f16 v135, v78, v120, v115
	;; [unrolled: 1-line block ×10, first 2 shown]
	ds_load_2addr_b64 v[76:79], v14 offset0:128 offset1:160
	v_pk_fma_f16 v125, v92, v114, v125
	v_pk_fma_f16 v150, v93, v114, v97
	;; [unrolled: 1-line block ×7, first 2 shown]
	ds_load_2addr_b64 v[80:83], v14 offset0:192 offset1:224
	v_pk_fma_f16 v126, v95, v126, v122
	ds_load_2addr_b64 v[92:95], v15 offset1:32
	ds_load_2addr_b64 v[96:99], v15 offset0:64 offset1:96
	ds_load_2addr_b64 v[100:103], v15 offset0:128 offset1:160
	;; [unrolled: 1-line block ×3, first 2 shown]
	s_wait_dscnt 0x0
	s_barrier_signal -1
	s_barrier_wait -1
	s_clause 0x3
	global_load_b128 v[108:111], v[16:17], off
	global_load_b128 v[112:115], v[16:17], off offset:512
	global_load_b128 v[116:119], v[84:85], off
	global_load_b128 v[120:123], v[84:85], off offset:512
	s_wait_xcnt 0x2
	v_and_b32_e32 v16, 0xffff, v86
	s_wait_xcnt 0x0
	v_dual_lshrrev_b32 v17, 16, v86 :: v_dual_lshrrev_b32 v85, 16, v87
	v_and_b32_e32 v84, 0xffff, v87
	s_wait_loadcnt 0x3
	ds_store_b128 v65, v[108:111]
	s_wait_loadcnt 0x2
	ds_store_b128 v66, v[112:115]
	;; [unrolled: 2-line block ×4, first 2 shown]
	v_mul_u32_u24_e32 v16, 0x10001, v16
	v_mul_u32_u24_e32 v17, 0x10001, v17
	;; [unrolled: 1-line block ×4, first 2 shown]
	s_wait_dscnt 0x0
	v_pk_fma_f16 v86, v76, v16, v127
	v_pk_fma_f16 v87, v76, v17, v128
	;; [unrolled: 1-line block ×15, first 2 shown]
	v_and_b32_e32 v144, 0xffff, v88
	v_lshrrev_b32_e32 v88, 16, v88
	v_and_b32_e32 v145, 0xffff, v89
	v_lshrrev_b32_e32 v89, 16, v89
	v_pk_fma_f16 v135, v79, v17, v140
	v_pk_fma_f16 v136, v79, v84, v141
	;; [unrolled: 1-line block ×12, first 2 shown]
	v_mul_u32_u24_e32 v144, 0x10001, v144
	v_mul_u32_u24_e32 v88, 0x10001, v88
	;; [unrolled: 1-line block ×4, first 2 shown]
	v_pk_fma_f16 v16, v83, v16, v146
	v_pk_fma_f16 v143, v82, v84, v151
	;; [unrolled: 1-line block ×31, first 2 shown]
	v_and_b32_e32 v79, 0xffff, v90
	v_dual_lshrrev_b32 v80, 16, v90 :: v_dual_lshrrev_b32 v90, 16, v91
	v_and_b32_e32 v81, 0xffff, v91
	v_pk_fma_f16 v134, v98, v144, v139
	v_pk_fma_f16 v137, v98, v145, v143
	;; [unrolled: 1-line block ×3, first 2 shown]
	v_mul_u32_u24_e32 v82, 0x10001, v79
	v_mul_u32_u24_e32 v98, 0x10001, v80
	;; [unrolled: 1-line block ×4, first 2 shown]
	s_barrier_signal -1
	v_pk_fma_f16 v140, v100, v82, v85
	v_pk_fma_f16 v141, v100, v98, v86
	;; [unrolled: 1-line block ×12, first 2 shown]
	s_barrier_wait -1
	ds_load_b128 v[76:79], v64 offset:256
	v_pk_fma_f16 v84, v99, v145, v84
	v_pk_fma_f16 v16, v99, v144, v16
	;; [unrolled: 1-line block ×9, first 2 shown]
	ds_load_b128 v[84:87], v64 offset:272
	v_pk_fma_f16 v99, v99, v89, v83
	v_pk_fma_f16 v94, v103, v82, v94
	;; [unrolled: 1-line block ×8, first 2 shown]
	ds_load_2addr_b64 v[80:83], v75 offset1:32
	s_wait_dscnt 0x2
	v_and_b32_e32 v88, 0xffff, v76
	v_pk_fma_f16 v116, v106, v138, v137
	v_pk_fma_f16 v96, v104, v139, v96
	;; [unrolled: 1-line block ×3, first 2 shown]
	v_lshrrev_b32_e32 v76, 16, v76
	v_mul_u32_u24_e32 v106, 0x10001, v88
	ds_load_2addr_b64 v[88:91], v75 offset0:64 offset1:96
	v_pk_fma_f16 v115, v105, v138, v125
	v_pk_fma_f16 v97, v105, v139, v97
	v_and_b32_e32 v105, 0xffff, v77
	v_lshrrev_b32_e32 v77, 16, v77
	v_mul_u32_u24_e32 v76, 0x10001, v76
	v_pk_fma_f16 v99, v107, v139, v99
	s_or_b32 s26, s4, 48
	v_mul_u32_u24_e32 v105, 0x10001, v105
	v_mul_u32_u24_e32 v118, 0x10001, v77
	v_lshrrev_b32_e32 v77, 16, v78
	s_ashr_i32 s27, s26, 31
	s_wait_dscnt 0x1
	v_pk_fma_f16 v107, v80, v106, v140
	v_pk_fma_f16 v119, v80, v76, v141
	;; [unrolled: 1-line block ×8, first 2 shown]
	s_wait_dscnt 0x0
	v_pk_fma_f16 v103, v88, v106, v103
	v_pk_fma_f16 v110, v89, v106, v110
	;; [unrolled: 1-line block ×8, first 2 shown]
	v_and_b32_e32 v76, 0xffff, v78
	v_pk_fma_f16 v120, v80, v105, v142
	v_pk_fma_f16 v100, v80, v118, v100
	;; [unrolled: 1-line block ×8, first 2 shown]
	ds_load_2addr_b64 v[80:83], v75 offset0:128 offset1:160
	v_pk_fma_f16 v98, v88, v105, v98
	v_pk_fma_f16 v114, v89, v105, v115
	;; [unrolled: 1-line block ×6, first 2 shown]
	v_and_b32_e32 v96, 0xffff, v79
	v_lshrrev_b32_e32 v97, 16, v79
	v_mul_u32_u24_e32 v104, 0x10001, v76
	v_mul_u32_u24_e32 v116, 0x10001, v77
	ds_load_2addr_b64 v[76:79], v75 offset0:192 offset1:224
	v_pk_fma_f16 v105, v91, v105, v117
	v_mul_u32_u24_e32 v96, 0x10001, v96
	v_mul_u32_u24_e32 v97, 0x10001, v97
	v_pk_fma_f16 v99, v91, v118, v99
	s_mul_u64 s[26:27], s[26:27], s[14:15]
	s_delay_alu instid0(SALU_CYCLE_1)
	s_lshl_b64 s[26:27], s[26:27], 2
	s_wait_dscnt 0x1
	v_pk_fma_f16 v107, v80, v104, v107
	v_pk_fma_f16 v117, v80, v116, v119
	;; [unrolled: 1-line block ×16, first 2 shown]
	s_wait_dscnt 0x0
	v_pk_fma_f16 v103, v76, v104, v103
	v_pk_fma_f16 v110, v77, v104, v110
	;; [unrolled: 1-line block ×6, first 2 shown]
	ds_load_2addr_b64 v[80:83], v74 offset1:32
	v_pk_fma_f16 v112, v78, v116, v113
	v_pk_fma_f16 v98, v76, v96, v98
	;; [unrolled: 1-line block ×7, first 2 shown]
	v_and_b32_e32 v76, 0xffff, v84
	v_lshrrev_b32_e32 v77, 16, v84
	v_pk_fma_f16 v84, v78, v97, v90
	ds_load_2addr_b64 v[88:91], v74 offset0:64 offset1:96
	v_and_b32_e32 v78, 0xffff, v85
	v_lshrrev_b32_e32 v85, 16, v85
	v_pk_fma_f16 v17, v79, v116, v17
	v_mul_u32_u24_e32 v76, 0x10001, v76
	v_mul_u32_u24_e32 v116, 0x10001, v77
	v_mul_u32_u24_e32 v123, 0x10001, v78
	v_mul_u32_u24_e32 v85, 0x10001, v85
	v_pk_fma_f16 v97, v79, v97, v99
	s_wait_dscnt 0x1
	v_pk_fma_f16 v99, v80, v76, v107
	v_pk_fma_f16 v107, v80, v116, v117
	;; [unrolled: 1-line block ×12, first 2 shown]
	s_wait_dscnt 0x0
	v_pk_fma_f16 v103, v88, v76, v103
	v_pk_fma_f16 v104, v88, v116, v104
	v_pk_fma_f16 v98, v88, v123, v98
	v_pk_fma_f16 v88, v88, v85, v105
	v_and_b32_e32 v80, 0xffff, v86
	v_lshrrev_b32_e32 v81, 16, v86
	v_and_b32_e32 v82, 0xffff, v87
	v_pk_fma_f16 v105, v90, v85, v84
	v_lshrrev_b32_e32 v84, 16, v87
	v_pk_fma_f16 v94, v83, v76, v94
	v_pk_fma_f16 v108, v83, v116, v108
	;; [unrolled: 1-line block ×8, first 2 shown]
	ds_load_2addr_b64 v[76:79], v74 offset0:128 offset1:160
	v_pk_fma_f16 v112, v90, v116, v112
	v_pk_fma_f16 v17, v91, v116, v17
	;; [unrolled: 1-line block ×5, first 2 shown]
	v_mul_u32_u24_e32 v90, 0x10001, v80
	v_mul_u32_u24_e32 v115, 0x10001, v81
	v_mul_u32_u24_e32 v116, 0x10001, v82
	ds_load_2addr_b64 v[80:83], v74 offset0:192 offset1:224
	v_mul_u32_u24_e32 v122, 0x10001, v84
	v_pk_fma_f16 v97, v91, v85, v97
	ds_load_b128 v[84:87], v64 offset:288
	v_pk_fma_f16 v96, v91, v123, v96
	s_add_nc_u64 s[26:27], s[8:9], s[26:27]
	s_wait_dscnt 0x2
	v_pk_fma_f16 v99, v76, v90, v99
	v_pk_fma_f16 v123, v77, v90, v92
	;; [unrolled: 1-line block ×9, first 2 shown]
	s_wait_dscnt 0x1
	v_pk_fma_f16 v103, v80, v90, v103
	v_pk_fma_f16 v110, v81, v90, v110
	v_pk_fma_f16 v111, v82, v90, v111
	v_pk_fma_f16 v16, v83, v90, v16
	v_pk_fma_f16 v104, v80, v115, v104
	v_pk_fma_f16 v106, v81, v115, v106
	v_pk_fma_f16 v98, v80, v116, v98
	v_pk_fma_f16 v113, v81, v116, v113
	v_pk_fma_f16 v80, v80, v122, v88
	v_pk_fma_f16 v81, v81, v122, v89
	ds_load_b128 v[88:91], v64 offset:304
	s_wait_dscnt 0x1
	v_and_b32_e32 v92, 0xffff, v84
	v_pk_fma_f16 v101, v77, v122, v101
	v_pk_fma_f16 v120, v78, v115, v120
	;; [unrolled: 1-line block ×8, first 2 shown]
	ds_load_2addr_b64 v[76:79], v10 offset1:32
	v_pk_fma_f16 v17, v83, v115, v17
	v_mul_u32_u24_e32 v115, 0x10001, v92
	ds_load_2addr_b64 v[92:95], v10 offset0:64 offset1:96
	v_pk_fma_f16 v114, v82, v116, v114
	v_lshrrev_b32_e32 v84, 16, v84
	v_pk_fma_f16 v82, v82, v122, v105
	v_and_b32_e32 v105, 0xffff, v85
	v_lshrrev_b32_e32 v85, 16, v85
	v_pk_fma_f16 v96, v83, v116, v96
	v_mul_u32_u24_e32 v84, 0x10001, v84
	v_pk_fma_f16 v97, v83, v122, v97
	v_mul_u32_u24_e32 v105, 0x10001, v105
	v_mul_u32_u24_e32 v85, 0x10001, v85
	s_wait_dscnt 0x1
	v_pk_fma_f16 v107, v76, v84, v107
	v_pk_fma_f16 v118, v77, v84, v118
	v_pk_fma_f16 v120, v78, v84, v120
	v_pk_fma_f16 v108, v79, v84, v108
	s_wait_dscnt 0x0
	v_pk_fma_f16 v103, v92, v115, v103
	v_pk_fma_f16 v110, v93, v115, v110
	;; [unrolled: 1-line block ×10, first 2 shown]
	v_and_b32_e32 v80, 0xffff, v86
	v_lshrrev_b32_e32 v81, 16, v86
	v_pk_fma_f16 v99, v76, v115, v99
	v_pk_fma_f16 v116, v76, v105, v117
	;; [unrolled: 1-line block ×13, first 2 shown]
	ds_load_2addr_b64 v[76:79], v10 offset0:128 offset1:160
	v_pk_fma_f16 v113, v94, v105, v114
	v_pk_fma_f16 v96, v95, v105, v96
	v_pk_fma_f16 v86, v94, v85, v82
	v_and_b32_e32 v94, 0xffff, v87
	v_lshrrev_b32_e32 v87, 16, v87
	v_mul_u32_u24_e32 v105, 0x10001, v80
	v_mul_u32_u24_e32 v114, 0x10001, v81
	ds_load_2addr_b64 v[80:83], v10 offset0:192 offset1:224
	v_pk_fma_f16 v16, v95, v115, v16
	v_mul_u32_u24_e32 v94, 0x10001, v94
	v_mul_u32_u24_e32 v115, 0x10001, v87
	v_pk_fma_f16 v95, v95, v85, v97
	v_lshrrev_b32_e32 v85, 16, v88
	s_wait_dscnt 0x1
	v_pk_fma_f16 v97, v76, v105, v99
	v_pk_fma_f16 v99, v76, v114, v107
	;; [unrolled: 1-line block ×8, first 2 shown]
	s_wait_dscnt 0x0
	v_pk_fma_f16 v103, v80, v105, v103
	v_pk_fma_f16 v110, v81, v105, v110
	;; [unrolled: 1-line block ×7, first 2 shown]
	v_and_b32_e32 v84, 0xffff, v88
	v_pk_fma_f16 v100, v76, v115, v100
	v_pk_fma_f16 v101, v77, v115, v101
	;; [unrolled: 1-line block ×9, first 2 shown]
	ds_load_2addr_b64 v[76:79], v11 offset1:32
	v_pk_fma_f16 v98, v81, v94, v98
	v_pk_fma_f16 v113, v82, v94, v113
	;; [unrolled: 1-line block ×5, first 2 shown]
	v_and_b32_e32 v88, 0xffff, v89
	v_lshrrev_b32_e32 v89, 16, v89
	v_mul_u32_u24_e32 v92, 0x10001, v84
	v_mul_u32_u24_e32 v93, 0x10001, v85
	ds_load_2addr_b64 v[84:87], v11 offset0:64 offset1:96
	v_pk_fma_f16 v17, v83, v114, v17
	v_pk_fma_f16 v94, v83, v94, v96
	v_mul_u32_u24_e32 v88, 0x10001, v88
	v_mul_u32_u24_e32 v89, 0x10001, v89
	v_pk_fma_f16 v95, v83, v115, v95
	v_and_b32_e32 v83, 0xffff, v91
	s_wait_dscnt 0x1
	v_pk_fma_f16 v96, v76, v92, v97
	v_pk_fma_f16 v97, v76, v93, v99
	v_pk_fma_f16 v99, v76, v88, v107
	v_pk_fma_f16 v107, v77, v92, v116
	v_pk_fma_f16 v114, v77, v93, v117
	v_pk_fma_f16 v115, v77, v88, v118
	v_pk_fma_f16 v116, v78, v92, v119
	v_pk_fma_f16 v117, v78, v93, v120
	v_pk_fma_f16 v118, v78, v88, v121
	v_pk_fma_f16 v119, v79, v92, v122
	v_pk_fma_f16 v108, v79, v93, v108
	v_pk_fma_f16 v109, v79, v88, v109
	s_wait_dscnt 0x0
	v_pk_fma_f16 v103, v84, v92, v103
	v_pk_fma_f16 v110, v85, v92, v110
	;; [unrolled: 1-line block ×14, first 2 shown]
	v_and_b32_e32 v80, 0xffff, v90
	v_dual_lshrrev_b32 v81, 16, v90 :: v_dual_lshrrev_b32 v84, 16, v91
	v_pk_fma_f16 v100, v76, v89, v100
	v_pk_fma_f16 v101, v77, v89, v101
	;; [unrolled: 1-line block ×4, first 2 shown]
	ds_load_2addr_b64 v[76:79], v11 offset0:128 offset1:160
	v_pk_fma_f16 v113, v86, v89, v82
	v_mul_u32_u24_e32 v90, 0x10001, v80
	v_mul_u32_u24_e32 v91, 0x10001, v81
	;; [unrolled: 1-line block ×3, first 2 shown]
	ds_load_2addr_b64 v[80:83], v11 offset0:192 offset1:224
	v_mul_u32_u24_e32 v122, 0x10001, v84
	v_pk_fma_f16 v123, v87, v89, v95
	ds_load_b128 v[84:87], v64 offset:320
	s_wait_dscnt 0x2
	v_pk_fma_f16 v96, v76, v90, v96
	v_pk_fma_f16 v97, v76, v91, v97
	;; [unrolled: 1-line block ×12, first 2 shown]
	s_wait_dscnt 0x1
	v_pk_fma_f16 v103, v80, v90, v103
	v_pk_fma_f16 v110, v81, v90, v110
	;; [unrolled: 1-line block ×12, first 2 shown]
	ds_load_b128 v[88:91], v64 offset:336
	s_wait_dscnt 0x1
	v_and_b32_e32 v92, 0xffff, v84
	v_pk_fma_f16 v100, v76, v122, v100
	v_pk_fma_f16 v101, v77, v122, v101
	;; [unrolled: 1-line block ×4, first 2 shown]
	ds_load_2addr_b64 v[76:79], v12 offset1:32
	v_pk_fma_f16 v80, v80, v122, v94
	v_pk_fma_f16 v82, v82, v122, v113
	v_mul_u32_u24_e32 v113, 0x10001, v92
	ds_load_2addr_b64 v[92:95], v12 offset0:64 offset1:96
	v_pk_fma_f16 v81, v81, v122, v112
	v_lshrrev_b32_e32 v84, 16, v84
	v_and_b32_e32 v112, 0xffff, v85
	v_lshrrev_b32_e32 v85, 16, v85
	v_pk_fma_f16 v122, v83, v122, v123
	s_delay_alu instid0(VALU_DEP_4) | instskip(NEXT) | instid1(VALU_DEP_4)
	v_mul_u32_u24_e32 v84, 0x10001, v84
	v_mul_u32_u24_e32 v112, 0x10001, v112
	s_delay_alu instid0(VALU_DEP_4)
	v_mul_u32_u24_e32 v85, 0x10001, v85
	s_wait_dscnt 0x1
	v_pk_fma_f16 v96, v76, v113, v96
	v_pk_fma_f16 v97, v76, v84, v97
	;; [unrolled: 1-line block ×8, first 2 shown]
	s_wait_dscnt 0x0
	v_pk_fma_f16 v103, v92, v113, v103
	v_pk_fma_f16 v110, v93, v113, v110
	v_pk_fma_f16 v111, v94, v113, v111
	v_pk_fma_f16 v16, v95, v113, v16
	v_pk_fma_f16 v113, v92, v84, v124
	v_pk_fma_f16 v104, v93, v84, v104
	v_pk_fma_f16 v105, v94, v84, v105
	v_pk_fma_f16 v17, v95, v84, v17
	v_pk_fma_f16 v84, v92, v112, v125
	v_pk_fma_f16 v98, v93, v112, v98
	v_pk_fma_f16 v92, v92, v85, v80
	v_pk_fma_f16 v93, v93, v85, v81
	v_and_b32_e32 v80, 0xffff, v86
	v_lshrrev_b32_e32 v81, 16, v86
	v_pk_fma_f16 v99, v76, v112, v99
	v_pk_fma_f16 v100, v76, v85, v100
	;; [unrolled: 1-line block ×8, first 2 shown]
	ds_load_2addr_b64 v[76:79], v12 offset0:128 offset1:160
	v_pk_fma_f16 v106, v94, v112, v106
	v_pk_fma_f16 v112, v95, v112, v121
	;; [unrolled: 1-line block ×3, first 2 shown]
	v_and_b32_e32 v94, 0xffff, v87
	v_lshrrev_b32_e32 v87, 16, v87
	v_mul_u32_u24_e32 v121, 0x10001, v80
	v_mul_u32_u24_e32 v123, 0x10001, v81
	ds_load_2addr_b64 v[80:83], v12 offset0:192 offset1:224
	v_mul_u32_u24_e32 v94, 0x10001, v94
	v_mul_u32_u24_e32 v124, 0x10001, v87
	v_pk_fma_f16 v95, v95, v85, v122
	v_lshrrev_b32_e32 v85, 16, v88
	s_wait_dscnt 0x1
	v_pk_fma_f16 v96, v76, v121, v96
	v_pk_fma_f16 v107, v77, v121, v107
	;; [unrolled: 1-line block ×8, first 2 shown]
	s_wait_dscnt 0x0
	v_pk_fma_f16 v103, v80, v121, v103
	v_pk_fma_f16 v110, v81, v121, v110
	;; [unrolled: 1-line block ×5, first 2 shown]
	v_and_b32_e32 v84, 0xffff, v88
	v_pk_fma_f16 v115, v77, v94, v115
	v_pk_fma_f16 v101, v77, v124, v101
	;; [unrolled: 1-line block ×10, first 2 shown]
	ds_load_2addr_b64 v[76:79], v13 offset1:32
	v_pk_fma_f16 v105, v82, v123, v105
	v_pk_fma_f16 v98, v81, v94, v98
	;; [unrolled: 1-line block ×6, first 2 shown]
	v_and_b32_e32 v88, 0xffff, v89
	v_lshrrev_b32_e32 v89, 16, v89
	v_mul_u32_u24_e32 v92, 0x10001, v84
	v_mul_u32_u24_e32 v93, 0x10001, v85
	ds_load_2addr_b64 v[84:87], v13 offset0:64 offset1:96
	v_pk_fma_f16 v17, v83, v123, v17
	v_pk_fma_f16 v94, v83, v94, v112
	v_mul_u32_u24_e32 v88, 0x10001, v88
	v_mul_u32_u24_e32 v89, 0x10001, v89
	v_pk_fma_f16 v95, v83, v124, v95
	v_and_b32_e32 v83, 0xffff, v91
	s_wait_dscnt 0x1
	v_pk_fma_f16 v96, v76, v92, v96
	v_pk_fma_f16 v97, v76, v93, v97
	;; [unrolled: 1-line block ×12, first 2 shown]
	s_wait_dscnt 0x0
	v_pk_fma_f16 v103, v84, v92, v103
	v_pk_fma_f16 v110, v85, v92, v110
	;; [unrolled: 1-line block ×14, first 2 shown]
	v_and_b32_e32 v80, 0xffff, v90
	v_dual_lshrrev_b32 v81, 16, v90 :: v_dual_lshrrev_b32 v84, 16, v91
	v_pk_fma_f16 v100, v76, v89, v100
	v_pk_fma_f16 v101, v77, v89, v101
	;; [unrolled: 1-line block ×4, first 2 shown]
	ds_load_2addr_b64 v[76:79], v13 offset0:128 offset1:160
	v_pk_fma_f16 v120, v86, v89, v82
	v_mul_u32_u24_e32 v90, 0x10001, v80
	v_mul_u32_u24_e32 v91, 0x10001, v81
	;; [unrolled: 1-line block ×3, first 2 shown]
	ds_load_2addr_b64 v[80:83], v13 offset0:192 offset1:224
	v_mul_u32_u24_e32 v122, 0x10001, v84
	v_pk_fma_f16 v123, v87, v89, v95
	ds_load_b128 v[84:87], v64 offset:352
	s_wait_dscnt 0x2
	v_pk_fma_f16 v96, v76, v90, v96
	v_pk_fma_f16 v97, v76, v91, v97
	;; [unrolled: 1-line block ×12, first 2 shown]
	s_wait_dscnt 0x1
	v_pk_fma_f16 v103, v80, v90, v103
	v_pk_fma_f16 v110, v81, v90, v110
	;; [unrolled: 1-line block ×12, first 2 shown]
	ds_load_b128 v[88:91], v64 offset:368
	s_wait_dscnt 0x1
	v_and_b32_e32 v92, 0xffff, v84
	v_pk_fma_f16 v80, v80, v122, v94
	v_pk_fma_f16 v82, v82, v122, v120
	v_pk_fma_f16 v100, v76, v122, v100
	v_pk_fma_f16 v101, v77, v122, v101
	v_mul_u32_u24_e32 v120, 0x10001, v92
	ds_load_2addr_b64 v[92:95], v14 offset0:64 offset1:96
	v_pk_fma_f16 v102, v78, v122, v102
	v_pk_fma_f16 v119, v79, v122, v119
	ds_load_2addr_b64 v[76:79], v14 offset1:32
	v_lshrrev_b32_e32 v84, 16, v84
	v_pk_fma_f16 v81, v81, v122, v113
	v_and_b32_e32 v113, 0xffff, v85
	v_lshrrev_b32_e32 v85, 16, v85
	v_pk_fma_f16 v122, v83, v122, v123
	v_mul_u32_u24_e32 v84, 0x10001, v84
	s_delay_alu instid0(VALU_DEP_4) | instskip(NEXT) | instid1(VALU_DEP_4)
	v_mul_u32_u24_e32 v113, 0x10001, v113
	v_mul_u32_u24_e32 v126, 0x10001, v85
	s_wait_dscnt 0x1
	v_pk_fma_f16 v146, v95, v120, v16
	v_pk_fma_f16 v149, v95, v84, v17
	v_add_nc_u64_e32 v[16:17], s[26:27], v[40:41]
	s_wait_dscnt 0x0
	v_pk_fma_f16 v128, v76, v84, v97
	v_pk_fma_f16 v132, v77, v84, v112
	;; [unrolled: 1-line block ×7, first 2 shown]
	v_add_nc_u64_e32 v[84:85], s[26:27], v[42:43]
	v_add_nc_u64_e32 v[16:17], v[16:17], v[28:29]
	v_pk_fma_f16 v127, v76, v120, v96
	v_pk_fma_f16 v129, v76, v113, v99
	;; [unrolled: 1-line block ×5, first 2 shown]
	v_add_nc_u64_e32 v[84:85], v[84:85], v[28:29]
	v_pk_fma_f16 v134, v77, v126, v101
	v_pk_fma_f16 v135, v78, v120, v115
	;; [unrolled: 1-line block ×10, first 2 shown]
	ds_load_2addr_b64 v[76:79], v14 offset0:128 offset1:160
	v_pk_fma_f16 v125, v92, v113, v125
	v_pk_fma_f16 v150, v93, v113, v98
	;; [unrolled: 1-line block ×7, first 2 shown]
	ds_load_2addr_b64 v[80:83], v14 offset0:192 offset1:224
	v_pk_fma_f16 v126, v95, v126, v122
	ds_load_2addr_b64 v[92:95], v15 offset1:32
	ds_load_2addr_b64 v[96:99], v15 offset0:64 offset1:96
	ds_load_2addr_b64 v[100:103], v15 offset0:128 offset1:160
	;; [unrolled: 1-line block ×3, first 2 shown]
	s_wait_dscnt 0x0
	s_barrier_signal -1
	s_barrier_wait -1
	s_clause 0x3
	global_load_b128 v[108:111], v[16:17], off
	global_load_b128 v[112:115], v[16:17], off offset:512
	global_load_b128 v[116:119], v[84:85], off
	global_load_b128 v[120:123], v[84:85], off offset:512
	s_wait_xcnt 0x2
	v_and_b32_e32 v16, 0xffff, v86
	s_wait_xcnt 0x0
	v_dual_lshrrev_b32 v17, 16, v86 :: v_dual_lshrrev_b32 v85, 16, v87
	v_and_b32_e32 v84, 0xffff, v87
	s_wait_loadcnt 0x3
	ds_store_b128 v65, v[108:111]
	s_wait_loadcnt 0x2
	ds_store_b128 v66, v[112:115]
	;; [unrolled: 2-line block ×4, first 2 shown]
	v_mul_u32_u24_e32 v16, 0x10001, v16
	v_mul_u32_u24_e32 v17, 0x10001, v17
	;; [unrolled: 1-line block ×4, first 2 shown]
	s_wait_dscnt 0x0
	v_pk_fma_f16 v86, v76, v16, v127
	v_pk_fma_f16 v87, v76, v17, v128
	;; [unrolled: 1-line block ×15, first 2 shown]
	v_and_b32_e32 v144, 0xffff, v88
	v_lshrrev_b32_e32 v88, 16, v88
	v_and_b32_e32 v145, 0xffff, v89
	v_lshrrev_b32_e32 v89, 16, v89
	v_pk_fma_f16 v135, v79, v17, v140
	v_pk_fma_f16 v136, v79, v84, v141
	;; [unrolled: 1-line block ×12, first 2 shown]
	v_mul_u32_u24_e32 v144, 0x10001, v144
	v_mul_u32_u24_e32 v88, 0x10001, v88
	;; [unrolled: 1-line block ×4, first 2 shown]
	v_pk_fma_f16 v16, v83, v16, v146
	v_pk_fma_f16 v143, v82, v84, v151
	;; [unrolled: 1-line block ×31, first 2 shown]
	v_and_b32_e32 v79, 0xffff, v90
	v_dual_lshrrev_b32 v80, 16, v90 :: v_dual_lshrrev_b32 v90, 16, v91
	v_and_b32_e32 v81, 0xffff, v91
	v_pk_fma_f16 v134, v98, v144, v139
	v_pk_fma_f16 v137, v98, v145, v143
	;; [unrolled: 1-line block ×3, first 2 shown]
	v_mul_u32_u24_e32 v82, 0x10001, v79
	v_mul_u32_u24_e32 v98, 0x10001, v80
	;; [unrolled: 1-line block ×4, first 2 shown]
	s_barrier_signal -1
	v_pk_fma_f16 v140, v100, v82, v85
	v_pk_fma_f16 v141, v100, v98, v86
	;; [unrolled: 1-line block ×12, first 2 shown]
	s_barrier_wait -1
	ds_load_b128 v[76:79], v64 offset:384
	v_pk_fma_f16 v84, v99, v145, v84
	v_pk_fma_f16 v16, v99, v144, v16
	;; [unrolled: 1-line block ×9, first 2 shown]
	ds_load_b128 v[84:87], v64 offset:400
	v_pk_fma_f16 v99, v99, v89, v83
	v_pk_fma_f16 v94, v103, v82, v94
	;; [unrolled: 1-line block ×8, first 2 shown]
	ds_load_2addr_b64 v[80:83], v75 offset1:32
	s_wait_dscnt 0x2
	v_and_b32_e32 v88, 0xffff, v76
	v_pk_fma_f16 v116, v106, v138, v137
	v_pk_fma_f16 v96, v104, v139, v96
	;; [unrolled: 1-line block ×3, first 2 shown]
	v_lshrrev_b32_e32 v76, 16, v76
	v_mul_u32_u24_e32 v106, 0x10001, v88
	ds_load_2addr_b64 v[88:91], v75 offset0:64 offset1:96
	v_pk_fma_f16 v115, v105, v138, v125
	v_pk_fma_f16 v97, v105, v139, v97
	v_and_b32_e32 v105, 0xffff, v77
	v_lshrrev_b32_e32 v77, 16, v77
	v_mul_u32_u24_e32 v76, 0x10001, v76
	v_pk_fma_f16 v99, v107, v139, v99
	s_or_b32 s26, s4, 64
	v_mul_u32_u24_e32 v105, 0x10001, v105
	v_mul_u32_u24_e32 v118, 0x10001, v77
	v_lshrrev_b32_e32 v77, 16, v78
	s_ashr_i32 s27, s26, 31
	s_wait_dscnt 0x1
	v_pk_fma_f16 v107, v80, v106, v140
	v_pk_fma_f16 v119, v80, v76, v141
	;; [unrolled: 1-line block ×8, first 2 shown]
	s_wait_dscnt 0x0
	v_pk_fma_f16 v103, v88, v106, v103
	v_pk_fma_f16 v110, v89, v106, v110
	;; [unrolled: 1-line block ×8, first 2 shown]
	v_and_b32_e32 v76, 0xffff, v78
	v_pk_fma_f16 v120, v80, v105, v142
	v_pk_fma_f16 v100, v80, v118, v100
	;; [unrolled: 1-line block ×8, first 2 shown]
	ds_load_2addr_b64 v[80:83], v75 offset0:128 offset1:160
	v_pk_fma_f16 v98, v88, v105, v98
	v_pk_fma_f16 v114, v89, v105, v115
	;; [unrolled: 1-line block ×6, first 2 shown]
	v_and_b32_e32 v96, 0xffff, v79
	v_lshrrev_b32_e32 v97, 16, v79
	v_mul_u32_u24_e32 v104, 0x10001, v76
	v_mul_u32_u24_e32 v116, 0x10001, v77
	ds_load_2addr_b64 v[76:79], v75 offset0:192 offset1:224
	v_pk_fma_f16 v105, v91, v105, v117
	v_mul_u32_u24_e32 v96, 0x10001, v96
	v_mul_u32_u24_e32 v97, 0x10001, v97
	v_pk_fma_f16 v99, v91, v118, v99
	s_mul_u64 s[26:27], s[26:27], s[14:15]
	s_delay_alu instid0(SALU_CYCLE_1)
	s_lshl_b64 s[26:27], s[26:27], 2
	s_wait_dscnt 0x1
	v_pk_fma_f16 v107, v80, v104, v107
	v_pk_fma_f16 v117, v80, v116, v119
	;; [unrolled: 1-line block ×16, first 2 shown]
	s_wait_dscnt 0x0
	v_pk_fma_f16 v103, v76, v104, v103
	v_pk_fma_f16 v110, v77, v104, v110
	;; [unrolled: 1-line block ×6, first 2 shown]
	ds_load_2addr_b64 v[80:83], v74 offset1:32
	v_pk_fma_f16 v112, v78, v116, v113
	v_pk_fma_f16 v98, v76, v96, v98
	;; [unrolled: 1-line block ×7, first 2 shown]
	v_and_b32_e32 v76, 0xffff, v84
	v_lshrrev_b32_e32 v77, 16, v84
	v_pk_fma_f16 v84, v78, v97, v90
	ds_load_2addr_b64 v[88:91], v74 offset0:64 offset1:96
	v_and_b32_e32 v78, 0xffff, v85
	v_lshrrev_b32_e32 v85, 16, v85
	v_pk_fma_f16 v17, v79, v116, v17
	v_mul_u32_u24_e32 v76, 0x10001, v76
	v_mul_u32_u24_e32 v116, 0x10001, v77
	;; [unrolled: 1-line block ×4, first 2 shown]
	v_pk_fma_f16 v97, v79, v97, v99
	s_wait_dscnt 0x1
	v_pk_fma_f16 v99, v80, v76, v107
	v_pk_fma_f16 v107, v80, v116, v117
	;; [unrolled: 1-line block ×12, first 2 shown]
	s_wait_dscnt 0x0
	v_pk_fma_f16 v103, v88, v76, v103
	v_pk_fma_f16 v104, v88, v116, v104
	;; [unrolled: 1-line block ×4, first 2 shown]
	v_and_b32_e32 v80, 0xffff, v86
	v_lshrrev_b32_e32 v81, 16, v86
	v_and_b32_e32 v82, 0xffff, v87
	v_pk_fma_f16 v105, v90, v85, v84
	v_lshrrev_b32_e32 v84, 16, v87
	v_pk_fma_f16 v94, v83, v76, v94
	v_pk_fma_f16 v108, v83, v116, v108
	v_pk_fma_f16 v109, v83, v123, v109
	v_pk_fma_f16 v95, v83, v85, v95
	v_pk_fma_f16 v110, v89, v76, v110
	v_pk_fma_f16 v111, v90, v76, v111
	v_pk_fma_f16 v16, v91, v76, v16
	v_pk_fma_f16 v106, v89, v116, v106
	ds_load_2addr_b64 v[76:79], v74 offset0:128 offset1:160
	v_pk_fma_f16 v112, v90, v116, v112
	v_pk_fma_f16 v17, v91, v116, v17
	;; [unrolled: 1-line block ×5, first 2 shown]
	v_mul_u32_u24_e32 v90, 0x10001, v80
	v_mul_u32_u24_e32 v115, 0x10001, v81
	;; [unrolled: 1-line block ×3, first 2 shown]
	ds_load_2addr_b64 v[80:83], v74 offset0:192 offset1:224
	v_mul_u32_u24_e32 v122, 0x10001, v84
	v_pk_fma_f16 v97, v91, v85, v97
	ds_load_b128 v[84:87], v64 offset:416
	v_pk_fma_f16 v96, v91, v123, v96
	s_add_nc_u64 s[26:27], s[8:9], s[26:27]
	s_wait_dscnt 0x2
	v_pk_fma_f16 v99, v76, v90, v99
	v_pk_fma_f16 v123, v77, v90, v92
	;; [unrolled: 1-line block ×9, first 2 shown]
	s_wait_dscnt 0x1
	v_pk_fma_f16 v103, v80, v90, v103
	v_pk_fma_f16 v110, v81, v90, v110
	;; [unrolled: 1-line block ×10, first 2 shown]
	ds_load_b128 v[88:91], v64 offset:432
	s_wait_dscnt 0x1
	v_and_b32_e32 v92, 0xffff, v84
	v_pk_fma_f16 v101, v77, v122, v101
	v_pk_fma_f16 v120, v78, v115, v120
	;; [unrolled: 1-line block ×8, first 2 shown]
	ds_load_2addr_b64 v[76:79], v10 offset1:32
	v_pk_fma_f16 v17, v83, v115, v17
	v_mul_u32_u24_e32 v115, 0x10001, v92
	ds_load_2addr_b64 v[92:95], v10 offset0:64 offset1:96
	v_pk_fma_f16 v114, v82, v116, v114
	v_lshrrev_b32_e32 v84, 16, v84
	v_pk_fma_f16 v82, v82, v122, v105
	v_and_b32_e32 v105, 0xffff, v85
	v_lshrrev_b32_e32 v85, 16, v85
	v_pk_fma_f16 v96, v83, v116, v96
	v_mul_u32_u24_e32 v84, 0x10001, v84
	v_pk_fma_f16 v97, v83, v122, v97
	v_mul_u32_u24_e32 v105, 0x10001, v105
	v_mul_u32_u24_e32 v85, 0x10001, v85
	s_wait_dscnt 0x1
	v_pk_fma_f16 v107, v76, v84, v107
	v_pk_fma_f16 v118, v77, v84, v118
	;; [unrolled: 1-line block ×4, first 2 shown]
	s_wait_dscnt 0x0
	v_pk_fma_f16 v103, v92, v115, v103
	v_pk_fma_f16 v110, v93, v115, v110
	;; [unrolled: 1-line block ×10, first 2 shown]
	v_and_b32_e32 v80, 0xffff, v86
	v_lshrrev_b32_e32 v81, 16, v86
	v_pk_fma_f16 v99, v76, v115, v99
	v_pk_fma_f16 v116, v76, v105, v117
	;; [unrolled: 1-line block ×13, first 2 shown]
	ds_load_2addr_b64 v[76:79], v10 offset0:128 offset1:160
	v_pk_fma_f16 v113, v94, v105, v114
	v_pk_fma_f16 v96, v95, v105, v96
	;; [unrolled: 1-line block ×3, first 2 shown]
	v_and_b32_e32 v94, 0xffff, v87
	v_lshrrev_b32_e32 v87, 16, v87
	v_mul_u32_u24_e32 v105, 0x10001, v80
	v_mul_u32_u24_e32 v114, 0x10001, v81
	ds_load_2addr_b64 v[80:83], v10 offset0:192 offset1:224
	v_pk_fma_f16 v16, v95, v115, v16
	v_mul_u32_u24_e32 v94, 0x10001, v94
	v_mul_u32_u24_e32 v115, 0x10001, v87
	v_pk_fma_f16 v95, v95, v85, v97
	v_lshrrev_b32_e32 v85, 16, v88
	s_wait_dscnt 0x1
	v_pk_fma_f16 v97, v76, v105, v99
	v_pk_fma_f16 v99, v76, v114, v107
	;; [unrolled: 1-line block ×8, first 2 shown]
	s_wait_dscnt 0x0
	v_pk_fma_f16 v103, v80, v105, v103
	v_pk_fma_f16 v110, v81, v105, v110
	;; [unrolled: 1-line block ×7, first 2 shown]
	v_and_b32_e32 v84, 0xffff, v88
	v_pk_fma_f16 v100, v76, v115, v100
	v_pk_fma_f16 v101, v77, v115, v101
	;; [unrolled: 1-line block ×9, first 2 shown]
	ds_load_2addr_b64 v[76:79], v11 offset1:32
	v_pk_fma_f16 v98, v81, v94, v98
	v_pk_fma_f16 v113, v82, v94, v113
	;; [unrolled: 1-line block ×5, first 2 shown]
	v_and_b32_e32 v88, 0xffff, v89
	v_lshrrev_b32_e32 v89, 16, v89
	v_mul_u32_u24_e32 v92, 0x10001, v84
	v_mul_u32_u24_e32 v93, 0x10001, v85
	ds_load_2addr_b64 v[84:87], v11 offset0:64 offset1:96
	v_pk_fma_f16 v17, v83, v114, v17
	v_pk_fma_f16 v94, v83, v94, v96
	v_mul_u32_u24_e32 v88, 0x10001, v88
	v_mul_u32_u24_e32 v89, 0x10001, v89
	v_pk_fma_f16 v95, v83, v115, v95
	v_and_b32_e32 v83, 0xffff, v91
	s_wait_dscnt 0x1
	v_pk_fma_f16 v96, v76, v92, v97
	v_pk_fma_f16 v97, v76, v93, v99
	;; [unrolled: 1-line block ×12, first 2 shown]
	s_wait_dscnt 0x0
	v_pk_fma_f16 v103, v84, v92, v103
	v_pk_fma_f16 v110, v85, v92, v110
	v_pk_fma_f16 v111, v86, v92, v111
	v_pk_fma_f16 v16, v87, v92, v16
	v_pk_fma_f16 v92, v84, v93, v104
	v_pk_fma_f16 v104, v85, v93, v105
	v_pk_fma_f16 v105, v86, v93, v106
	v_pk_fma_f16 v17, v87, v93, v17
	v_pk_fma_f16 v93, v84, v88, v112
	v_pk_fma_f16 v98, v85, v88, v98
	v_pk_fma_f16 v106, v86, v88, v113
	v_pk_fma_f16 v88, v87, v88, v94
	v_pk_fma_f16 v94, v84, v89, v80
	v_pk_fma_f16 v112, v85, v89, v81
	v_and_b32_e32 v80, 0xffff, v90
	v_dual_lshrrev_b32 v81, 16, v90 :: v_dual_lshrrev_b32 v84, 16, v91
	v_pk_fma_f16 v100, v76, v89, v100
	v_pk_fma_f16 v101, v77, v89, v101
	;; [unrolled: 1-line block ×4, first 2 shown]
	ds_load_2addr_b64 v[76:79], v11 offset0:128 offset1:160
	v_pk_fma_f16 v113, v86, v89, v82
	v_mul_u32_u24_e32 v90, 0x10001, v80
	v_mul_u32_u24_e32 v91, 0x10001, v81
	;; [unrolled: 1-line block ×3, first 2 shown]
	ds_load_2addr_b64 v[80:83], v11 offset0:192 offset1:224
	v_mul_u32_u24_e32 v122, 0x10001, v84
	v_pk_fma_f16 v123, v87, v89, v95
	ds_load_b128 v[84:87], v64 offset:448
	s_wait_dscnt 0x2
	v_pk_fma_f16 v96, v76, v90, v96
	v_pk_fma_f16 v97, v76, v91, v97
	;; [unrolled: 1-line block ×12, first 2 shown]
	s_wait_dscnt 0x1
	v_pk_fma_f16 v103, v80, v90, v103
	v_pk_fma_f16 v110, v81, v90, v110
	;; [unrolled: 1-line block ×12, first 2 shown]
	ds_load_b128 v[88:91], v64 offset:464
	s_wait_dscnt 0x1
	v_and_b32_e32 v92, 0xffff, v84
	v_pk_fma_f16 v100, v76, v122, v100
	v_pk_fma_f16 v101, v77, v122, v101
	;; [unrolled: 1-line block ×4, first 2 shown]
	ds_load_2addr_b64 v[76:79], v12 offset1:32
	v_pk_fma_f16 v80, v80, v122, v94
	v_pk_fma_f16 v82, v82, v122, v113
	v_mul_u32_u24_e32 v113, 0x10001, v92
	ds_load_2addr_b64 v[92:95], v12 offset0:64 offset1:96
	v_pk_fma_f16 v81, v81, v122, v112
	v_lshrrev_b32_e32 v84, 16, v84
	v_and_b32_e32 v112, 0xffff, v85
	v_lshrrev_b32_e32 v85, 16, v85
	v_pk_fma_f16 v122, v83, v122, v123
	s_delay_alu instid0(VALU_DEP_4) | instskip(NEXT) | instid1(VALU_DEP_4)
	v_mul_u32_u24_e32 v84, 0x10001, v84
	v_mul_u32_u24_e32 v112, 0x10001, v112
	s_delay_alu instid0(VALU_DEP_4)
	v_mul_u32_u24_e32 v85, 0x10001, v85
	s_wait_dscnt 0x1
	v_pk_fma_f16 v96, v76, v113, v96
	v_pk_fma_f16 v97, v76, v84, v97
	;; [unrolled: 1-line block ×8, first 2 shown]
	s_wait_dscnt 0x0
	v_pk_fma_f16 v103, v92, v113, v103
	v_pk_fma_f16 v110, v93, v113, v110
	;; [unrolled: 1-line block ×12, first 2 shown]
	v_and_b32_e32 v80, 0xffff, v86
	v_lshrrev_b32_e32 v81, 16, v86
	v_pk_fma_f16 v99, v76, v112, v99
	v_pk_fma_f16 v100, v76, v85, v100
	;; [unrolled: 1-line block ×8, first 2 shown]
	ds_load_2addr_b64 v[76:79], v12 offset0:128 offset1:160
	v_pk_fma_f16 v106, v94, v112, v106
	v_pk_fma_f16 v112, v95, v112, v121
	;; [unrolled: 1-line block ×3, first 2 shown]
	v_and_b32_e32 v94, 0xffff, v87
	v_lshrrev_b32_e32 v87, 16, v87
	v_mul_u32_u24_e32 v121, 0x10001, v80
	v_mul_u32_u24_e32 v123, 0x10001, v81
	ds_load_2addr_b64 v[80:83], v12 offset0:192 offset1:224
	v_mul_u32_u24_e32 v94, 0x10001, v94
	v_mul_u32_u24_e32 v124, 0x10001, v87
	v_pk_fma_f16 v95, v95, v85, v122
	v_lshrrev_b32_e32 v85, 16, v88
	s_wait_dscnt 0x1
	v_pk_fma_f16 v96, v76, v121, v96
	v_pk_fma_f16 v107, v77, v121, v107
	v_pk_fma_f16 v116, v78, v121, v116
	v_pk_fma_f16 v119, v79, v121, v119
	v_pk_fma_f16 v97, v76, v123, v97
	v_pk_fma_f16 v99, v76, v94, v99
	v_pk_fma_f16 v100, v76, v124, v100
	v_pk_fma_f16 v114, v77, v123, v114
	s_wait_dscnt 0x0
	v_pk_fma_f16 v103, v80, v121, v103
	v_pk_fma_f16 v110, v81, v121, v110
	;; [unrolled: 1-line block ×5, first 2 shown]
	v_and_b32_e32 v84, 0xffff, v88
	v_pk_fma_f16 v115, v77, v94, v115
	v_pk_fma_f16 v101, v77, v124, v101
	;; [unrolled: 1-line block ×10, first 2 shown]
	ds_load_2addr_b64 v[76:79], v13 offset1:32
	v_pk_fma_f16 v105, v82, v123, v105
	v_pk_fma_f16 v98, v81, v94, v98
	;; [unrolled: 1-line block ×6, first 2 shown]
	v_and_b32_e32 v88, 0xffff, v89
	v_lshrrev_b32_e32 v89, 16, v89
	v_mul_u32_u24_e32 v92, 0x10001, v84
	v_mul_u32_u24_e32 v93, 0x10001, v85
	ds_load_2addr_b64 v[84:87], v13 offset0:64 offset1:96
	v_pk_fma_f16 v17, v83, v123, v17
	v_pk_fma_f16 v94, v83, v94, v112
	v_mul_u32_u24_e32 v88, 0x10001, v88
	v_mul_u32_u24_e32 v89, 0x10001, v89
	v_pk_fma_f16 v95, v83, v124, v95
	v_and_b32_e32 v83, 0xffff, v91
	s_wait_dscnt 0x1
	v_pk_fma_f16 v96, v76, v92, v96
	v_pk_fma_f16 v97, v76, v93, v97
	;; [unrolled: 1-line block ×12, first 2 shown]
	s_wait_dscnt 0x0
	v_pk_fma_f16 v103, v84, v92, v103
	v_pk_fma_f16 v110, v85, v92, v110
	;; [unrolled: 1-line block ×14, first 2 shown]
	v_and_b32_e32 v80, 0xffff, v90
	v_dual_lshrrev_b32 v81, 16, v90 :: v_dual_lshrrev_b32 v84, 16, v91
	v_pk_fma_f16 v100, v76, v89, v100
	v_pk_fma_f16 v101, v77, v89, v101
	;; [unrolled: 1-line block ×4, first 2 shown]
	ds_load_2addr_b64 v[76:79], v13 offset0:128 offset1:160
	v_pk_fma_f16 v120, v86, v89, v82
	v_mul_u32_u24_e32 v90, 0x10001, v80
	v_mul_u32_u24_e32 v91, 0x10001, v81
	v_mul_u32_u24_e32 v121, 0x10001, v83
	ds_load_2addr_b64 v[80:83], v13 offset0:192 offset1:224
	v_mul_u32_u24_e32 v122, 0x10001, v84
	v_pk_fma_f16 v123, v87, v89, v95
	ds_load_b128 v[84:87], v64 offset:480
	s_wait_dscnt 0x2
	v_pk_fma_f16 v96, v76, v90, v96
	v_pk_fma_f16 v97, v76, v91, v97
	;; [unrolled: 1-line block ×12, first 2 shown]
	s_wait_dscnt 0x1
	v_pk_fma_f16 v103, v80, v90, v103
	v_pk_fma_f16 v110, v81, v90, v110
	;; [unrolled: 1-line block ×12, first 2 shown]
	ds_load_b128 v[88:91], v64 offset:496
	s_wait_dscnt 0x1
	v_and_b32_e32 v92, 0xffff, v84
	v_pk_fma_f16 v80, v80, v122, v94
	v_pk_fma_f16 v82, v82, v122, v120
	;; [unrolled: 1-line block ×4, first 2 shown]
	v_mul_u32_u24_e32 v120, 0x10001, v92
	ds_load_2addr_b64 v[92:95], v14 offset0:64 offset1:96
	v_pk_fma_f16 v102, v78, v122, v102
	v_pk_fma_f16 v119, v79, v122, v119
	ds_load_2addr_b64 v[76:79], v14 offset1:32
	v_lshrrev_b32_e32 v84, 16, v84
	v_pk_fma_f16 v81, v81, v122, v113
	v_and_b32_e32 v113, 0xffff, v85
	v_lshrrev_b32_e32 v85, 16, v85
	v_pk_fma_f16 v122, v83, v122, v123
	v_mul_u32_u24_e32 v84, 0x10001, v84
	s_delay_alu instid0(VALU_DEP_4) | instskip(NEXT) | instid1(VALU_DEP_4)
	v_mul_u32_u24_e32 v113, 0x10001, v113
	v_mul_u32_u24_e32 v126, 0x10001, v85
	s_wait_dscnt 0x1
	v_pk_fma_f16 v146, v95, v120, v16
	v_pk_fma_f16 v149, v95, v84, v17
	v_add_nc_u64_e32 v[16:17], s[26:27], v[40:41]
	s_wait_dscnt 0x0
	v_pk_fma_f16 v128, v76, v84, v97
	v_pk_fma_f16 v132, v77, v84, v112
	;; [unrolled: 1-line block ×7, first 2 shown]
	v_add_nc_u64_e32 v[84:85], s[26:27], v[42:43]
	v_add_nc_u64_e32 v[16:17], v[16:17], v[28:29]
	v_pk_fma_f16 v127, v76, v120, v96
	v_pk_fma_f16 v129, v76, v113, v99
	;; [unrolled: 1-line block ×5, first 2 shown]
	v_add_nc_u64_e32 v[84:85], v[84:85], v[28:29]
	v_pk_fma_f16 v134, v77, v126, v101
	v_pk_fma_f16 v135, v78, v120, v115
	;; [unrolled: 1-line block ×10, first 2 shown]
	ds_load_2addr_b64 v[76:79], v14 offset0:128 offset1:160
	v_pk_fma_f16 v125, v92, v113, v125
	v_pk_fma_f16 v150, v93, v113, v98
	;; [unrolled: 1-line block ×7, first 2 shown]
	ds_load_2addr_b64 v[80:83], v14 offset0:192 offset1:224
	v_pk_fma_f16 v126, v95, v126, v122
	ds_load_2addr_b64 v[92:95], v15 offset1:32
	ds_load_2addr_b64 v[96:99], v15 offset0:64 offset1:96
	ds_load_2addr_b64 v[100:103], v15 offset0:128 offset1:160
	;; [unrolled: 1-line block ×3, first 2 shown]
	s_wait_dscnt 0x0
	s_barrier_signal -1
	s_barrier_wait -1
	s_clause 0x3
	global_load_b128 v[108:111], v[16:17], off
	global_load_b128 v[112:115], v[16:17], off offset:512
	global_load_b128 v[116:119], v[84:85], off
	global_load_b128 v[120:123], v[84:85], off offset:512
	s_wait_xcnt 0x2
	v_and_b32_e32 v16, 0xffff, v86
	s_wait_xcnt 0x0
	v_dual_lshrrev_b32 v17, 16, v86 :: v_dual_lshrrev_b32 v85, 16, v87
	v_and_b32_e32 v84, 0xffff, v87
	s_wait_loadcnt 0x3
	ds_store_b128 v65, v[108:111]
	s_wait_loadcnt 0x2
	ds_store_b128 v66, v[112:115]
	;; [unrolled: 2-line block ×4, first 2 shown]
	v_mul_u32_u24_e32 v16, 0x10001, v16
	v_mul_u32_u24_e32 v17, 0x10001, v17
	;; [unrolled: 1-line block ×4, first 2 shown]
	s_wait_dscnt 0x0
	v_pk_fma_f16 v86, v76, v16, v127
	v_pk_fma_f16 v87, v76, v17, v128
	v_pk_fma_f16 v127, v76, v84, v129
	v_pk_fma_f16 v76, v76, v85, v130
	v_pk_fma_f16 v128, v77, v16, v131
	v_pk_fma_f16 v129, v77, v17, v132
	v_pk_fma_f16 v130, v77, v84, v133
	v_pk_fma_f16 v77, v77, v85, v134
	v_pk_fma_f16 v131, v78, v16, v135
	v_pk_fma_f16 v132, v78, v17, v136
	v_pk_fma_f16 v133, v78, v84, v137
	v_pk_fma_f16 v78, v78, v85, v138
	v_pk_fma_f16 v134, v79, v16, v139
	v_pk_fma_f16 v138, v81, v16, v144
	v_pk_fma_f16 v139, v82, v16, v145
	v_and_b32_e32 v144, 0xffff, v88
	v_lshrrev_b32_e32 v88, 16, v88
	v_and_b32_e32 v145, 0xffff, v89
	v_lshrrev_b32_e32 v89, 16, v89
	v_pk_fma_f16 v135, v79, v17, v140
	v_pk_fma_f16 v136, v79, v84, v141
	;; [unrolled: 1-line block ×12, first 2 shown]
	v_mul_u32_u24_e32 v144, 0x10001, v144
	v_mul_u32_u24_e32 v88, 0x10001, v88
	;; [unrolled: 1-line block ×4, first 2 shown]
	v_pk_fma_f16 v16, v83, v16, v146
	v_pk_fma_f16 v143, v82, v84, v151
	;; [unrolled: 1-line block ×31, first 2 shown]
	v_and_b32_e32 v79, 0xffff, v90
	v_dual_lshrrev_b32 v80, 16, v90 :: v_dual_lshrrev_b32 v90, 16, v91
	v_and_b32_e32 v81, 0xffff, v91
	v_pk_fma_f16 v134, v98, v144, v139
	v_pk_fma_f16 v137, v98, v145, v143
	;; [unrolled: 1-line block ×3, first 2 shown]
	v_mul_u32_u24_e32 v82, 0x10001, v79
	v_mul_u32_u24_e32 v98, 0x10001, v80
	;; [unrolled: 1-line block ×4, first 2 shown]
	s_barrier_signal -1
	v_pk_fma_f16 v140, v100, v82, v85
	v_pk_fma_f16 v141, v100, v98, v86
	;; [unrolled: 1-line block ×12, first 2 shown]
	s_barrier_wait -1
	ds_load_b128 v[76:79], v64 offset:512
	v_pk_fma_f16 v84, v99, v145, v84
	v_pk_fma_f16 v16, v99, v144, v16
	;; [unrolled: 1-line block ×9, first 2 shown]
	ds_load_b128 v[84:87], v64 offset:528
	v_pk_fma_f16 v99, v99, v89, v83
	v_pk_fma_f16 v94, v103, v82, v94
	v_pk_fma_f16 v109, v103, v138, v131
	v_pk_fma_f16 v95, v103, v139, v95
	v_pk_fma_f16 v103, v104, v82, v132
	v_pk_fma_f16 v110, v105, v82, v133
	v_pk_fma_f16 v111, v106, v82, v134
	v_pk_fma_f16 v16, v107, v82, v16
	ds_load_2addr_b64 v[80:83], v75 offset1:32
	s_wait_dscnt 0x2
	v_and_b32_e32 v88, 0xffff, v76
	v_pk_fma_f16 v116, v106, v138, v137
	v_pk_fma_f16 v96, v104, v139, v96
	;; [unrolled: 1-line block ×3, first 2 shown]
	v_lshrrev_b32_e32 v76, 16, v76
	v_mul_u32_u24_e32 v106, 0x10001, v88
	ds_load_2addr_b64 v[88:91], v75 offset0:64 offset1:96
	v_pk_fma_f16 v115, v105, v138, v125
	v_pk_fma_f16 v97, v105, v139, v97
	v_and_b32_e32 v105, 0xffff, v77
	v_lshrrev_b32_e32 v77, 16, v77
	v_mul_u32_u24_e32 v76, 0x10001, v76
	v_pk_fma_f16 v99, v107, v139, v99
	s_or_b32 s26, s4, 0x50
	v_mul_u32_u24_e32 v105, 0x10001, v105
	v_mul_u32_u24_e32 v118, 0x10001, v77
	v_lshrrev_b32_e32 v77, 16, v78
	s_ashr_i32 s27, s26, 31
	s_wait_dscnt 0x1
	v_pk_fma_f16 v107, v80, v106, v140
	v_pk_fma_f16 v119, v80, v76, v141
	;; [unrolled: 1-line block ×8, first 2 shown]
	s_wait_dscnt 0x0
	v_pk_fma_f16 v103, v88, v106, v103
	v_pk_fma_f16 v110, v89, v106, v110
	;; [unrolled: 1-line block ×8, first 2 shown]
	v_and_b32_e32 v76, 0xffff, v78
	v_pk_fma_f16 v120, v80, v105, v142
	v_pk_fma_f16 v100, v80, v118, v100
	;; [unrolled: 1-line block ×8, first 2 shown]
	ds_load_2addr_b64 v[80:83], v75 offset0:128 offset1:160
	v_pk_fma_f16 v98, v88, v105, v98
	v_pk_fma_f16 v114, v89, v105, v115
	;; [unrolled: 1-line block ×6, first 2 shown]
	v_and_b32_e32 v96, 0xffff, v79
	v_lshrrev_b32_e32 v97, 16, v79
	v_mul_u32_u24_e32 v104, 0x10001, v76
	v_mul_u32_u24_e32 v116, 0x10001, v77
	ds_load_2addr_b64 v[76:79], v75 offset0:192 offset1:224
	v_pk_fma_f16 v105, v91, v105, v117
	v_mul_u32_u24_e32 v96, 0x10001, v96
	v_mul_u32_u24_e32 v97, 0x10001, v97
	v_pk_fma_f16 v99, v91, v118, v99
	s_mul_u64 s[26:27], s[26:27], s[14:15]
	s_delay_alu instid0(SALU_CYCLE_1)
	s_lshl_b64 s[26:27], s[26:27], 2
	s_wait_dscnt 0x1
	v_pk_fma_f16 v107, v80, v104, v107
	v_pk_fma_f16 v117, v80, v116, v119
	v_pk_fma_f16 v118, v80, v96, v120
	v_pk_fma_f16 v100, v80, v97, v100
	v_pk_fma_f16 v92, v81, v104, v92
	v_pk_fma_f16 v119, v81, v116, v121
	v_pk_fma_f16 v120, v81, v96, v122
	v_pk_fma_f16 v101, v81, v97, v101
	v_pk_fma_f16 v93, v82, v104, v93
	v_pk_fma_f16 v121, v82, v116, v123
	v_pk_fma_f16 v122, v82, v96, v124
	v_pk_fma_f16 v102, v82, v97, v102
	v_pk_fma_f16 v94, v83, v104, v94
	v_pk_fma_f16 v108, v83, v116, v108
	v_pk_fma_f16 v109, v83, v96, v109
	v_pk_fma_f16 v95, v83, v97, v95
	s_wait_dscnt 0x0
	v_pk_fma_f16 v103, v76, v104, v103
	v_pk_fma_f16 v110, v77, v104, v110
	;; [unrolled: 1-line block ×6, first 2 shown]
	ds_load_2addr_b64 v[80:83], v74 offset1:32
	v_pk_fma_f16 v112, v78, v116, v113
	v_pk_fma_f16 v98, v76, v96, v98
	;; [unrolled: 1-line block ×7, first 2 shown]
	v_and_b32_e32 v76, 0xffff, v84
	v_lshrrev_b32_e32 v77, 16, v84
	v_pk_fma_f16 v84, v78, v97, v90
	ds_load_2addr_b64 v[88:91], v74 offset0:64 offset1:96
	v_and_b32_e32 v78, 0xffff, v85
	v_lshrrev_b32_e32 v85, 16, v85
	v_pk_fma_f16 v17, v79, v116, v17
	v_mul_u32_u24_e32 v76, 0x10001, v76
	v_mul_u32_u24_e32 v116, 0x10001, v77
	;; [unrolled: 1-line block ×4, first 2 shown]
	v_pk_fma_f16 v97, v79, v97, v99
	s_wait_dscnt 0x1
	v_pk_fma_f16 v99, v80, v76, v107
	v_pk_fma_f16 v107, v80, v116, v117
	;; [unrolled: 1-line block ×12, first 2 shown]
	s_wait_dscnt 0x0
	v_pk_fma_f16 v103, v88, v76, v103
	v_pk_fma_f16 v104, v88, v116, v104
	;; [unrolled: 1-line block ×4, first 2 shown]
	v_and_b32_e32 v80, 0xffff, v86
	v_lshrrev_b32_e32 v81, 16, v86
	v_and_b32_e32 v82, 0xffff, v87
	v_pk_fma_f16 v105, v90, v85, v84
	v_lshrrev_b32_e32 v84, 16, v87
	v_pk_fma_f16 v94, v83, v76, v94
	v_pk_fma_f16 v108, v83, v116, v108
	;; [unrolled: 1-line block ×8, first 2 shown]
	ds_load_2addr_b64 v[76:79], v74 offset0:128 offset1:160
	v_pk_fma_f16 v112, v90, v116, v112
	v_pk_fma_f16 v17, v91, v116, v17
	v_pk_fma_f16 v113, v89, v123, v113
	v_pk_fma_f16 v114, v90, v123, v114
	v_pk_fma_f16 v89, v89, v85, v115
	v_mul_u32_u24_e32 v90, 0x10001, v80
	v_mul_u32_u24_e32 v115, 0x10001, v81
	;; [unrolled: 1-line block ×3, first 2 shown]
	ds_load_2addr_b64 v[80:83], v74 offset0:192 offset1:224
	v_mul_u32_u24_e32 v122, 0x10001, v84
	v_pk_fma_f16 v97, v91, v85, v97
	ds_load_b128 v[84:87], v64 offset:544
	v_pk_fma_f16 v96, v91, v123, v96
	s_add_nc_u64 s[26:27], s[8:9], s[26:27]
	s_wait_dscnt 0x2
	v_pk_fma_f16 v99, v76, v90, v99
	v_pk_fma_f16 v123, v77, v90, v92
	;; [unrolled: 1-line block ×9, first 2 shown]
	s_wait_dscnt 0x1
	v_pk_fma_f16 v103, v80, v90, v103
	v_pk_fma_f16 v110, v81, v90, v110
	v_pk_fma_f16 v111, v82, v90, v111
	v_pk_fma_f16 v16, v83, v90, v16
	v_pk_fma_f16 v104, v80, v115, v104
	v_pk_fma_f16 v106, v81, v115, v106
	v_pk_fma_f16 v98, v80, v116, v98
	v_pk_fma_f16 v113, v81, v116, v113
	v_pk_fma_f16 v80, v80, v122, v88
	v_pk_fma_f16 v81, v81, v122, v89
	ds_load_b128 v[88:91], v64 offset:560
	s_wait_dscnt 0x1
	v_and_b32_e32 v92, 0xffff, v84
	v_pk_fma_f16 v101, v77, v122, v101
	v_pk_fma_f16 v120, v78, v115, v120
	;; [unrolled: 1-line block ×8, first 2 shown]
	ds_load_2addr_b64 v[76:79], v10 offset1:32
	v_pk_fma_f16 v17, v83, v115, v17
	v_mul_u32_u24_e32 v115, 0x10001, v92
	ds_load_2addr_b64 v[92:95], v10 offset0:64 offset1:96
	v_pk_fma_f16 v114, v82, v116, v114
	v_lshrrev_b32_e32 v84, 16, v84
	v_pk_fma_f16 v82, v82, v122, v105
	v_and_b32_e32 v105, 0xffff, v85
	v_lshrrev_b32_e32 v85, 16, v85
	v_pk_fma_f16 v96, v83, v116, v96
	v_mul_u32_u24_e32 v84, 0x10001, v84
	v_pk_fma_f16 v97, v83, v122, v97
	v_mul_u32_u24_e32 v105, 0x10001, v105
	v_mul_u32_u24_e32 v85, 0x10001, v85
	s_wait_dscnt 0x1
	v_pk_fma_f16 v107, v76, v84, v107
	v_pk_fma_f16 v118, v77, v84, v118
	;; [unrolled: 1-line block ×4, first 2 shown]
	s_wait_dscnt 0x0
	v_pk_fma_f16 v103, v92, v115, v103
	v_pk_fma_f16 v110, v93, v115, v110
	v_pk_fma_f16 v104, v92, v84, v104
	v_pk_fma_f16 v106, v93, v84, v106
	v_pk_fma_f16 v112, v94, v84, v112
	v_pk_fma_f16 v17, v95, v84, v17
	v_pk_fma_f16 v84, v92, v105, v98
	v_pk_fma_f16 v98, v93, v105, v113
	v_pk_fma_f16 v92, v92, v85, v80
	v_pk_fma_f16 v93, v93, v85, v81
	v_and_b32_e32 v80, 0xffff, v86
	v_lshrrev_b32_e32 v81, 16, v86
	v_pk_fma_f16 v99, v76, v115, v99
	v_pk_fma_f16 v116, v76, v105, v117
	;; [unrolled: 1-line block ×13, first 2 shown]
	ds_load_2addr_b64 v[76:79], v10 offset0:128 offset1:160
	v_pk_fma_f16 v113, v94, v105, v114
	v_pk_fma_f16 v96, v95, v105, v96
	;; [unrolled: 1-line block ×3, first 2 shown]
	v_and_b32_e32 v94, 0xffff, v87
	v_lshrrev_b32_e32 v87, 16, v87
	v_mul_u32_u24_e32 v105, 0x10001, v80
	v_mul_u32_u24_e32 v114, 0x10001, v81
	ds_load_2addr_b64 v[80:83], v10 offset0:192 offset1:224
	v_pk_fma_f16 v16, v95, v115, v16
	v_mul_u32_u24_e32 v94, 0x10001, v94
	v_mul_u32_u24_e32 v115, 0x10001, v87
	v_pk_fma_f16 v95, v95, v85, v97
	v_lshrrev_b32_e32 v85, 16, v88
	s_wait_dscnt 0x1
	v_pk_fma_f16 v97, v76, v105, v99
	v_pk_fma_f16 v99, v76, v114, v107
	;; [unrolled: 1-line block ×8, first 2 shown]
	s_wait_dscnt 0x0
	v_pk_fma_f16 v103, v80, v105, v103
	v_pk_fma_f16 v110, v81, v105, v110
	;; [unrolled: 1-line block ×7, first 2 shown]
	v_and_b32_e32 v84, 0xffff, v88
	v_pk_fma_f16 v100, v76, v115, v100
	v_pk_fma_f16 v101, v77, v115, v101
	;; [unrolled: 1-line block ×9, first 2 shown]
	ds_load_2addr_b64 v[76:79], v11 offset1:32
	v_pk_fma_f16 v98, v81, v94, v98
	v_pk_fma_f16 v113, v82, v94, v113
	;; [unrolled: 1-line block ×5, first 2 shown]
	v_and_b32_e32 v88, 0xffff, v89
	v_lshrrev_b32_e32 v89, 16, v89
	v_mul_u32_u24_e32 v92, 0x10001, v84
	v_mul_u32_u24_e32 v93, 0x10001, v85
	ds_load_2addr_b64 v[84:87], v11 offset0:64 offset1:96
	v_pk_fma_f16 v17, v83, v114, v17
	v_pk_fma_f16 v94, v83, v94, v96
	v_mul_u32_u24_e32 v88, 0x10001, v88
	v_mul_u32_u24_e32 v89, 0x10001, v89
	v_pk_fma_f16 v95, v83, v115, v95
	v_and_b32_e32 v83, 0xffff, v91
	s_wait_dscnt 0x1
	v_pk_fma_f16 v96, v76, v92, v97
	v_pk_fma_f16 v97, v76, v93, v99
	;; [unrolled: 1-line block ×12, first 2 shown]
	s_wait_dscnt 0x0
	v_pk_fma_f16 v103, v84, v92, v103
	v_pk_fma_f16 v110, v85, v92, v110
	;; [unrolled: 1-line block ×14, first 2 shown]
	v_and_b32_e32 v80, 0xffff, v90
	v_dual_lshrrev_b32 v81, 16, v90 :: v_dual_lshrrev_b32 v84, 16, v91
	v_pk_fma_f16 v100, v76, v89, v100
	v_pk_fma_f16 v101, v77, v89, v101
	;; [unrolled: 1-line block ×4, first 2 shown]
	ds_load_2addr_b64 v[76:79], v11 offset0:128 offset1:160
	v_pk_fma_f16 v113, v86, v89, v82
	v_mul_u32_u24_e32 v90, 0x10001, v80
	v_mul_u32_u24_e32 v91, 0x10001, v81
	v_mul_u32_u24_e32 v121, 0x10001, v83
	ds_load_2addr_b64 v[80:83], v11 offset0:192 offset1:224
	v_mul_u32_u24_e32 v122, 0x10001, v84
	v_pk_fma_f16 v123, v87, v89, v95
	ds_load_b128 v[84:87], v64 offset:576
	s_wait_dscnt 0x2
	v_pk_fma_f16 v96, v76, v90, v96
	v_pk_fma_f16 v97, v76, v91, v97
	;; [unrolled: 1-line block ×12, first 2 shown]
	s_wait_dscnt 0x1
	v_pk_fma_f16 v103, v80, v90, v103
	v_pk_fma_f16 v110, v81, v90, v110
	;; [unrolled: 1-line block ×12, first 2 shown]
	ds_load_b128 v[88:91], v64 offset:592
	s_wait_dscnt 0x1
	v_and_b32_e32 v92, 0xffff, v84
	v_pk_fma_f16 v100, v76, v122, v100
	v_pk_fma_f16 v101, v77, v122, v101
	;; [unrolled: 1-line block ×4, first 2 shown]
	ds_load_2addr_b64 v[76:79], v12 offset1:32
	v_pk_fma_f16 v80, v80, v122, v94
	v_pk_fma_f16 v82, v82, v122, v113
	v_mul_u32_u24_e32 v113, 0x10001, v92
	ds_load_2addr_b64 v[92:95], v12 offset0:64 offset1:96
	v_pk_fma_f16 v81, v81, v122, v112
	v_lshrrev_b32_e32 v84, 16, v84
	v_and_b32_e32 v112, 0xffff, v85
	v_lshrrev_b32_e32 v85, 16, v85
	v_pk_fma_f16 v122, v83, v122, v123
	s_delay_alu instid0(VALU_DEP_4) | instskip(NEXT) | instid1(VALU_DEP_4)
	v_mul_u32_u24_e32 v84, 0x10001, v84
	v_mul_u32_u24_e32 v112, 0x10001, v112
	s_delay_alu instid0(VALU_DEP_4)
	v_mul_u32_u24_e32 v85, 0x10001, v85
	s_wait_dscnt 0x1
	v_pk_fma_f16 v96, v76, v113, v96
	v_pk_fma_f16 v97, v76, v84, v97
	;; [unrolled: 1-line block ×8, first 2 shown]
	s_wait_dscnt 0x0
	v_pk_fma_f16 v103, v92, v113, v103
	v_pk_fma_f16 v110, v93, v113, v110
	;; [unrolled: 1-line block ×12, first 2 shown]
	v_and_b32_e32 v80, 0xffff, v86
	v_lshrrev_b32_e32 v81, 16, v86
	v_pk_fma_f16 v99, v76, v112, v99
	v_pk_fma_f16 v100, v76, v85, v100
	;; [unrolled: 1-line block ×8, first 2 shown]
	ds_load_2addr_b64 v[76:79], v12 offset0:128 offset1:160
	v_pk_fma_f16 v106, v94, v112, v106
	v_pk_fma_f16 v112, v95, v112, v121
	;; [unrolled: 1-line block ×3, first 2 shown]
	v_and_b32_e32 v94, 0xffff, v87
	v_lshrrev_b32_e32 v87, 16, v87
	v_mul_u32_u24_e32 v121, 0x10001, v80
	v_mul_u32_u24_e32 v123, 0x10001, v81
	ds_load_2addr_b64 v[80:83], v12 offset0:192 offset1:224
	v_mul_u32_u24_e32 v94, 0x10001, v94
	v_mul_u32_u24_e32 v124, 0x10001, v87
	v_pk_fma_f16 v95, v95, v85, v122
	v_lshrrev_b32_e32 v85, 16, v88
	s_wait_dscnt 0x1
	v_pk_fma_f16 v96, v76, v121, v96
	v_pk_fma_f16 v107, v77, v121, v107
	;; [unrolled: 1-line block ×8, first 2 shown]
	s_wait_dscnt 0x0
	v_pk_fma_f16 v103, v80, v121, v103
	v_pk_fma_f16 v110, v81, v121, v110
	;; [unrolled: 1-line block ×5, first 2 shown]
	v_and_b32_e32 v84, 0xffff, v88
	v_pk_fma_f16 v115, v77, v94, v115
	v_pk_fma_f16 v101, v77, v124, v101
	;; [unrolled: 1-line block ×10, first 2 shown]
	ds_load_2addr_b64 v[76:79], v13 offset1:32
	v_pk_fma_f16 v105, v82, v123, v105
	v_pk_fma_f16 v98, v81, v94, v98
	;; [unrolled: 1-line block ×6, first 2 shown]
	v_and_b32_e32 v88, 0xffff, v89
	v_lshrrev_b32_e32 v89, 16, v89
	v_mul_u32_u24_e32 v92, 0x10001, v84
	v_mul_u32_u24_e32 v93, 0x10001, v85
	ds_load_2addr_b64 v[84:87], v13 offset0:64 offset1:96
	v_pk_fma_f16 v17, v83, v123, v17
	v_pk_fma_f16 v94, v83, v94, v112
	v_mul_u32_u24_e32 v88, 0x10001, v88
	v_mul_u32_u24_e32 v89, 0x10001, v89
	v_pk_fma_f16 v95, v83, v124, v95
	v_and_b32_e32 v83, 0xffff, v91
	s_wait_dscnt 0x1
	v_pk_fma_f16 v96, v76, v92, v96
	v_pk_fma_f16 v97, v76, v93, v97
	;; [unrolled: 1-line block ×12, first 2 shown]
	s_wait_dscnt 0x0
	v_pk_fma_f16 v103, v84, v92, v103
	v_pk_fma_f16 v110, v85, v92, v110
	;; [unrolled: 1-line block ×14, first 2 shown]
	v_and_b32_e32 v80, 0xffff, v90
	v_dual_lshrrev_b32 v81, 16, v90 :: v_dual_lshrrev_b32 v84, 16, v91
	v_pk_fma_f16 v100, v76, v89, v100
	v_pk_fma_f16 v101, v77, v89, v101
	;; [unrolled: 1-line block ×4, first 2 shown]
	ds_load_2addr_b64 v[76:79], v13 offset0:128 offset1:160
	v_pk_fma_f16 v120, v86, v89, v82
	v_mul_u32_u24_e32 v90, 0x10001, v80
	v_mul_u32_u24_e32 v91, 0x10001, v81
	;; [unrolled: 1-line block ×3, first 2 shown]
	ds_load_2addr_b64 v[80:83], v13 offset0:192 offset1:224
	v_mul_u32_u24_e32 v122, 0x10001, v84
	v_pk_fma_f16 v123, v87, v89, v95
	ds_load_b128 v[84:87], v64 offset:608
	s_wait_dscnt 0x2
	v_pk_fma_f16 v96, v76, v90, v96
	v_pk_fma_f16 v97, v76, v91, v97
	;; [unrolled: 1-line block ×12, first 2 shown]
	s_wait_dscnt 0x1
	v_pk_fma_f16 v103, v80, v90, v103
	v_pk_fma_f16 v110, v81, v90, v110
	;; [unrolled: 1-line block ×12, first 2 shown]
	ds_load_b128 v[88:91], v64 offset:624
	s_wait_dscnt 0x1
	v_and_b32_e32 v92, 0xffff, v84
	v_pk_fma_f16 v80, v80, v122, v94
	v_pk_fma_f16 v82, v82, v122, v120
	v_pk_fma_f16 v100, v76, v122, v100
	v_pk_fma_f16 v101, v77, v122, v101
	v_mul_u32_u24_e32 v120, 0x10001, v92
	ds_load_2addr_b64 v[92:95], v14 offset0:64 offset1:96
	v_pk_fma_f16 v102, v78, v122, v102
	v_pk_fma_f16 v119, v79, v122, v119
	ds_load_2addr_b64 v[76:79], v14 offset1:32
	v_lshrrev_b32_e32 v84, 16, v84
	v_pk_fma_f16 v81, v81, v122, v113
	v_and_b32_e32 v113, 0xffff, v85
	v_lshrrev_b32_e32 v85, 16, v85
	v_pk_fma_f16 v122, v83, v122, v123
	v_mul_u32_u24_e32 v84, 0x10001, v84
	s_delay_alu instid0(VALU_DEP_4) | instskip(NEXT) | instid1(VALU_DEP_4)
	v_mul_u32_u24_e32 v113, 0x10001, v113
	v_mul_u32_u24_e32 v126, 0x10001, v85
	s_wait_dscnt 0x1
	v_pk_fma_f16 v146, v95, v120, v16
	v_pk_fma_f16 v149, v95, v84, v17
	v_add_nc_u64_e32 v[16:17], s[26:27], v[40:41]
	s_wait_dscnt 0x0
	v_pk_fma_f16 v128, v76, v84, v97
	v_pk_fma_f16 v132, v77, v84, v112
	;; [unrolled: 1-line block ×7, first 2 shown]
	v_add_nc_u64_e32 v[84:85], s[26:27], v[42:43]
	v_add_nc_u64_e32 v[16:17], v[16:17], v[28:29]
	v_pk_fma_f16 v127, v76, v120, v96
	v_pk_fma_f16 v129, v76, v113, v99
	;; [unrolled: 1-line block ×5, first 2 shown]
	v_add_nc_u64_e32 v[84:85], v[84:85], v[28:29]
	v_pk_fma_f16 v134, v77, v126, v101
	v_pk_fma_f16 v135, v78, v120, v115
	;; [unrolled: 1-line block ×10, first 2 shown]
	ds_load_2addr_b64 v[76:79], v14 offset0:128 offset1:160
	v_pk_fma_f16 v125, v92, v113, v125
	v_pk_fma_f16 v150, v93, v113, v98
	;; [unrolled: 1-line block ×7, first 2 shown]
	ds_load_2addr_b64 v[80:83], v14 offset0:192 offset1:224
	v_pk_fma_f16 v126, v95, v126, v122
	ds_load_2addr_b64 v[92:95], v15 offset1:32
	ds_load_2addr_b64 v[96:99], v15 offset0:64 offset1:96
	ds_load_2addr_b64 v[100:103], v15 offset0:128 offset1:160
	;; [unrolled: 1-line block ×3, first 2 shown]
	s_wait_dscnt 0x0
	s_barrier_signal -1
	s_barrier_wait -1
	s_clause 0x3
	global_load_b128 v[108:111], v[16:17], off
	global_load_b128 v[112:115], v[16:17], off offset:512
	global_load_b128 v[116:119], v[84:85], off
	global_load_b128 v[120:123], v[84:85], off offset:512
	s_wait_xcnt 0x2
	v_and_b32_e32 v16, 0xffff, v86
	s_wait_xcnt 0x0
	v_dual_lshrrev_b32 v17, 16, v86 :: v_dual_lshrrev_b32 v85, 16, v87
	v_and_b32_e32 v84, 0xffff, v87
	s_wait_loadcnt 0x3
	ds_store_b128 v65, v[108:111]
	s_wait_loadcnt 0x2
	ds_store_b128 v66, v[112:115]
	;; [unrolled: 2-line block ×4, first 2 shown]
	v_mul_u32_u24_e32 v16, 0x10001, v16
	v_mul_u32_u24_e32 v17, 0x10001, v17
	;; [unrolled: 1-line block ×4, first 2 shown]
	s_wait_dscnt 0x0
	v_pk_fma_f16 v86, v76, v16, v127
	v_pk_fma_f16 v87, v76, v17, v128
	;; [unrolled: 1-line block ×15, first 2 shown]
	v_and_b32_e32 v144, 0xffff, v88
	v_lshrrev_b32_e32 v88, 16, v88
	v_and_b32_e32 v145, 0xffff, v89
	v_lshrrev_b32_e32 v89, 16, v89
	v_pk_fma_f16 v135, v79, v17, v140
	v_pk_fma_f16 v136, v79, v84, v141
	;; [unrolled: 1-line block ×12, first 2 shown]
	v_mul_u32_u24_e32 v144, 0x10001, v144
	v_mul_u32_u24_e32 v88, 0x10001, v88
	;; [unrolled: 1-line block ×4, first 2 shown]
	v_pk_fma_f16 v16, v83, v16, v146
	v_pk_fma_f16 v143, v82, v84, v151
	;; [unrolled: 1-line block ×31, first 2 shown]
	v_and_b32_e32 v79, 0xffff, v90
	v_dual_lshrrev_b32 v80, 16, v90 :: v_dual_lshrrev_b32 v90, 16, v91
	v_and_b32_e32 v81, 0xffff, v91
	v_pk_fma_f16 v134, v98, v144, v139
	v_pk_fma_f16 v137, v98, v145, v143
	;; [unrolled: 1-line block ×3, first 2 shown]
	v_mul_u32_u24_e32 v82, 0x10001, v79
	v_mul_u32_u24_e32 v98, 0x10001, v80
	;; [unrolled: 1-line block ×4, first 2 shown]
	s_barrier_signal -1
	v_pk_fma_f16 v140, v100, v82, v85
	v_pk_fma_f16 v141, v100, v98, v86
	;; [unrolled: 1-line block ×12, first 2 shown]
	s_barrier_wait -1
	ds_load_b128 v[76:79], v64 offset:640
	v_pk_fma_f16 v84, v99, v145, v84
	v_pk_fma_f16 v16, v99, v144, v16
	;; [unrolled: 1-line block ×9, first 2 shown]
	ds_load_b128 v[84:87], v64 offset:656
	v_pk_fma_f16 v99, v99, v89, v83
	v_pk_fma_f16 v94, v103, v82, v94
	;; [unrolled: 1-line block ×8, first 2 shown]
	ds_load_2addr_b64 v[80:83], v75 offset1:32
	s_wait_dscnt 0x2
	v_and_b32_e32 v88, 0xffff, v76
	v_pk_fma_f16 v116, v106, v138, v137
	v_pk_fma_f16 v96, v104, v139, v96
	;; [unrolled: 1-line block ×3, first 2 shown]
	v_lshrrev_b32_e32 v76, 16, v76
	v_mul_u32_u24_e32 v106, 0x10001, v88
	ds_load_2addr_b64 v[88:91], v75 offset0:64 offset1:96
	v_pk_fma_f16 v115, v105, v138, v125
	v_pk_fma_f16 v97, v105, v139, v97
	v_and_b32_e32 v105, 0xffff, v77
	v_lshrrev_b32_e32 v77, 16, v77
	v_mul_u32_u24_e32 v76, 0x10001, v76
	v_pk_fma_f16 v99, v107, v139, v99
	s_or_b32 s26, s4, 0x60
	v_mul_u32_u24_e32 v105, 0x10001, v105
	v_mul_u32_u24_e32 v118, 0x10001, v77
	v_lshrrev_b32_e32 v77, 16, v78
	s_ashr_i32 s27, s26, 31
	s_wait_dscnt 0x1
	v_pk_fma_f16 v107, v80, v106, v140
	v_pk_fma_f16 v119, v80, v76, v141
	;; [unrolled: 1-line block ×8, first 2 shown]
	s_wait_dscnt 0x0
	v_pk_fma_f16 v103, v88, v106, v103
	v_pk_fma_f16 v110, v89, v106, v110
	;; [unrolled: 1-line block ×8, first 2 shown]
	v_and_b32_e32 v76, 0xffff, v78
	v_pk_fma_f16 v120, v80, v105, v142
	v_pk_fma_f16 v100, v80, v118, v100
	;; [unrolled: 1-line block ×8, first 2 shown]
	ds_load_2addr_b64 v[80:83], v75 offset0:128 offset1:160
	v_pk_fma_f16 v98, v88, v105, v98
	v_pk_fma_f16 v114, v89, v105, v115
	;; [unrolled: 1-line block ×6, first 2 shown]
	v_and_b32_e32 v96, 0xffff, v79
	v_lshrrev_b32_e32 v97, 16, v79
	v_mul_u32_u24_e32 v104, 0x10001, v76
	v_mul_u32_u24_e32 v116, 0x10001, v77
	ds_load_2addr_b64 v[76:79], v75 offset0:192 offset1:224
	v_pk_fma_f16 v105, v91, v105, v117
	v_mul_u32_u24_e32 v96, 0x10001, v96
	v_mul_u32_u24_e32 v97, 0x10001, v97
	v_pk_fma_f16 v99, v91, v118, v99
	s_mul_u64 s[26:27], s[26:27], s[14:15]
	s_delay_alu instid0(SALU_CYCLE_1)
	s_lshl_b64 s[26:27], s[26:27], 2
	s_wait_dscnt 0x1
	v_pk_fma_f16 v107, v80, v104, v107
	v_pk_fma_f16 v117, v80, v116, v119
	;; [unrolled: 1-line block ×16, first 2 shown]
	s_wait_dscnt 0x0
	v_pk_fma_f16 v103, v76, v104, v103
	v_pk_fma_f16 v110, v77, v104, v110
	;; [unrolled: 1-line block ×6, first 2 shown]
	ds_load_2addr_b64 v[80:83], v74 offset1:32
	v_pk_fma_f16 v112, v78, v116, v113
	v_pk_fma_f16 v98, v76, v96, v98
	v_pk_fma_f16 v113, v77, v96, v114
	v_pk_fma_f16 v114, v78, v96, v115
	v_pk_fma_f16 v96, v79, v96, v105
	v_pk_fma_f16 v105, v76, v97, v88
	v_pk_fma_f16 v115, v77, v97, v89
	v_and_b32_e32 v76, 0xffff, v84
	v_lshrrev_b32_e32 v77, 16, v84
	v_pk_fma_f16 v84, v78, v97, v90
	ds_load_2addr_b64 v[88:91], v74 offset0:64 offset1:96
	v_and_b32_e32 v78, 0xffff, v85
	v_lshrrev_b32_e32 v85, 16, v85
	v_pk_fma_f16 v17, v79, v116, v17
	v_mul_u32_u24_e32 v76, 0x10001, v76
	v_mul_u32_u24_e32 v116, 0x10001, v77
	;; [unrolled: 1-line block ×4, first 2 shown]
	v_pk_fma_f16 v97, v79, v97, v99
	s_wait_dscnt 0x1
	v_pk_fma_f16 v99, v80, v76, v107
	v_pk_fma_f16 v107, v80, v116, v117
	;; [unrolled: 1-line block ×12, first 2 shown]
	s_wait_dscnt 0x0
	v_pk_fma_f16 v103, v88, v76, v103
	v_pk_fma_f16 v104, v88, v116, v104
	;; [unrolled: 1-line block ×4, first 2 shown]
	v_and_b32_e32 v80, 0xffff, v86
	v_lshrrev_b32_e32 v81, 16, v86
	v_and_b32_e32 v82, 0xffff, v87
	v_pk_fma_f16 v105, v90, v85, v84
	v_lshrrev_b32_e32 v84, 16, v87
	v_pk_fma_f16 v94, v83, v76, v94
	v_pk_fma_f16 v108, v83, v116, v108
	;; [unrolled: 1-line block ×8, first 2 shown]
	ds_load_2addr_b64 v[76:79], v74 offset0:128 offset1:160
	v_pk_fma_f16 v112, v90, v116, v112
	v_pk_fma_f16 v17, v91, v116, v17
	;; [unrolled: 1-line block ×5, first 2 shown]
	v_mul_u32_u24_e32 v90, 0x10001, v80
	v_mul_u32_u24_e32 v115, 0x10001, v81
	;; [unrolled: 1-line block ×3, first 2 shown]
	ds_load_2addr_b64 v[80:83], v74 offset0:192 offset1:224
	v_mul_u32_u24_e32 v122, 0x10001, v84
	v_pk_fma_f16 v97, v91, v85, v97
	ds_load_b128 v[84:87], v64 offset:672
	v_pk_fma_f16 v96, v91, v123, v96
	s_add_nc_u64 s[26:27], s[8:9], s[26:27]
	s_wait_dscnt 0x2
	v_pk_fma_f16 v99, v76, v90, v99
	v_pk_fma_f16 v123, v77, v90, v92
	;; [unrolled: 1-line block ×9, first 2 shown]
	s_wait_dscnt 0x1
	v_pk_fma_f16 v103, v80, v90, v103
	v_pk_fma_f16 v110, v81, v90, v110
	;; [unrolled: 1-line block ×10, first 2 shown]
	ds_load_b128 v[88:91], v64 offset:688
	s_wait_dscnt 0x1
	v_and_b32_e32 v92, 0xffff, v84
	v_pk_fma_f16 v101, v77, v122, v101
	v_pk_fma_f16 v120, v78, v115, v120
	;; [unrolled: 1-line block ×8, first 2 shown]
	ds_load_2addr_b64 v[76:79], v10 offset1:32
	v_pk_fma_f16 v17, v83, v115, v17
	v_mul_u32_u24_e32 v115, 0x10001, v92
	ds_load_2addr_b64 v[92:95], v10 offset0:64 offset1:96
	v_pk_fma_f16 v114, v82, v116, v114
	v_lshrrev_b32_e32 v84, 16, v84
	v_pk_fma_f16 v82, v82, v122, v105
	v_and_b32_e32 v105, 0xffff, v85
	v_lshrrev_b32_e32 v85, 16, v85
	v_pk_fma_f16 v96, v83, v116, v96
	v_mul_u32_u24_e32 v84, 0x10001, v84
	v_pk_fma_f16 v97, v83, v122, v97
	v_mul_u32_u24_e32 v105, 0x10001, v105
	v_mul_u32_u24_e32 v85, 0x10001, v85
	s_wait_dscnt 0x1
	v_pk_fma_f16 v107, v76, v84, v107
	v_pk_fma_f16 v118, v77, v84, v118
	v_pk_fma_f16 v120, v78, v84, v120
	v_pk_fma_f16 v108, v79, v84, v108
	s_wait_dscnt 0x0
	v_pk_fma_f16 v103, v92, v115, v103
	v_pk_fma_f16 v110, v93, v115, v110
	;; [unrolled: 1-line block ×10, first 2 shown]
	v_and_b32_e32 v80, 0xffff, v86
	v_lshrrev_b32_e32 v81, 16, v86
	v_pk_fma_f16 v99, v76, v115, v99
	v_pk_fma_f16 v116, v76, v105, v117
	v_pk_fma_f16 v100, v76, v85, v100
	v_pk_fma_f16 v117, v77, v115, v123
	v_pk_fma_f16 v119, v77, v105, v119
	v_pk_fma_f16 v101, v77, v85, v101
	v_pk_fma_f16 v122, v78, v115, v124
	v_pk_fma_f16 v121, v78, v105, v121
	v_pk_fma_f16 v102, v78, v85, v102
	v_pk_fma_f16 v123, v79, v115, v125
	v_pk_fma_f16 v109, v79, v105, v109
	v_pk_fma_f16 v124, v79, v85, v126
	v_pk_fma_f16 v111, v94, v115, v111
	ds_load_2addr_b64 v[76:79], v10 offset0:128 offset1:160
	v_pk_fma_f16 v113, v94, v105, v114
	v_pk_fma_f16 v96, v95, v105, v96
	;; [unrolled: 1-line block ×3, first 2 shown]
	v_and_b32_e32 v94, 0xffff, v87
	v_lshrrev_b32_e32 v87, 16, v87
	v_mul_u32_u24_e32 v105, 0x10001, v80
	v_mul_u32_u24_e32 v114, 0x10001, v81
	ds_load_2addr_b64 v[80:83], v10 offset0:192 offset1:224
	v_pk_fma_f16 v16, v95, v115, v16
	v_mul_u32_u24_e32 v94, 0x10001, v94
	v_mul_u32_u24_e32 v115, 0x10001, v87
	v_pk_fma_f16 v95, v95, v85, v97
	v_lshrrev_b32_e32 v85, 16, v88
	s_wait_dscnt 0x1
	v_pk_fma_f16 v97, v76, v105, v99
	v_pk_fma_f16 v99, v76, v114, v107
	;; [unrolled: 1-line block ×8, first 2 shown]
	s_wait_dscnt 0x0
	v_pk_fma_f16 v103, v80, v105, v103
	v_pk_fma_f16 v110, v81, v105, v110
	;; [unrolled: 1-line block ×7, first 2 shown]
	v_and_b32_e32 v84, 0xffff, v88
	v_pk_fma_f16 v100, v76, v115, v100
	v_pk_fma_f16 v101, v77, v115, v101
	;; [unrolled: 1-line block ×9, first 2 shown]
	ds_load_2addr_b64 v[76:79], v11 offset1:32
	v_pk_fma_f16 v98, v81, v94, v98
	v_pk_fma_f16 v113, v82, v94, v113
	;; [unrolled: 1-line block ×5, first 2 shown]
	v_and_b32_e32 v88, 0xffff, v89
	v_lshrrev_b32_e32 v89, 16, v89
	v_mul_u32_u24_e32 v92, 0x10001, v84
	v_mul_u32_u24_e32 v93, 0x10001, v85
	ds_load_2addr_b64 v[84:87], v11 offset0:64 offset1:96
	v_pk_fma_f16 v17, v83, v114, v17
	v_pk_fma_f16 v94, v83, v94, v96
	v_mul_u32_u24_e32 v88, 0x10001, v88
	v_mul_u32_u24_e32 v89, 0x10001, v89
	v_pk_fma_f16 v95, v83, v115, v95
	v_and_b32_e32 v83, 0xffff, v91
	s_wait_dscnt 0x1
	v_pk_fma_f16 v96, v76, v92, v97
	v_pk_fma_f16 v97, v76, v93, v99
	;; [unrolled: 1-line block ×12, first 2 shown]
	s_wait_dscnt 0x0
	v_pk_fma_f16 v103, v84, v92, v103
	v_pk_fma_f16 v110, v85, v92, v110
	;; [unrolled: 1-line block ×14, first 2 shown]
	v_and_b32_e32 v80, 0xffff, v90
	v_dual_lshrrev_b32 v81, 16, v90 :: v_dual_lshrrev_b32 v84, 16, v91
	v_pk_fma_f16 v100, v76, v89, v100
	v_pk_fma_f16 v101, v77, v89, v101
	;; [unrolled: 1-line block ×4, first 2 shown]
	ds_load_2addr_b64 v[76:79], v11 offset0:128 offset1:160
	v_pk_fma_f16 v113, v86, v89, v82
	v_mul_u32_u24_e32 v90, 0x10001, v80
	v_mul_u32_u24_e32 v91, 0x10001, v81
	;; [unrolled: 1-line block ×3, first 2 shown]
	ds_load_2addr_b64 v[80:83], v11 offset0:192 offset1:224
	v_mul_u32_u24_e32 v122, 0x10001, v84
	v_pk_fma_f16 v123, v87, v89, v95
	ds_load_b128 v[84:87], v64 offset:704
	s_wait_dscnt 0x2
	v_pk_fma_f16 v96, v76, v90, v96
	v_pk_fma_f16 v97, v76, v91, v97
	;; [unrolled: 1-line block ×12, first 2 shown]
	s_wait_dscnt 0x1
	v_pk_fma_f16 v103, v80, v90, v103
	v_pk_fma_f16 v110, v81, v90, v110
	;; [unrolled: 1-line block ×12, first 2 shown]
	ds_load_b128 v[88:91], v64 offset:720
	s_wait_dscnt 0x1
	v_and_b32_e32 v92, 0xffff, v84
	v_pk_fma_f16 v100, v76, v122, v100
	v_pk_fma_f16 v101, v77, v122, v101
	;; [unrolled: 1-line block ×4, first 2 shown]
	ds_load_2addr_b64 v[76:79], v12 offset1:32
	v_pk_fma_f16 v80, v80, v122, v94
	v_pk_fma_f16 v82, v82, v122, v113
	v_mul_u32_u24_e32 v113, 0x10001, v92
	ds_load_2addr_b64 v[92:95], v12 offset0:64 offset1:96
	v_pk_fma_f16 v81, v81, v122, v112
	v_lshrrev_b32_e32 v84, 16, v84
	v_and_b32_e32 v112, 0xffff, v85
	v_lshrrev_b32_e32 v85, 16, v85
	v_pk_fma_f16 v122, v83, v122, v123
	s_delay_alu instid0(VALU_DEP_4) | instskip(NEXT) | instid1(VALU_DEP_4)
	v_mul_u32_u24_e32 v84, 0x10001, v84
	v_mul_u32_u24_e32 v112, 0x10001, v112
	s_delay_alu instid0(VALU_DEP_4)
	v_mul_u32_u24_e32 v85, 0x10001, v85
	s_wait_dscnt 0x1
	v_pk_fma_f16 v96, v76, v113, v96
	v_pk_fma_f16 v97, v76, v84, v97
	;; [unrolled: 1-line block ×8, first 2 shown]
	s_wait_dscnt 0x0
	v_pk_fma_f16 v103, v92, v113, v103
	v_pk_fma_f16 v110, v93, v113, v110
	;; [unrolled: 1-line block ×12, first 2 shown]
	v_and_b32_e32 v80, 0xffff, v86
	v_lshrrev_b32_e32 v81, 16, v86
	v_pk_fma_f16 v99, v76, v112, v99
	v_pk_fma_f16 v100, v76, v85, v100
	;; [unrolled: 1-line block ×8, first 2 shown]
	ds_load_2addr_b64 v[76:79], v12 offset0:128 offset1:160
	v_pk_fma_f16 v106, v94, v112, v106
	v_pk_fma_f16 v112, v95, v112, v121
	;; [unrolled: 1-line block ×3, first 2 shown]
	v_and_b32_e32 v94, 0xffff, v87
	v_lshrrev_b32_e32 v87, 16, v87
	v_mul_u32_u24_e32 v121, 0x10001, v80
	v_mul_u32_u24_e32 v123, 0x10001, v81
	ds_load_2addr_b64 v[80:83], v12 offset0:192 offset1:224
	v_mul_u32_u24_e32 v94, 0x10001, v94
	v_mul_u32_u24_e32 v124, 0x10001, v87
	v_pk_fma_f16 v95, v95, v85, v122
	v_lshrrev_b32_e32 v85, 16, v88
	s_wait_dscnt 0x1
	v_pk_fma_f16 v96, v76, v121, v96
	v_pk_fma_f16 v107, v77, v121, v107
	;; [unrolled: 1-line block ×8, first 2 shown]
	s_wait_dscnt 0x0
	v_pk_fma_f16 v103, v80, v121, v103
	v_pk_fma_f16 v110, v81, v121, v110
	;; [unrolled: 1-line block ×5, first 2 shown]
	v_and_b32_e32 v84, 0xffff, v88
	v_pk_fma_f16 v115, v77, v94, v115
	v_pk_fma_f16 v101, v77, v124, v101
	;; [unrolled: 1-line block ×10, first 2 shown]
	ds_load_2addr_b64 v[76:79], v13 offset1:32
	v_pk_fma_f16 v105, v82, v123, v105
	v_pk_fma_f16 v98, v81, v94, v98
	;; [unrolled: 1-line block ×6, first 2 shown]
	v_and_b32_e32 v88, 0xffff, v89
	v_lshrrev_b32_e32 v89, 16, v89
	v_mul_u32_u24_e32 v92, 0x10001, v84
	v_mul_u32_u24_e32 v93, 0x10001, v85
	ds_load_2addr_b64 v[84:87], v13 offset0:64 offset1:96
	v_pk_fma_f16 v17, v83, v123, v17
	v_pk_fma_f16 v94, v83, v94, v112
	v_mul_u32_u24_e32 v88, 0x10001, v88
	v_mul_u32_u24_e32 v89, 0x10001, v89
	v_pk_fma_f16 v95, v83, v124, v95
	v_and_b32_e32 v83, 0xffff, v91
	s_wait_dscnt 0x1
	v_pk_fma_f16 v96, v76, v92, v96
	v_pk_fma_f16 v97, v76, v93, v97
	;; [unrolled: 1-line block ×12, first 2 shown]
	s_wait_dscnt 0x0
	v_pk_fma_f16 v103, v84, v92, v103
	v_pk_fma_f16 v110, v85, v92, v110
	;; [unrolled: 1-line block ×14, first 2 shown]
	v_and_b32_e32 v80, 0xffff, v90
	v_dual_lshrrev_b32 v81, 16, v90 :: v_dual_lshrrev_b32 v84, 16, v91
	v_pk_fma_f16 v100, v76, v89, v100
	v_pk_fma_f16 v101, v77, v89, v101
	;; [unrolled: 1-line block ×4, first 2 shown]
	ds_load_2addr_b64 v[76:79], v13 offset0:128 offset1:160
	v_pk_fma_f16 v120, v86, v89, v82
	v_mul_u32_u24_e32 v90, 0x10001, v80
	v_mul_u32_u24_e32 v91, 0x10001, v81
	;; [unrolled: 1-line block ×3, first 2 shown]
	ds_load_2addr_b64 v[80:83], v13 offset0:192 offset1:224
	v_mul_u32_u24_e32 v122, 0x10001, v84
	v_pk_fma_f16 v123, v87, v89, v95
	ds_load_b128 v[84:87], v64 offset:736
	s_wait_dscnt 0x2
	v_pk_fma_f16 v96, v76, v90, v96
	v_pk_fma_f16 v97, v76, v91, v97
	;; [unrolled: 1-line block ×12, first 2 shown]
	s_wait_dscnt 0x1
	v_pk_fma_f16 v103, v80, v90, v103
	v_pk_fma_f16 v110, v81, v90, v110
	;; [unrolled: 1-line block ×12, first 2 shown]
	ds_load_b128 v[88:91], v64 offset:752
	s_wait_dscnt 0x1
	v_and_b32_e32 v92, 0xffff, v84
	v_pk_fma_f16 v80, v80, v122, v94
	v_pk_fma_f16 v82, v82, v122, v120
	;; [unrolled: 1-line block ×4, first 2 shown]
	v_mul_u32_u24_e32 v120, 0x10001, v92
	ds_load_2addr_b64 v[92:95], v14 offset0:64 offset1:96
	v_pk_fma_f16 v102, v78, v122, v102
	v_pk_fma_f16 v119, v79, v122, v119
	ds_load_2addr_b64 v[76:79], v14 offset1:32
	v_lshrrev_b32_e32 v84, 16, v84
	v_pk_fma_f16 v81, v81, v122, v113
	v_and_b32_e32 v113, 0xffff, v85
	v_lshrrev_b32_e32 v85, 16, v85
	v_pk_fma_f16 v122, v83, v122, v123
	v_mul_u32_u24_e32 v84, 0x10001, v84
	s_delay_alu instid0(VALU_DEP_4) | instskip(NEXT) | instid1(VALU_DEP_4)
	v_mul_u32_u24_e32 v113, 0x10001, v113
	v_mul_u32_u24_e32 v126, 0x10001, v85
	s_wait_dscnt 0x1
	v_pk_fma_f16 v146, v95, v120, v16
	v_pk_fma_f16 v149, v95, v84, v17
	v_add_nc_u64_e32 v[16:17], s[26:27], v[40:41]
	s_wait_dscnt 0x0
	v_pk_fma_f16 v128, v76, v84, v97
	v_pk_fma_f16 v132, v77, v84, v112
	;; [unrolled: 1-line block ×7, first 2 shown]
	v_add_nc_u64_e32 v[84:85], s[26:27], v[42:43]
	v_add_nc_u64_e32 v[16:17], v[16:17], v[28:29]
	v_pk_fma_f16 v127, v76, v120, v96
	v_pk_fma_f16 v129, v76, v113, v99
	;; [unrolled: 1-line block ×5, first 2 shown]
	v_add_nc_u64_e32 v[84:85], v[84:85], v[28:29]
	v_pk_fma_f16 v134, v77, v126, v101
	v_pk_fma_f16 v135, v78, v120, v115
	;; [unrolled: 1-line block ×10, first 2 shown]
	ds_load_2addr_b64 v[76:79], v14 offset0:128 offset1:160
	v_pk_fma_f16 v125, v92, v113, v125
	v_pk_fma_f16 v150, v93, v113, v98
	;; [unrolled: 1-line block ×7, first 2 shown]
	ds_load_2addr_b64 v[80:83], v14 offset0:192 offset1:224
	v_pk_fma_f16 v126, v95, v126, v122
	ds_load_2addr_b64 v[92:95], v15 offset1:32
	ds_load_2addr_b64 v[96:99], v15 offset0:64 offset1:96
	ds_load_2addr_b64 v[100:103], v15 offset0:128 offset1:160
	;; [unrolled: 1-line block ×3, first 2 shown]
	s_wait_dscnt 0x0
	s_barrier_signal -1
	s_barrier_wait -1
	s_clause 0x3
	global_load_b128 v[108:111], v[16:17], off
	global_load_b128 v[112:115], v[16:17], off offset:512
	global_load_b128 v[116:119], v[84:85], off
	global_load_b128 v[120:123], v[84:85], off offset:512
	s_wait_xcnt 0x2
	v_and_b32_e32 v16, 0xffff, v86
	s_wait_xcnt 0x0
	v_dual_lshrrev_b32 v17, 16, v86 :: v_dual_lshrrev_b32 v85, 16, v87
	v_and_b32_e32 v84, 0xffff, v87
	s_wait_loadcnt 0x3
	ds_store_b128 v65, v[108:111]
	s_wait_loadcnt 0x2
	ds_store_b128 v66, v[112:115]
	;; [unrolled: 2-line block ×4, first 2 shown]
	v_mul_u32_u24_e32 v16, 0x10001, v16
	v_mul_u32_u24_e32 v17, 0x10001, v17
	;; [unrolled: 1-line block ×4, first 2 shown]
	s_wait_dscnt 0x0
	v_pk_fma_f16 v86, v76, v16, v127
	v_pk_fma_f16 v87, v76, v17, v128
	;; [unrolled: 1-line block ×15, first 2 shown]
	v_and_b32_e32 v144, 0xffff, v88
	v_lshrrev_b32_e32 v88, 16, v88
	v_and_b32_e32 v145, 0xffff, v89
	v_lshrrev_b32_e32 v89, 16, v89
	v_pk_fma_f16 v135, v79, v17, v140
	v_pk_fma_f16 v136, v79, v84, v141
	;; [unrolled: 1-line block ×12, first 2 shown]
	v_mul_u32_u24_e32 v144, 0x10001, v144
	v_mul_u32_u24_e32 v88, 0x10001, v88
	;; [unrolled: 1-line block ×4, first 2 shown]
	v_pk_fma_f16 v16, v83, v16, v146
	v_pk_fma_f16 v143, v82, v84, v151
	;; [unrolled: 1-line block ×31, first 2 shown]
	v_and_b32_e32 v79, 0xffff, v90
	v_dual_lshrrev_b32 v80, 16, v90 :: v_dual_lshrrev_b32 v90, 16, v91
	v_and_b32_e32 v81, 0xffff, v91
	v_pk_fma_f16 v134, v98, v144, v139
	v_pk_fma_f16 v137, v98, v145, v143
	;; [unrolled: 1-line block ×3, first 2 shown]
	v_mul_u32_u24_e32 v82, 0x10001, v79
	v_mul_u32_u24_e32 v98, 0x10001, v80
	v_mul_u32_u24_e32 v138, 0x10001, v81
	v_mul_u32_u24_e32 v139, 0x10001, v90
	s_barrier_signal -1
	v_pk_fma_f16 v140, v100, v82, v85
	v_pk_fma_f16 v141, v100, v98, v86
	;; [unrolled: 1-line block ×12, first 2 shown]
	s_barrier_wait -1
	ds_load_b128 v[76:79], v64 offset:768
	v_pk_fma_f16 v84, v99, v145, v84
	v_pk_fma_f16 v16, v99, v144, v16
	;; [unrolled: 1-line block ×9, first 2 shown]
	ds_load_b128 v[84:87], v64 offset:784
	v_pk_fma_f16 v99, v99, v89, v83
	v_pk_fma_f16 v94, v103, v82, v94
	;; [unrolled: 1-line block ×8, first 2 shown]
	ds_load_2addr_b64 v[80:83], v75 offset1:32
	s_wait_dscnt 0x2
	v_and_b32_e32 v88, 0xffff, v76
	v_pk_fma_f16 v116, v106, v138, v137
	v_pk_fma_f16 v96, v104, v139, v96
	;; [unrolled: 1-line block ×3, first 2 shown]
	v_lshrrev_b32_e32 v76, 16, v76
	v_mul_u32_u24_e32 v106, 0x10001, v88
	ds_load_2addr_b64 v[88:91], v75 offset0:64 offset1:96
	v_pk_fma_f16 v115, v105, v138, v125
	v_pk_fma_f16 v97, v105, v139, v97
	v_and_b32_e32 v105, 0xffff, v77
	v_lshrrev_b32_e32 v77, 16, v77
	v_mul_u32_u24_e32 v76, 0x10001, v76
	v_pk_fma_f16 v99, v107, v139, v99
	s_or_b32 s26, s4, 0x70
	v_mul_u32_u24_e32 v105, 0x10001, v105
	v_mul_u32_u24_e32 v118, 0x10001, v77
	v_lshrrev_b32_e32 v77, 16, v78
	s_ashr_i32 s27, s26, 31
	s_wait_dscnt 0x1
	v_pk_fma_f16 v107, v80, v106, v140
	v_pk_fma_f16 v119, v80, v76, v141
	;; [unrolled: 1-line block ×8, first 2 shown]
	s_wait_dscnt 0x0
	v_pk_fma_f16 v103, v88, v106, v103
	v_pk_fma_f16 v110, v89, v106, v110
	;; [unrolled: 1-line block ×8, first 2 shown]
	v_and_b32_e32 v76, 0xffff, v78
	v_pk_fma_f16 v120, v80, v105, v142
	v_pk_fma_f16 v100, v80, v118, v100
	;; [unrolled: 1-line block ×8, first 2 shown]
	ds_load_2addr_b64 v[80:83], v75 offset0:128 offset1:160
	v_pk_fma_f16 v98, v88, v105, v98
	v_pk_fma_f16 v114, v89, v105, v115
	;; [unrolled: 1-line block ×6, first 2 shown]
	v_and_b32_e32 v96, 0xffff, v79
	v_lshrrev_b32_e32 v97, 16, v79
	v_mul_u32_u24_e32 v104, 0x10001, v76
	v_mul_u32_u24_e32 v116, 0x10001, v77
	ds_load_2addr_b64 v[76:79], v75 offset0:192 offset1:224
	v_pk_fma_f16 v105, v91, v105, v117
	v_mul_u32_u24_e32 v96, 0x10001, v96
	v_mul_u32_u24_e32 v97, 0x10001, v97
	v_pk_fma_f16 v99, v91, v118, v99
	s_mul_u64 s[26:27], s[26:27], s[14:15]
	s_delay_alu instid0(SALU_CYCLE_1)
	s_lshl_b64 s[26:27], s[26:27], 2
	s_wait_dscnt 0x1
	v_pk_fma_f16 v107, v80, v104, v107
	v_pk_fma_f16 v117, v80, v116, v119
	;; [unrolled: 1-line block ×16, first 2 shown]
	s_wait_dscnt 0x0
	v_pk_fma_f16 v103, v76, v104, v103
	v_pk_fma_f16 v110, v77, v104, v110
	;; [unrolled: 1-line block ×6, first 2 shown]
	ds_load_2addr_b64 v[80:83], v74 offset1:32
	v_pk_fma_f16 v112, v78, v116, v113
	v_pk_fma_f16 v98, v76, v96, v98
	;; [unrolled: 1-line block ×7, first 2 shown]
	v_and_b32_e32 v76, 0xffff, v84
	v_lshrrev_b32_e32 v77, 16, v84
	v_pk_fma_f16 v84, v78, v97, v90
	ds_load_2addr_b64 v[88:91], v74 offset0:64 offset1:96
	v_and_b32_e32 v78, 0xffff, v85
	v_lshrrev_b32_e32 v85, 16, v85
	v_pk_fma_f16 v17, v79, v116, v17
	v_mul_u32_u24_e32 v76, 0x10001, v76
	v_mul_u32_u24_e32 v116, 0x10001, v77
	;; [unrolled: 1-line block ×4, first 2 shown]
	v_pk_fma_f16 v97, v79, v97, v99
	s_wait_dscnt 0x1
	v_pk_fma_f16 v99, v80, v76, v107
	v_pk_fma_f16 v107, v80, v116, v117
	;; [unrolled: 1-line block ×12, first 2 shown]
	s_wait_dscnt 0x0
	v_pk_fma_f16 v103, v88, v76, v103
	v_pk_fma_f16 v104, v88, v116, v104
	;; [unrolled: 1-line block ×4, first 2 shown]
	v_and_b32_e32 v80, 0xffff, v86
	v_lshrrev_b32_e32 v81, 16, v86
	v_and_b32_e32 v82, 0xffff, v87
	v_pk_fma_f16 v105, v90, v85, v84
	v_lshrrev_b32_e32 v84, 16, v87
	v_pk_fma_f16 v94, v83, v76, v94
	v_pk_fma_f16 v108, v83, v116, v108
	;; [unrolled: 1-line block ×8, first 2 shown]
	ds_load_2addr_b64 v[76:79], v74 offset0:128 offset1:160
	v_pk_fma_f16 v112, v90, v116, v112
	v_pk_fma_f16 v17, v91, v116, v17
	;; [unrolled: 1-line block ×5, first 2 shown]
	v_mul_u32_u24_e32 v90, 0x10001, v80
	v_mul_u32_u24_e32 v115, 0x10001, v81
	v_mul_u32_u24_e32 v116, 0x10001, v82
	ds_load_2addr_b64 v[80:83], v74 offset0:192 offset1:224
	v_mul_u32_u24_e32 v122, 0x10001, v84
	v_pk_fma_f16 v97, v91, v85, v97
	ds_load_b128 v[84:87], v64 offset:800
	v_pk_fma_f16 v96, v91, v123, v96
	s_add_nc_u64 s[26:27], s[8:9], s[26:27]
	s_wait_dscnt 0x2
	v_pk_fma_f16 v99, v76, v90, v99
	v_pk_fma_f16 v123, v77, v90, v92
	;; [unrolled: 1-line block ×9, first 2 shown]
	s_wait_dscnt 0x1
	v_pk_fma_f16 v103, v80, v90, v103
	v_pk_fma_f16 v110, v81, v90, v110
	;; [unrolled: 1-line block ×10, first 2 shown]
	ds_load_b128 v[88:91], v64 offset:816
	s_wait_dscnt 0x1
	v_and_b32_e32 v92, 0xffff, v84
	v_pk_fma_f16 v101, v77, v122, v101
	v_pk_fma_f16 v120, v78, v115, v120
	;; [unrolled: 1-line block ×8, first 2 shown]
	ds_load_2addr_b64 v[76:79], v10 offset1:32
	v_pk_fma_f16 v17, v83, v115, v17
	v_mul_u32_u24_e32 v115, 0x10001, v92
	ds_load_2addr_b64 v[92:95], v10 offset0:64 offset1:96
	v_pk_fma_f16 v114, v82, v116, v114
	v_lshrrev_b32_e32 v84, 16, v84
	v_pk_fma_f16 v82, v82, v122, v105
	v_and_b32_e32 v105, 0xffff, v85
	v_lshrrev_b32_e32 v85, 16, v85
	v_pk_fma_f16 v96, v83, v116, v96
	v_mul_u32_u24_e32 v84, 0x10001, v84
	v_pk_fma_f16 v97, v83, v122, v97
	v_mul_u32_u24_e32 v105, 0x10001, v105
	v_mul_u32_u24_e32 v85, 0x10001, v85
	s_wait_dscnt 0x1
	v_pk_fma_f16 v107, v76, v84, v107
	v_pk_fma_f16 v118, v77, v84, v118
	;; [unrolled: 1-line block ×4, first 2 shown]
	s_wait_dscnt 0x0
	v_pk_fma_f16 v103, v92, v115, v103
	v_pk_fma_f16 v110, v93, v115, v110
	;; [unrolled: 1-line block ×10, first 2 shown]
	v_and_b32_e32 v80, 0xffff, v86
	v_lshrrev_b32_e32 v81, 16, v86
	v_pk_fma_f16 v99, v76, v115, v99
	v_pk_fma_f16 v116, v76, v105, v117
	;; [unrolled: 1-line block ×13, first 2 shown]
	ds_load_2addr_b64 v[76:79], v10 offset0:128 offset1:160
	v_pk_fma_f16 v113, v94, v105, v114
	v_pk_fma_f16 v96, v95, v105, v96
	;; [unrolled: 1-line block ×3, first 2 shown]
	v_and_b32_e32 v94, 0xffff, v87
	v_lshrrev_b32_e32 v87, 16, v87
	v_mul_u32_u24_e32 v105, 0x10001, v80
	v_mul_u32_u24_e32 v114, 0x10001, v81
	ds_load_2addr_b64 v[80:83], v10 offset0:192 offset1:224
	v_pk_fma_f16 v16, v95, v115, v16
	v_mul_u32_u24_e32 v94, 0x10001, v94
	v_mul_u32_u24_e32 v115, 0x10001, v87
	v_pk_fma_f16 v95, v95, v85, v97
	v_lshrrev_b32_e32 v85, 16, v88
	s_wait_dscnt 0x1
	v_pk_fma_f16 v97, v76, v105, v99
	v_pk_fma_f16 v99, v76, v114, v107
	;; [unrolled: 1-line block ×8, first 2 shown]
	s_wait_dscnt 0x0
	v_pk_fma_f16 v103, v80, v105, v103
	v_pk_fma_f16 v110, v81, v105, v110
	v_pk_fma_f16 v111, v82, v105, v111
	v_pk_fma_f16 v16, v83, v105, v16
	v_pk_fma_f16 v105, v81, v114, v106
	v_pk_fma_f16 v106, v82, v114, v112
	v_pk_fma_f16 v112, v80, v94, v84
	v_and_b32_e32 v84, 0xffff, v88
	v_pk_fma_f16 v100, v76, v115, v100
	v_pk_fma_f16 v101, v77, v115, v101
	;; [unrolled: 1-line block ×9, first 2 shown]
	ds_load_2addr_b64 v[76:79], v11 offset1:32
	v_pk_fma_f16 v98, v81, v94, v98
	v_pk_fma_f16 v113, v82, v94, v113
	;; [unrolled: 1-line block ×5, first 2 shown]
	v_and_b32_e32 v88, 0xffff, v89
	v_lshrrev_b32_e32 v89, 16, v89
	v_mul_u32_u24_e32 v92, 0x10001, v84
	v_mul_u32_u24_e32 v93, 0x10001, v85
	ds_load_2addr_b64 v[84:87], v11 offset0:64 offset1:96
	v_pk_fma_f16 v17, v83, v114, v17
	v_pk_fma_f16 v94, v83, v94, v96
	v_mul_u32_u24_e32 v88, 0x10001, v88
	v_mul_u32_u24_e32 v89, 0x10001, v89
	v_pk_fma_f16 v95, v83, v115, v95
	v_and_b32_e32 v83, 0xffff, v91
	s_wait_dscnt 0x1
	v_pk_fma_f16 v96, v76, v92, v97
	v_pk_fma_f16 v97, v76, v93, v99
	;; [unrolled: 1-line block ×12, first 2 shown]
	s_wait_dscnt 0x0
	v_pk_fma_f16 v103, v84, v92, v103
	v_pk_fma_f16 v110, v85, v92, v110
	;; [unrolled: 1-line block ×14, first 2 shown]
	v_and_b32_e32 v80, 0xffff, v90
	v_dual_lshrrev_b32 v81, 16, v90 :: v_dual_lshrrev_b32 v84, 16, v91
	v_pk_fma_f16 v100, v76, v89, v100
	v_pk_fma_f16 v101, v77, v89, v101
	v_pk_fma_f16 v102, v78, v89, v102
	v_pk_fma_f16 v120, v79, v89, v123
	ds_load_2addr_b64 v[76:79], v11 offset0:128 offset1:160
	v_pk_fma_f16 v113, v86, v89, v82
	v_mul_u32_u24_e32 v90, 0x10001, v80
	v_mul_u32_u24_e32 v91, 0x10001, v81
	;; [unrolled: 1-line block ×3, first 2 shown]
	ds_load_2addr_b64 v[80:83], v11 offset0:192 offset1:224
	v_mul_u32_u24_e32 v122, 0x10001, v84
	v_pk_fma_f16 v123, v87, v89, v95
	ds_load_b128 v[84:87], v64 offset:832
	s_wait_dscnt 0x2
	v_pk_fma_f16 v96, v76, v90, v96
	v_pk_fma_f16 v97, v76, v91, v97
	;; [unrolled: 1-line block ×12, first 2 shown]
	s_wait_dscnt 0x1
	v_pk_fma_f16 v103, v80, v90, v103
	v_pk_fma_f16 v110, v81, v90, v110
	;; [unrolled: 1-line block ×12, first 2 shown]
	ds_load_b128 v[88:91], v64 offset:848
	s_wait_dscnt 0x1
	v_and_b32_e32 v92, 0xffff, v84
	v_pk_fma_f16 v100, v76, v122, v100
	v_pk_fma_f16 v101, v77, v122, v101
	;; [unrolled: 1-line block ×4, first 2 shown]
	ds_load_2addr_b64 v[76:79], v12 offset1:32
	v_pk_fma_f16 v80, v80, v122, v94
	v_pk_fma_f16 v82, v82, v122, v113
	v_mul_u32_u24_e32 v113, 0x10001, v92
	ds_load_2addr_b64 v[92:95], v12 offset0:64 offset1:96
	v_pk_fma_f16 v81, v81, v122, v112
	v_lshrrev_b32_e32 v84, 16, v84
	v_and_b32_e32 v112, 0xffff, v85
	v_lshrrev_b32_e32 v85, 16, v85
	v_pk_fma_f16 v122, v83, v122, v123
	s_delay_alu instid0(VALU_DEP_4) | instskip(NEXT) | instid1(VALU_DEP_4)
	v_mul_u32_u24_e32 v84, 0x10001, v84
	v_mul_u32_u24_e32 v112, 0x10001, v112
	s_delay_alu instid0(VALU_DEP_4)
	v_mul_u32_u24_e32 v85, 0x10001, v85
	s_wait_dscnt 0x1
	v_pk_fma_f16 v96, v76, v113, v96
	v_pk_fma_f16 v97, v76, v84, v97
	;; [unrolled: 1-line block ×8, first 2 shown]
	s_wait_dscnt 0x0
	v_pk_fma_f16 v103, v92, v113, v103
	v_pk_fma_f16 v110, v93, v113, v110
	;; [unrolled: 1-line block ×12, first 2 shown]
	v_and_b32_e32 v80, 0xffff, v86
	v_lshrrev_b32_e32 v81, 16, v86
	v_pk_fma_f16 v99, v76, v112, v99
	v_pk_fma_f16 v100, v76, v85, v100
	;; [unrolled: 1-line block ×8, first 2 shown]
	ds_load_2addr_b64 v[76:79], v12 offset0:128 offset1:160
	v_pk_fma_f16 v106, v94, v112, v106
	v_pk_fma_f16 v112, v95, v112, v121
	;; [unrolled: 1-line block ×3, first 2 shown]
	v_and_b32_e32 v94, 0xffff, v87
	v_lshrrev_b32_e32 v87, 16, v87
	v_mul_u32_u24_e32 v121, 0x10001, v80
	v_mul_u32_u24_e32 v123, 0x10001, v81
	ds_load_2addr_b64 v[80:83], v12 offset0:192 offset1:224
	v_mul_u32_u24_e32 v94, 0x10001, v94
	v_mul_u32_u24_e32 v124, 0x10001, v87
	v_pk_fma_f16 v95, v95, v85, v122
	v_lshrrev_b32_e32 v85, 16, v88
	s_wait_dscnt 0x1
	v_pk_fma_f16 v96, v76, v121, v96
	v_pk_fma_f16 v107, v77, v121, v107
	;; [unrolled: 1-line block ×8, first 2 shown]
	s_wait_dscnt 0x0
	v_pk_fma_f16 v103, v80, v121, v103
	v_pk_fma_f16 v110, v81, v121, v110
	;; [unrolled: 1-line block ×5, first 2 shown]
	v_and_b32_e32 v84, 0xffff, v88
	v_pk_fma_f16 v115, v77, v94, v115
	v_pk_fma_f16 v101, v77, v124, v101
	;; [unrolled: 1-line block ×10, first 2 shown]
	ds_load_2addr_b64 v[76:79], v13 offset1:32
	v_pk_fma_f16 v105, v82, v123, v105
	v_pk_fma_f16 v98, v81, v94, v98
	;; [unrolled: 1-line block ×6, first 2 shown]
	v_and_b32_e32 v88, 0xffff, v89
	v_lshrrev_b32_e32 v89, 16, v89
	v_mul_u32_u24_e32 v92, 0x10001, v84
	v_mul_u32_u24_e32 v93, 0x10001, v85
	ds_load_2addr_b64 v[84:87], v13 offset0:64 offset1:96
	v_pk_fma_f16 v17, v83, v123, v17
	v_pk_fma_f16 v94, v83, v94, v112
	v_mul_u32_u24_e32 v88, 0x10001, v88
	v_mul_u32_u24_e32 v89, 0x10001, v89
	v_pk_fma_f16 v95, v83, v124, v95
	v_and_b32_e32 v83, 0xffff, v91
	s_wait_dscnt 0x1
	v_pk_fma_f16 v96, v76, v92, v96
	v_pk_fma_f16 v97, v76, v93, v97
	;; [unrolled: 1-line block ×12, first 2 shown]
	s_wait_dscnt 0x0
	v_pk_fma_f16 v103, v84, v92, v103
	v_pk_fma_f16 v110, v85, v92, v110
	;; [unrolled: 1-line block ×14, first 2 shown]
	v_and_b32_e32 v80, 0xffff, v90
	v_dual_lshrrev_b32 v81, 16, v90 :: v_dual_lshrrev_b32 v84, 16, v91
	v_pk_fma_f16 v100, v76, v89, v100
	v_pk_fma_f16 v101, v77, v89, v101
	;; [unrolled: 1-line block ×4, first 2 shown]
	ds_load_2addr_b64 v[76:79], v13 offset0:128 offset1:160
	v_pk_fma_f16 v120, v86, v89, v82
	v_mul_u32_u24_e32 v90, 0x10001, v80
	v_mul_u32_u24_e32 v91, 0x10001, v81
	;; [unrolled: 1-line block ×3, first 2 shown]
	ds_load_2addr_b64 v[80:83], v13 offset0:192 offset1:224
	v_mul_u32_u24_e32 v122, 0x10001, v84
	v_pk_fma_f16 v123, v87, v89, v95
	ds_load_b128 v[84:87], v64 offset:864
	s_wait_dscnt 0x2
	v_pk_fma_f16 v96, v76, v90, v96
	v_pk_fma_f16 v97, v76, v91, v97
	v_pk_fma_f16 v99, v76, v121, v99
	v_pk_fma_f16 v107, v77, v90, v107
	v_pk_fma_f16 v112, v77, v91, v112
	v_pk_fma_f16 v114, v77, v121, v114
	v_pk_fma_f16 v115, v78, v90, v115
	v_pk_fma_f16 v116, v78, v91, v116
	v_pk_fma_f16 v117, v78, v121, v117
	v_pk_fma_f16 v118, v79, v90, v118
	v_pk_fma_f16 v108, v79, v91, v108
	v_pk_fma_f16 v109, v79, v121, v109
	s_wait_dscnt 0x1
	v_pk_fma_f16 v103, v80, v90, v103
	v_pk_fma_f16 v110, v81, v90, v110
	;; [unrolled: 1-line block ×12, first 2 shown]
	ds_load_b128 v[88:91], v64 offset:880
	s_wait_dscnt 0x1
	v_and_b32_e32 v92, 0xffff, v84
	v_pk_fma_f16 v80, v80, v122, v94
	v_pk_fma_f16 v82, v82, v122, v120
	v_pk_fma_f16 v100, v76, v122, v100
	v_pk_fma_f16 v101, v77, v122, v101
	v_mul_u32_u24_e32 v120, 0x10001, v92
	ds_load_2addr_b64 v[92:95], v14 offset0:64 offset1:96
	v_pk_fma_f16 v102, v78, v122, v102
	v_pk_fma_f16 v119, v79, v122, v119
	ds_load_2addr_b64 v[76:79], v14 offset1:32
	v_lshrrev_b32_e32 v84, 16, v84
	v_pk_fma_f16 v81, v81, v122, v113
	v_and_b32_e32 v113, 0xffff, v85
	v_lshrrev_b32_e32 v85, 16, v85
	v_pk_fma_f16 v122, v83, v122, v123
	v_mul_u32_u24_e32 v84, 0x10001, v84
	s_delay_alu instid0(VALU_DEP_4) | instskip(NEXT) | instid1(VALU_DEP_4)
	v_mul_u32_u24_e32 v113, 0x10001, v113
	v_mul_u32_u24_e32 v126, 0x10001, v85
	s_wait_dscnt 0x1
	v_pk_fma_f16 v146, v95, v120, v16
	v_pk_fma_f16 v149, v95, v84, v17
	v_add_nc_u64_e32 v[16:17], s[26:27], v[40:41]
	s_wait_dscnt 0x0
	v_pk_fma_f16 v128, v76, v84, v97
	v_pk_fma_f16 v132, v77, v84, v112
	;; [unrolled: 1-line block ×7, first 2 shown]
	v_add_nc_u64_e32 v[84:85], s[26:27], v[42:43]
	v_add_nc_u64_e32 v[16:17], v[16:17], v[28:29]
	v_pk_fma_f16 v127, v76, v120, v96
	v_pk_fma_f16 v129, v76, v113, v99
	;; [unrolled: 1-line block ×5, first 2 shown]
	v_add_nc_u64_e32 v[84:85], v[84:85], v[28:29]
	v_pk_fma_f16 v134, v77, v126, v101
	v_pk_fma_f16 v135, v78, v120, v115
	;; [unrolled: 1-line block ×10, first 2 shown]
	ds_load_2addr_b64 v[76:79], v14 offset0:128 offset1:160
	v_pk_fma_f16 v125, v92, v113, v125
	v_pk_fma_f16 v150, v93, v113, v98
	;; [unrolled: 1-line block ×7, first 2 shown]
	ds_load_2addr_b64 v[80:83], v14 offset0:192 offset1:224
	v_pk_fma_f16 v126, v95, v126, v122
	ds_load_2addr_b64 v[92:95], v15 offset1:32
	ds_load_2addr_b64 v[96:99], v15 offset0:64 offset1:96
	ds_load_2addr_b64 v[100:103], v15 offset0:128 offset1:160
	;; [unrolled: 1-line block ×3, first 2 shown]
	s_wait_dscnt 0x0
	s_barrier_signal -1
	s_barrier_wait -1
	s_clause 0x3
	global_load_b128 v[108:111], v[16:17], off
	global_load_b128 v[112:115], v[16:17], off offset:512
	global_load_b128 v[116:119], v[84:85], off
	global_load_b128 v[120:123], v[84:85], off offset:512
	s_wait_xcnt 0x2
	v_and_b32_e32 v16, 0xffff, v86
	s_wait_xcnt 0x0
	v_dual_lshrrev_b32 v17, 16, v86 :: v_dual_lshrrev_b32 v84, 16, v87
	v_and_b32_e32 v28, 0xffff, v87
	s_wait_loadcnt 0x3
	ds_store_b128 v65, v[108:111]
	s_wait_loadcnt 0x2
	ds_store_b128 v66, v[112:115]
	;; [unrolled: 2-line block ×4, first 2 shown]
	v_mul_u32_u24_e32 v16, 0x10001, v16
	v_mul_u32_u24_e32 v17, 0x10001, v17
	;; [unrolled: 1-line block ×4, first 2 shown]
	s_wait_dscnt 0x0
	v_pk_fma_f16 v85, v76, v16, v127
	v_pk_fma_f16 v86, v76, v17, v128
	;; [unrolled: 1-line block ×8, first 2 shown]
	v_and_b32_e32 v143, 0xffff, v88
	v_lshrrev_b32_e32 v88, 16, v88
	v_and_b32_e32 v144, 0xffff, v89
	v_lshrrev_b32_e32 v89, 16, v89
	v_pk_fma_f16 v87, v76, v28, v129
	v_pk_fma_f16 v76, v76, v84, v130
	;; [unrolled: 1-line block ×18, first 2 shown]
	v_mul_u32_u24_e32 v143, 0x10001, v143
	v_mul_u32_u24_e32 v88, 0x10001, v88
	;; [unrolled: 1-line block ×4, first 2 shown]
	v_pk_fma_f16 v138, v82, v16, v145
	v_pk_fma_f16 v16, v83, v16, v146
	;; [unrolled: 1-line block ×32, first 2 shown]
	v_and_b32_e32 v79, 0xffff, v90
	v_dual_lshrrev_b32 v80, 16, v90 :: v_dual_lshrrev_b32 v90, 16, v91
	v_and_b32_e32 v81, 0xffff, v91
	v_pk_fma_f16 v133, v98, v143, v138
	v_pk_fma_f16 v136, v98, v144, v142
	;; [unrolled: 1-line block ×3, first 2 shown]
	v_mul_u32_u24_e32 v82, 0x10001, v79
	v_mul_u32_u24_e32 v98, 0x10001, v80
	;; [unrolled: 1-line block ×4, first 2 shown]
	s_barrier_signal -1
	v_pk_fma_f16 v139, v100, v82, v84
	v_pk_fma_f16 v140, v100, v98, v85
	;; [unrolled: 1-line block ×12, first 2 shown]
	s_barrier_wait -1
	ds_load_b128 v[76:79], v64 offset:896
	ds_load_b128 v[84:87], v64 offset:912
	v_pk_fma_f16 v16, v99, v143, v16
	v_pk_fma_f16 v108, v103, v98, v129
	;; [unrolled: 1-line block ×16, first 2 shown]
	ds_load_2addr_b64 v[80:83], v75 offset1:32
	v_pk_fma_f16 v116, v106, v137, v136
	s_wait_dscnt 0x2
	v_and_b32_e32 v88, 0xffff, v76
	v_pk_fma_f16 v96, v104, v138, v96
	v_pk_fma_f16 v104, v106, v138, v91
	v_lshrrev_b32_e32 v76, 16, v76
	v_pk_fma_f16 v115, v105, v137, v125
	v_mul_u32_u24_e32 v106, 0x10001, v88
	ds_load_2addr_b64 v[88:91], v75 offset0:64 offset1:96
	v_pk_fma_f16 v97, v105, v138, v97
	v_and_b32_e32 v105, 0xffff, v77
	v_lshrrev_b32_e32 v77, 16, v77
	v_mul_u32_u24_e32 v76, 0x10001, v76
	v_pk_fma_f16 v28, v107, v137, v28
	v_pk_fma_f16 v99, v107, v138, v99
	v_mul_u32_u24_e32 v105, 0x10001, v105
	v_mul_u32_u24_e32 v117, 0x10001, v77
	v_lshrrev_b32_e32 v77, 16, v78
	s_wait_dscnt 0x1
	v_pk_fma_f16 v107, v80, v106, v139
	v_pk_fma_f16 v118, v80, v76, v140
	;; [unrolled: 1-line block ×8, first 2 shown]
	s_wait_dscnt 0x0
	v_pk_fma_f16 v103, v88, v106, v103
	v_pk_fma_f16 v110, v89, v106, v110
	;; [unrolled: 1-line block ×8, first 2 shown]
	v_and_b32_e32 v76, 0xffff, v78
	v_pk_fma_f16 v119, v80, v105, v141
	v_pk_fma_f16 v100, v80, v117, v100
	;; [unrolled: 1-line block ×8, first 2 shown]
	ds_load_2addr_b64 v[80:83], v75 offset0:128 offset1:160
	v_pk_fma_f16 v98, v88, v105, v98
	v_pk_fma_f16 v114, v89, v105, v115
	;; [unrolled: 1-line block ×7, first 2 shown]
	v_and_b32_e32 v96, 0xffff, v79
	v_lshrrev_b32_e32 v97, 16, v79
	v_mul_u32_u24_e32 v104, 0x10001, v76
	v_mul_u32_u24_e32 v105, 0x10001, v77
	ds_load_2addr_b64 v[76:79], v75 offset0:192 offset1:224
	v_mul_u32_u24_e32 v75, 0x10001, v96
	v_mul_u32_u24_e32 v96, 0x10001, v97
	v_pk_fma_f16 v97, v91, v117, v99
	s_wait_dscnt 0x1
	v_pk_fma_f16 v99, v80, v104, v107
	v_pk_fma_f16 v107, v80, v105, v118
	;; [unrolled: 1-line block ×16, first 2 shown]
	s_wait_dscnt 0x0
	v_pk_fma_f16 v103, v76, v104, v103
	v_pk_fma_f16 v110, v77, v104, v110
	v_pk_fma_f16 v111, v78, v104, v111
	v_pk_fma_f16 v16, v79, v104, v16
	v_pk_fma_f16 v104, v76, v105, v106
	v_pk_fma_f16 v106, v77, v105, v112
	ds_load_2addr_b64 v[80:83], v74 offset1:32
	v_pk_fma_f16 v112, v78, v105, v113
	v_pk_fma_f16 v17, v79, v105, v17
	;; [unrolled: 1-line block ×8, first 2 shown]
	v_and_b32_e32 v76, 0xffff, v84
	v_lshrrev_b32_e32 v77, 16, v84
	v_pk_fma_f16 v84, v78, v96, v90
	ds_load_2addr_b64 v[88:91], v74 offset0:64 offset1:96
	v_and_b32_e32 v78, 0xffff, v85
	v_lshrrev_b32_e32 v85, 16, v85
	v_mul_u32_u24_e32 v76, 0x10001, v76
	v_mul_u32_u24_e32 v115, 0x10001, v77
	v_pk_fma_f16 v96, v79, v96, v97
	v_mul_u32_u24_e32 v121, 0x10001, v78
	v_mul_u32_u24_e32 v85, 0x10001, v85
	s_wait_dscnt 0x1
	v_pk_fma_f16 v97, v80, v76, v99
	v_pk_fma_f16 v99, v80, v115, v107
	;; [unrolled: 1-line block ×10, first 2 shown]
	v_lshrrev_b32_e32 v80, 16, v86
	v_and_b32_e32 v81, 0xffff, v87
	s_wait_dscnt 0x0
	v_pk_fma_f16 v103, v88, v76, v103
	v_pk_fma_f16 v110, v89, v76, v110
	;; [unrolled: 1-line block ×4, first 2 shown]
	ds_load_2addr_b64 v[76:79], v74 offset0:128 offset1:160
	v_pk_fma_f16 v118, v82, v115, v119
	v_pk_fma_f16 v119, v82, v121, v120
	;; [unrolled: 1-line block ×15, first 2 shown]
	v_and_b32_e32 v75, 0xffff, v86
	v_pk_fma_f16 v90, v90, v85, v84
	v_lshrrev_b32_e32 v84, 16, v87
	v_mul_u32_u24_e32 v114, 0x10001, v80
	v_mul_u32_u24_e32 v115, 0x10001, v81
	ds_load_2addr_b64 v[80:83], v74 offset0:192 offset1:224
	v_mul_u32_u24_e32 v86, 0x10001, v75
	v_mul_u32_u24_e32 v120, 0x10001, v84
	s_wait_dscnt 0x1
	v_pk_fma_f16 v99, v76, v114, v99
	v_pk_fma_f16 v107, v76, v115, v107
	v_pk_fma_f16 v92, v77, v114, v92
	v_pk_fma_f16 v97, v76, v86, v97
	v_pk_fma_f16 v100, v76, v120, v100
	v_pk_fma_f16 v116, v77, v86, v116
	v_pk_fma_f16 v117, v77, v115, v117
	v_pk_fma_f16 v101, v77, v120, v101
	ds_load_b128 v[74:77], v64 offset:928
	v_pk_fma_f16 v28, v91, v121, v28
	v_pk_fma_f16 v96, v91, v85, v96
	;; [unrolled: 1-line block ×8, first 2 shown]
	s_wait_dscnt 0x1
	v_pk_fma_f16 v103, v80, v86, v103
	v_pk_fma_f16 v110, v81, v86, v110
	;; [unrolled: 1-line block ×7, first 2 shown]
	ds_load_2addr_b64 v[84:87], v10 offset1:32
	v_pk_fma_f16 v17, v83, v114, v17
	v_pk_fma_f16 v114, v80, v120, v88
	;; [unrolled: 1-line block ×4, first 2 shown]
	ds_load_2addr_b64 v[88:91], v10 offset0:64 offset1:96
	v_pk_fma_f16 v109, v79, v115, v109
	v_pk_fma_f16 v95, v79, v120, v95
	;; [unrolled: 1-line block ×5, first 2 shown]
	ds_load_b128 v[78:81], v64 offset:944
	s_wait_dscnt 0x3
	v_and_b32_e32 v82, 0xffff, v74
	v_lshrrev_b32_e32 v74, 16, v74
	v_pk_fma_f16 v28, v83, v115, v28
	v_and_b32_e32 v115, 0xffff, v75
	v_lshrrev_b32_e32 v75, 16, v75
	v_mul_u32_u24_e32 v82, 0x10001, v82
	v_mul_u32_u24_e32 v74, 0x10001, v74
	v_pk_fma_f16 v96, v83, v120, v96
	v_mul_u32_u24_e32 v115, 0x10001, v115
	v_mul_u32_u24_e32 v123, 0x10001, v75
	s_wait_dscnt 0x2
	v_pk_fma_f16 v93, v86, v82, v93
	v_pk_fma_f16 v99, v84, v74, v99
	;; [unrolled: 1-line block ×10, first 2 shown]
	s_wait_dscnt 0x1
	v_pk_fma_f16 v95, v88, v82, v103
	v_pk_fma_f16 v103, v89, v82, v110
	;; [unrolled: 1-line block ×6, first 2 shown]
	v_and_b32_e32 v74, 0xffff, v76
	v_lshrrev_b32_e32 v75, 16, v76
	v_pk_fma_f16 v97, v84, v82, v97
	v_pk_fma_f16 v107, v84, v115, v107
	v_pk_fma_f16 v100, v84, v123, v100
	v_pk_fma_f16 v116, v85, v82, v116
	v_pk_fma_f16 v117, v85, v115, v117
	v_pk_fma_f16 v101, v85, v123, v101
	v_pk_fma_f16 v109, v90, v82, v111
	v_pk_fma_f16 v16, v91, v82, v16
	ds_load_2addr_b64 v[82:85], v10 offset0:128 offset1:160
	v_pk_fma_f16 v98, v88, v115, v98
	v_pk_fma_f16 v105, v89, v115, v105
	v_pk_fma_f16 v111, v90, v115, v113
	v_pk_fma_f16 v28, v91, v115, v28
	v_pk_fma_f16 v88, v88, v123, v114
	v_and_b32_e32 v112, 0xffff, v77
	v_lshrrev_b32_e32 v113, 16, v77
	v_mul_u32_u24_e32 v114, 0x10001, v74
	v_mul_u32_u24_e32 v115, 0x10001, v75
	ds_load_2addr_b64 v[74:77], v10 offset0:192 offset1:224
	v_pk_fma_f16 v89, v89, v123, v121
	v_mul_u32_u24_e32 v10, 0x10001, v112
	v_mul_u32_u24_e32 v112, 0x10001, v113
	v_pk_fma_f16 v91, v91, v123, v96
	v_pk_fma_f16 v90, v90, v123, v122
	s_wait_dscnt 0x1
	v_pk_fma_f16 v96, v82, v114, v97
	v_pk_fma_f16 v97, v82, v115, v99
	;; [unrolled: 1-line block ×16, first 2 shown]
	s_wait_dscnt 0x0
	v_pk_fma_f16 v95, v74, v114, v95
	v_pk_fma_f16 v103, v75, v114, v103
	;; [unrolled: 1-line block ×4, first 2 shown]
	ds_load_2addr_b64 v[82:85], v11 offset1:32
	v_pk_fma_f16 v98, v74, v10, v98
	v_pk_fma_f16 v105, v75, v10, v105
	;; [unrolled: 1-line block ×6, first 2 shown]
	ds_load_2addr_b64 v[86:89], v11 offset0:64 offset1:96
	v_pk_fma_f16 v104, v74, v115, v104
	v_pk_fma_f16 v106, v75, v115, v106
	;; [unrolled: 1-line block ×3, first 2 shown]
	v_and_b32_e32 v74, 0xffff, v78
	v_lshrrev_b32_e32 v75, 16, v78
	v_pk_fma_f16 v78, v76, v112, v90
	v_and_b32_e32 v76, 0xffff, v79
	v_lshrrev_b32_e32 v79, 16, v79
	v_pk_fma_f16 v17, v77, v115, v17
	v_mul_u32_u24_e32 v74, 0x10001, v74
	v_mul_u32_u24_e32 v90, 0x10001, v75
	;; [unrolled: 1-line block ×4, first 2 shown]
	v_pk_fma_f16 v91, v77, v112, v91
	s_wait_dscnt 0x1
	v_pk_fma_f16 v96, v82, v74, v96
	v_pk_fma_f16 v97, v82, v90, v97
	;; [unrolled: 1-line block ×7, first 2 shown]
	s_wait_dscnt 0x0
	v_pk_fma_f16 v95, v86, v74, v95
	v_pk_fma_f16 v103, v87, v74, v103
	;; [unrolled: 1-line block ×4, first 2 shown]
	ds_load_2addr_b64 v[74:77], v11 offset0:128 offset1:160
	v_pk_fma_f16 v92, v83, v90, v92
	v_pk_fma_f16 v107, v83, v115, v113
	v_pk_fma_f16 v83, v83, v120, v101
	v_pk_fma_f16 v101, v84, v90, v116
	v_pk_fma_f16 v102, v85, v90, v102
	v_pk_fma_f16 v104, v86, v90, v104
	v_pk_fma_f16 v106, v87, v90, v106
	v_pk_fma_f16 v110, v88, v90, v110
	v_pk_fma_f16 v17, v89, v90, v17
	v_pk_fma_f16 v90, v86, v115, v98
	v_pk_fma_f16 v98, v87, v115, v105
	v_pk_fma_f16 v105, v88, v115, v111
	v_pk_fma_f16 v28, v86, v120, v28
	v_pk_fma_f16 v86, v87, v120, v114
	v_and_b32_e32 v79, 0xffff, v80
	v_lshrrev_b32_e32 v80, 16, v80
	v_pk_fma_f16 v87, v88, v120, v78
	v_lshrrev_b32_e32 v88, 16, v81
	v_pk_fma_f16 v112, v84, v115, v117
	v_pk_fma_f16 v84, v84, v120, v118
	;; [unrolled: 1-line block ×4, first 2 shown]
	v_and_b32_e32 v85, 0xffff, v81
	v_mul_u32_u24_e32 v111, 0x10001, v79
	v_mul_u32_u24_e32 v114, 0x10001, v80
	ds_load_2addr_b64 v[78:81], v11 offset0:192 offset1:224
	v_mul_u32_u24_e32 v11, 0x10001, v88
	v_pk_fma_f16 v10, v89, v115, v10
	v_mul_u32_u24_e32 v115, 0x10001, v85
	v_pk_fma_f16 v116, v89, v120, v91
	s_wait_dscnt 0x1
	v_pk_fma_f16 v96, v74, v111, v96
	v_pk_fma_f16 v117, v74, v11, v82
	;; [unrolled: 1-line block ×4, first 2 shown]
	ds_load_b128 v[82:85], v64 offset:960
	v_pk_fma_f16 v97, v74, v114, v97
	v_pk_fma_f16 v99, v74, v115, v99
	;; [unrolled: 1-line block ×10, first 2 shown]
	s_wait_dscnt 0x1
	v_pk_fma_f16 v95, v78, v111, v95
	v_pk_fma_f16 v104, v78, v114, v104
	v_pk_fma_f16 v122, v78, v115, v90
	v_pk_fma_f16 v28, v78, v11, v28
	v_pk_fma_f16 v78, v79, v111, v103
	v_pk_fma_f16 v103, v79, v114, v106
	v_pk_fma_f16 v98, v79, v115, v98
	v_pk_fma_f16 v79, v79, v11, v86
	v_pk_fma_f16 v106, v80, v111, v109
	v_pk_fma_f16 v109, v80, v114, v110
	v_pk_fma_f16 v105, v80, v115, v105
	v_pk_fma_f16 v80, v80, v11, v87
	ds_load_b128 v[86:89], v64 offset:976
	s_wait_dscnt 0x1
	v_and_b32_e32 v90, 0xffff, v82
	v_pk_fma_f16 v108, v77, v115, v108
	v_pk_fma_f16 v113, v77, v11, v113
	ds_load_2addr_b64 v[74:77], v12 offset1:32
	v_pk_fma_f16 v16, v81, v111, v16
	v_mul_u32_u24_e32 v111, 0x10001, v90
	ds_load_2addr_b64 v[90:93], v12 offset0:64 offset1:96
	v_lshrrev_b32_e32 v82, 16, v82
	v_and_b32_e32 v110, 0xffff, v83
	v_lshrrev_b32_e32 v83, 16, v83
	v_pk_fma_f16 v17, v81, v114, v17
	v_pk_fma_f16 v10, v81, v115, v10
	v_mul_u32_u24_e32 v82, 0x10001, v82
	v_mul_u32_u24_e32 v110, 0x10001, v110
	;; [unrolled: 1-line block ×3, first 2 shown]
	v_pk_fma_f16 v11, v81, v11, v116
	s_wait_dscnt 0x1
	v_pk_fma_f16 v97, v74, v82, v97
	v_pk_fma_f16 v115, v75, v82, v118
	;; [unrolled: 1-line block ×5, first 2 shown]
	s_wait_dscnt 0x0
	v_pk_fma_f16 v95, v90, v111, v95
	v_pk_fma_f16 v119, v91, v111, v78
	;; [unrolled: 1-line block ×9, first 2 shown]
	v_and_b32_e32 v78, 0xffff, v84
	v_lshrrev_b32_e32 v79, 16, v84
	v_pk_fma_f16 v96, v74, v111, v96
	v_pk_fma_f16 v99, v74, v110, v99
	;; [unrolled: 1-line block ×12, first 2 shown]
	ds_load_2addr_b64 v[74:77], v12 offset0:128 offset1:160
	v_pk_fma_f16 v98, v91, v110, v98
	v_pk_fma_f16 v105, v92, v110, v105
	;; [unrolled: 1-line block ×4, first 2 shown]
	v_and_b32_e32 v91, 0xffff, v85
	v_lshrrev_b32_e32 v85, 16, v85
	v_mul_u32_u24_e32 v92, 0x10001, v78
	v_mul_u32_u24_e32 v110, 0x10001, v79
	ds_load_2addr_b64 v[78:81], v12 offset0:192 offset1:224
	v_pk_fma_f16 v16, v93, v111, v16
	v_mul_u32_u24_e32 v12, 0x10001, v91
	v_mul_u32_u24_e32 v91, 0x10001, v85
	v_pk_fma_f16 v11, v93, v83, v11
	s_wait_dscnt 0x1
	v_pk_fma_f16 v93, v74, v92, v96
	v_pk_fma_f16 v96, v74, v110, v97
	;; [unrolled: 1-line block ×16, first 2 shown]
	s_wait_dscnt 0x0
	v_pk_fma_f16 v95, v78, v92, v95
	v_pk_fma_f16 v117, v79, v92, v119
	;; [unrolled: 1-line block ×5, first 2 shown]
	ds_load_2addr_b64 v[74:77], v13 offset1:32
	v_pk_fma_f16 v104, v80, v110, v109
	v_pk_fma_f16 v109, v78, v12, v82
	;; [unrolled: 1-line block ×4, first 2 shown]
	ds_load_2addr_b64 v[82:85], v13 offset0:64 offset1:96
	v_pk_fma_f16 v103, v79, v110, v103
	v_pk_fma_f16 v98, v79, v12, v98
	v_pk_fma_f16 v10, v81, v12, v10
	v_pk_fma_f16 v12, v78, v91, v28
	v_pk_fma_f16 v28, v79, v91, v90
	v_and_b32_e32 v78, 0xffff, v86
	v_lshrrev_b32_e32 v79, 16, v86
	v_and_b32_e32 v86, 0xffff, v87
	v_lshrrev_b32_e32 v87, 16, v87
	v_pk_fma_f16 v17, v81, v110, v17
	v_mul_u32_u24_e32 v78, 0x10001, v78
	v_mul_u32_u24_e32 v79, 0x10001, v79
	;; [unrolled: 1-line block ×4, first 2 shown]
	v_pk_fma_f16 v81, v81, v91, v11
	s_wait_dscnt 0x1
	v_pk_fma_f16 v90, v74, v78, v93
	v_pk_fma_f16 v91, v74, v79, v96
	v_pk_fma_f16 v93, v74, v86, v97
	v_pk_fma_f16 v96, v74, v87, v99
	v_pk_fma_f16 v97, v75, v78, v100
	v_pk_fma_f16 v99, v75, v79, v111
	v_pk_fma_f16 v100, v75, v86, v107
	v_pk_fma_f16 v107, v75, v87, v114
	v_pk_fma_f16 v110, v76, v78, v115
	v_pk_fma_f16 v111, v76, v86, v112
	v_pk_fma_f16 v94, v77, v78, v94
	v_pk_fma_f16 v108, v77, v86, v108
	s_wait_dscnt 0x0
	v_pk_fma_f16 v95, v82, v78, v95
	v_pk_fma_f16 v114, v83, v78, v117
	;; [unrolled: 1-line block ×10, first 2 shown]
	v_and_b32_e32 v10, 0xffff, v88
	v_dual_lshrrev_b32 v11, 16, v88 :: v_dual_lshrrev_b32 v78, 16, v89
	v_and_b32_e32 v12, 0xffff, v89
	v_pk_fma_f16 v101, v76, v79, v101
	v_pk_fma_f16 v112, v76, v87, v116
	;; [unrolled: 1-line block ×5, first 2 shown]
	ds_load_2addr_b64 v[74:77], v13 offset0:128 offset1:160
	v_pk_fma_f16 v104, v84, v79, v104
	v_pk_fma_f16 v17, v85, v79, v17
	;; [unrolled: 1-line block ×4, first 2 shown]
	v_mul_u32_u24_e32 v84, 0x10001, v10
	v_mul_u32_u24_e32 v88, 0x10001, v11
	;; [unrolled: 1-line block ×3, first 2 shown]
	ds_load_2addr_b64 v[10:13], v13 offset0:192 offset1:224
	v_mul_u32_u24_e32 v115, 0x10001, v78
	v_pk_fma_f16 v116, v85, v87, v81
	ds_load_b128 v[78:81], v64 offset:992
	s_wait_dscnt 0x2
	v_pk_fma_f16 v90, v74, v84, v90
	v_pk_fma_f16 v91, v74, v88, v91
	;; [unrolled: 1-line block ×16, first 2 shown]
	s_wait_dscnt 0x1
	v_pk_fma_f16 v95, v10, v84, v95
	v_pk_fma_f16 v92, v10, v88, v92
	;; [unrolled: 1-line block ×7, first 2 shown]
	ds_load_2addr_b64 v[74:77], v14 offset1:32
	v_pk_fma_f16 v17, v13, v88, v17
	v_pk_fma_f16 v109, v10, v89, v109
	;; [unrolled: 1-line block ×7, first 2 shown]
	ds_load_b128 v[82:85], v64 offset:1008
	s_wait_dscnt 0x2
	v_and_b32_e32 v10, 0xffff, v78
	v_lshrrev_b32_e32 v11, 16, v78
	v_pk_fma_f16 v78, v13, v89, v86
	ds_load_2addr_b64 v[86:89], v14 offset0:64 offset1:96
	v_and_b32_e32 v12, 0xffff, v79
	v_lshrrev_b32_e32 v79, 16, v79
	v_mul_u32_u24_e32 v10, 0x10001, v10
	v_mul_u32_u24_e32 v119, 0x10001, v11
	v_pk_fma_f16 v115, v13, v115, v116
	v_mul_u32_u24_e32 v120, 0x10001, v12
	v_mul_u32_u24_e32 v79, 0x10001, v79
	s_wait_dscnt 0x2
	v_pk_fma_f16 v90, v74, v10, v90
	v_pk_fma_f16 v91, v74, v119, v91
	v_pk_fma_f16 v97, v75, v10, v97
	v_pk_fma_f16 v93, v74, v120, v93
	v_pk_fma_f16 v96, v74, v79, v96
	v_pk_fma_f16 v99, v75, v119, v99
	v_pk_fma_f16 v100, v75, v120, v100
	v_pk_fma_f16 v107, v75, v79, v107
	v_pk_fma_f16 v110, v76, v10, v110
	v_pk_fma_f16 v94, v77, v10, v94
	v_and_b32_e32 v74, 0xffff, v80
	v_lshrrev_b32_e32 v75, 16, v80
	s_wait_dscnt 0x0
	v_pk_fma_f16 v95, v86, v10, v95
	v_pk_fma_f16 v114, v87, v10, v114
	;; [unrolled: 1-line block ×4, first 2 shown]
	ds_load_2addr_b64 v[10:13], v14 offset0:128 offset1:160
	v_pk_fma_f16 v101, v76, v119, v101
	v_pk_fma_f16 v111, v76, v120, v111
	;; [unrolled: 1-line block ×12, first 2 shown]
	v_and_b32_e32 v87, 0xffff, v81
	v_lshrrev_b32_e32 v81, 16, v81
	v_mul_u32_u24_e32 v88, 0x10001, v74
	v_mul_u32_u24_e32 v116, 0x10001, v75
	ds_load_2addr_b64 v[74:77], v14 offset0:192 offset1:224
	v_mul_u32_u24_e32 v14, 0x10001, v87
	v_mul_u32_u24_e32 v87, 0x10001, v81
	v_pk_fma_f16 v92, v86, v119, v92
	v_pk_fma_f16 v109, v86, v120, v109
	;; [unrolled: 1-line block ×3, first 2 shown]
	s_wait_dscnt 0x1
	v_pk_fma_f16 v90, v10, v88, v90
	v_pk_fma_f16 v91, v10, v116, v91
	;; [unrolled: 1-line block ×16, first 2 shown]
	ds_load_2addr_b64 v[10:13], v15 offset1:32
	v_pk_fma_f16 v17, v89, v119, v17
	v_pk_fma_f16 v78, v89, v120, v78
	;; [unrolled: 1-line block ×3, first 2 shown]
	s_wait_dscnt 0x1
	v_pk_fma_f16 v95, v74, v88, v95
	v_pk_fma_f16 v114, v75, v88, v114
	;; [unrolled: 1-line block ×13, first 2 shown]
	v_and_b32_e32 v79, 0xffff, v82
	v_lshrrev_b32_e32 v80, 16, v82
	v_pk_fma_f16 v14, v77, v14, v78
	v_and_b32_e32 v82, 0xffff, v83
	v_lshrrev_b32_e32 v83, 16, v83
	v_mul_u32_u24_e32 v104, 0x10001, v79
	v_mul_u32_u24_e32 v105, 0x10001, v80
	ds_load_2addr_b64 v[78:81], v15 offset0:64 offset1:96
	v_mul_u32_u24_e32 v82, 0x10001, v82
	v_mul_u32_u24_e32 v83, 0x10001, v83
	v_pk_fma_f16 v17, v77, v116, v17
	v_pk_fma_f16 v77, v77, v87, v89
	s_wait_dscnt 0x1
	v_pk_fma_f16 v87, v10, v104, v90
	v_pk_fma_f16 v89, v10, v105, v91
	;; [unrolled: 1-line block ×16, first 2 shown]
	ds_load_2addr_b64 v[10:13], v15 offset0:128 offset1:160
	s_wait_dscnt 0x1
	v_pk_fma_f16 v115, v78, v104, v95
	v_pk_fma_f16 v114, v79, v104, v114
	;; [unrolled: 1-line block ×13, first 2 shown]
	v_and_b32_e32 v76, 0xffff, v84
	v_dual_lshrrev_b32 v78, 16, v84 :: v_dual_lshrrev_b32 v82, 16, v85
	v_and_b32_e32 v79, 0xffff, v85
	v_pk_fma_f16 v116, v81, v104, v16
	v_pk_fma_f16 v120, v81, v105, v17
	ds_load_2addr_b64 v[14:17], v15 offset0:192 offset1:224
	s_wait_dscnt 0x0
	s_barrier_signal -1
	s_barrier_wait -1
	s_load_b32 s3, s[24:25], 0x4
	v_mul_u32_u24_e32 v105, 0x10001, v76
	v_mul_u32_u24_e32 v122, 0x10001, v78
	;; [unrolled: 1-line block ×4, first 2 shown]
	v_pk_fma_f16 v81, v81, v83, v77
	v_pk_fma_f16 v100, v10, v105, v87
	;; [unrolled: 1-line block ×9, first 2 shown]
	v_pk_add_f32 v[10:11], v[44:45], v[50:51]
	v_pk_fma_f16 v103, v12, v105, v109
	v_pk_fma_f16 v94, v12, v122, v101
	;; [unrolled: 1-line block ×4, first 2 shown]
	v_pk_add_f32 v[10:11], v[48:49], v[10:11]
	s_wait_kmcnt 0x0
	s_lshl_b32 s3, s3, 7
	v_pk_fma_f16 v101, v13, v105, v112
	v_pk_fma_f16 v95, v13, v122, v102
	;; [unrolled: 1-line block ×3, first 2 shown]
	v_pk_add_f32 v[10:11], v[22:23], v[10:11]
	v_pk_fma_f16 v78, v13, v124, v113
	v_pk_fma_f16 v102, v14, v105, v115
	;; [unrolled: 1-line block ×17, first 2 shown]
	v_pk_fma_f32 v[24:25], v[24:25], v[46:47], v[10:11]
	s_add_co_i32 s4, s3, s4
	s_delay_alu instid0(SALU_CYCLE_1)
	s_cmp_ge_i32 s4, s30
	s_cbranch_scc1 .LBB9_23
; %bb.22:                               ;   in Loop: Header=BB9_17 Depth=1
	v_dual_mov_b32 v44, v0 :: v_dual_mov_b32 v47, v1
	v_dual_mov_b32 v46, v2 :: v_dual_mov_b32 v45, v3
	s_branch .LBB9_17
.LBB9_23:
	v_dual_mov_b32 v4, 32 :: v_dual_mov_b32 v5, v57
.LBB9_24:
	s_delay_alu instid0(VALU_DEP_1)
	v_cmp_lt_i32_e32 vcc_lo, v69, v4
	s_cmp_lg_u64 s[12:13], 0
	s_cselect_b32 s3, -1, 0
	s_cmp_eq_u32 s31, 0
	v_cndmask_b32_e32 v6, v5, v69, vcc_lo
	v_cmp_lt_i32_e32 vcc_lo, v70, v4
	s_cselect_b32 s4, -1, 0
	s_delay_alu instid0(SALU_CYCLE_1)
	s_and_b32 s3, s4, s3
	v_cndmask_b32_e32 v10, v5, v70, vcc_lo
	v_cmp_lt_i32_e32 vcc_lo, v71, v4
	v_dual_cndmask_b32 v14, v5, v71 :: v_dual_lshlrev_b32 v9, 2, v6
	ds_bpermute_b32 v6, v9, v26
	ds_bpermute_b32 v7, v9, v27
	;; [unrolled: 1-line block ×4, first 2 shown]
	v_cmp_lt_i32_e32 vcc_lo, v72, v4
	v_lshlrev_b32_e32 v13, 2, v10
	v_lshlrev_b32_e32 v14, 2, v14
	s_wait_dscnt 0x2
	v_pk_add_f32 v[6:7], v[26:27], v[6:7]
	s_wait_dscnt 0x0
	v_pk_add_f32 v[8:9], v[24:25], v[8:9]
	ds_bpermute_b32 v10, v13, v6
	ds_bpermute_b32 v11, v13, v7
	;; [unrolled: 1-line block ×4, first 2 shown]
	s_wait_dscnt 0x2
	v_pk_add_f32 v[6:7], v[6:7], v[10:11]
	s_wait_dscnt 0x0
	v_pk_add_f32 v[8:9], v[8:9], v[12:13]
	ds_bpermute_b32 v10, v14, v6
	ds_bpermute_b32 v11, v14, v7
	;; [unrolled: 1-line block ×4, first 2 shown]
	v_cndmask_b32_e32 v14, v5, v72, vcc_lo
	v_cmp_lt_i32_e32 vcc_lo, v73, v4
	s_delay_alu instid0(VALU_DEP_2)
	v_dual_lshlrev_b32 v14, 2, v14 :: v_dual_cndmask_b32 v4, v5, v73, vcc_lo
	s_and_b32 vcc_lo, exec_lo, s3
	s_wait_dscnt 0x2
	v_pk_add_f32 v[6:7], v[6:7], v[10:11]
	s_wait_dscnt 0x0
	v_pk_add_f32 v[8:9], v[8:9], v[12:13]
	ds_bpermute_b32 v10, v14, v6
	ds_bpermute_b32 v11, v14, v7
	;; [unrolled: 1-line block ×4, first 2 shown]
	v_lshlrev_b32_e32 v14, 2, v4
	s_wait_dscnt 0x2
	v_pk_add_f32 v[4:5], v[6:7], v[10:11]
	s_wait_dscnt 0x0
	v_pk_add_f32 v[8:9], v[8:9], v[12:13]
	ds_bpermute_b32 v6, v14, v4
	ds_bpermute_b32 v7, v14, v5
	;; [unrolled: 1-line block ×4, first 2 shown]
	s_wait_dscnt 0x2
	v_pk_add_f32 v[6:7], v[4:5], v[6:7]
	s_wait_dscnt 0x0
	v_pk_add_f32 v[4:5], v[8:9], v[10:11]
	s_cbranch_vccz .LBB9_26
; %bb.25:
	s_ashr_i32 s3, s2, 31
	v_dual_mov_b32 v8, 0 :: v_dual_max_num_f32 v12, v0, v0
	s_lshl_b64 s[4:5], s[2:3], 2
	v_dual_max_num_f32 v13, v1, v1 :: v_dual_max_num_f32 v14, v2, v2
	s_add_nc_u64 s[4:5], s[12:13], s[4:5]
	v_max_num_f32_e32 v16, v3, v3
	global_load_b128 v[8:11], v8, s[4:5]
	s_wait_loadcnt 0x0
	v_dual_max_num_f32 v15, v8, v8 :: v_dual_max_num_f32 v17, v9, v9
	v_dual_max_num_f32 v18, v10, v10 :: v_dual_max_num_f32 v19, v11, v11
	s_delay_alu instid0(VALU_DEP_2) | instskip(NEXT) | instid1(VALU_DEP_2)
	v_dual_max_num_f32 v12, v12, v15 :: v_dual_max_num_f32 v13, v13, v17
	v_dual_max_num_f32 v14, v14, v18 :: v_dual_max_num_f32 v15, v16, v19
	s_delay_alu instid0(VALU_DEP_2) | instskip(NEXT) | instid1(VALU_DEP_2)
	v_dual_sub_f32 v0, v0, v12 :: v_dual_sub_f32 v9, v9, v13
	v_dual_sub_f32 v8, v8, v12 :: v_dual_sub_f32 v16, v2, v14
	s_delay_alu instid0(VALU_DEP_3) | instskip(NEXT) | instid1(VALU_DEP_3)
	v_dual_sub_f32 v1, v1, v13 :: v_dual_sub_f32 v11, v11, v15
	v_mul_f32_e32 v2, 0x3fb8aa3b, v0
	v_dual_sub_f32 v10, v10, v14 :: v_dual_sub_f32 v17, v3, v15
	s_delay_alu instid0(VALU_DEP_3) | instskip(SKIP_1) | instid1(VALU_DEP_4)
	v_dual_mul_f32 v3, 0x3fb8aa3b, v8 :: v_dual_mul_f32 v18, 0x3fb8aa3b, v1
	v_dual_mul_f32 v19, 0x3fb8aa3b, v9 :: v_dual_mul_f32 v20, 0x3fb8aa3b, v16
	v_fma_f32 v24, 0x3fb8aa3b, v0, -v2
	v_rndne_f32_e32 v25, v2
	v_mul_f32_e32 v23, 0x3fb8aa3b, v11
	v_fma_f32 v26, 0x3fb8aa3b, v8, -v3
	v_rndne_f32_e32 v27, v3
	v_fma_f32 v30, 0x3fb8aa3b, v9, -v19
	v_rndne_f32_e32 v31, v19
	v_rndne_f32_e32 v33, v20
	s_delay_alu instid0(VALU_DEP_4) | instskip(SKIP_4) | instid1(VALU_DEP_4)
	v_dual_fmac_f32 v24, 0x32a5705f, v0 :: v_dual_sub_f32 v3, v3, v27
	v_sub_f32_e32 v2, v2, v25
	v_fma_f32 v32, 0x3fb8aa3b, v16, -v20
	v_dual_fmac_f32 v26, 0x32a5705f, v8 :: v_dual_sub_f32 v19, v19, v31
	v_fmac_f32_e32 v30, 0x32a5705f, v9
	v_dual_sub_f32 v20, v20, v33 :: v_dual_add_f32 v2, v2, v24
	v_dual_mul_f32 v21, 0x3fb8aa3b, v10 :: v_dual_mul_f32 v22, 0x3fb8aa3b, v17
	v_fma_f32 v28, 0x3fb8aa3b, v1, -v18
	v_rndne_f32_e32 v29, v18
	v_dual_add_f32 v3, v3, v26 :: v_dual_fmac_f32 v32, 0x32a5705f, v16
	v_add_f32_e32 v19, v19, v30
	v_exp_f32_e32 v2, v2
	v_rndne_f32_e32 v35, v21
	v_rndne_f32_e32 v39, v23
	v_cvt_i32_f32_e32 v25, v25
	v_fmac_f32_e32 v28, 0x32a5705f, v1
	v_sub_f32_e32 v18, v18, v29
	v_exp_f32_e32 v3, v3
	v_exp_f32_e32 v19, v19
	v_fma_f32 v34, 0x3fb8aa3b, v10, -v21
	v_fma_f32 v38, 0x3fb8aa3b, v11, -v23
	v_cvt_i32_f32_e32 v27, v27
	v_cvt_i32_f32_e32 v31, v31
	v_sub_f32_e32 v21, v21, v35
	v_dual_sub_f32 v23, v23, v39 :: v_dual_add_f32 v18, v18, v28
	v_ldexp_f32 v2, v2, v25
	v_cmp_ngt_f32_e32 vcc_lo, 0xc2ce8ed0, v0
	v_fma_f32 v36, 0x3fb8aa3b, v17, -v22
	v_rndne_f32_e32 v37, v22
	v_exp_f32_e32 v18, v18
	v_ldexp_f32 v3, v3, v27
	v_ldexp_f32 v19, v19, v31
	v_cndmask_b32_e32 v2, 0, v2, vcc_lo
	v_cmp_ngt_f32_e32 vcc_lo, 0xc2ce8ed0, v8
	v_cvt_i32_f32_e32 v29, v29
	v_fmac_f32_e32 v34, 0x32a5705f, v10
	v_dual_sub_f32 v22, v22, v37 :: v_dual_add_f32 v20, v20, v32
	v_dual_cndmask_b32 v3, 0, v3 :: v_dual_fmac_f32 v36, 0x32a5705f, v17
	s_delay_alu instid0(VALU_DEP_3)
	v_add_f32_e32 v21, v21, v34
	v_ldexp_f32 v18, v18, v29
	v_cmp_ngt_f32_e32 vcc_lo, 0xc2ce8ed0, v1
	v_exp_f32_e32 v20, v20
	v_add_f32_e32 v22, v22, v36
	v_cvt_i32_f32_e32 v33, v33
	v_exp_f32_e32 v21, v21
	v_cndmask_b32_e32 v18, 0, v18, vcc_lo
	v_cmp_ngt_f32_e32 vcc_lo, 0xc2ce8ed0, v9
	v_exp_f32_e32 v22, v22
	v_cvt_i32_f32_e32 v35, v35
	v_cvt_i32_f32_e32 v37, v37
	v_ldexp_f32 v20, v20, v33
	v_cndmask_b32_e32 v19, 0, v19, vcc_lo
	v_cmp_ngt_f32_e32 vcc_lo, 0xc2ce8ed0, v16
	v_ldexp_f32 v21, v21, v35
	v_ldexp_f32 v22, v22, v37
	v_cvt_i32_f32_e32 v39, v39
	v_cndmask_b32_e32 v20, 0, v20, vcc_lo
	v_cmp_ngt_f32_e32 vcc_lo, 0xc2ce8ed0, v10
	v_dual_fmac_f32 v38, 0x32a5705f, v11 :: v_dual_cndmask_b32 v21, 0, v21
	s_delay_alu instid0(VALU_DEP_1) | instskip(SKIP_1) | instid1(VALU_DEP_2)
	v_add_f32_e32 v23, v23, v38
	v_cmp_ngt_f32_e32 vcc_lo, 0xc2ce8ed0, v17
	v_exp_f32_e32 v23, v23
	v_cndmask_b32_e32 v22, 0, v22, vcc_lo
	v_cmp_ngt_f32_e32 vcc_lo, 0xc2ce8ed0, v11
	s_delay_alu instid0(TRANS32_DEP_1) | instskip(NEXT) | instid1(VALU_DEP_1)
	v_ldexp_f32 v23, v23, v39
	v_cndmask_b32_e32 v23, 0, v23, vcc_lo
	v_cmp_nlt_f32_e32 vcc_lo, 0x42b17218, v0
	v_cndmask_b32_e32 v0, 0x7f800000, v2, vcc_lo
	v_cmp_nlt_f32_e32 vcc_lo, 0x42b17218, v8
	v_cndmask_b32_e32 v2, 0x7f800000, v3, vcc_lo
	v_cmp_nlt_f32_e32 vcc_lo, 0x42b17218, v1
	v_cndmask_b32_e32 v1, 0x7f800000, v18, vcc_lo
	v_cmp_nlt_f32_e32 vcc_lo, 0x42b17218, v9
	v_cndmask_b32_e32 v3, 0x7f800000, v19, vcc_lo
	v_cmp_nlt_f32_e32 vcc_lo, 0x42b17218, v16
	v_cvt_f16_f32_e32 v16, v0
	s_delay_alu instid0(VALU_DEP_3) | instskip(SKIP_2) | instid1(VALU_DEP_4)
	v_pk_fma_f32 v[6:7], v[6:7], v[0:1], v[2:3]
	v_cndmask_b32_e32 v8, 0x7f800000, v20, vcc_lo
	v_cmp_nlt_f32_e32 vcc_lo, 0x42b17218, v10
	v_and_b32_e32 v16, 0xffff, v16
	s_delay_alu instid0(VALU_DEP_3)
	v_cvt_f16_f32_e32 v18, v8
	v_cndmask_b32_e32 v10, 0x7f800000, v21, vcc_lo
	v_cmp_nlt_f32_e32 vcc_lo, 0x42b17218, v17
	v_cvt_f16_f32_e32 v17, v1
	v_mul_u32_u24_e32 v3, 0x10001, v16
	v_and_b32_e32 v1, 0xffff, v18
	v_cndmask_b32_e32 v9, 0x7f800000, v22, vcc_lo
	s_delay_alu instid0(VALU_DEP_4) | instskip(SKIP_1) | instid1(VALU_DEP_4)
	v_and_b32_e32 v0, 0xffff, v17
	v_cmp_nlt_f32_e32 vcc_lo, 0x42b17218, v11
	v_mul_u32_u24_e32 v1, 0x10001, v1
	v_pk_mul_f16 v100, v100, v3
	v_cvt_f16_f32_e32 v19, v9
	v_mul_u32_u24_e32 v0, 0x10001, v0
	v_cndmask_b32_e32 v11, 0x7f800000, v23, vcc_lo
	v_pk_mul_f16 v104, v104, v3
	v_pk_mul_f16 v103, v103, v3
	v_and_b32_e32 v2, 0xffff, v19
	v_pk_mul_f16 v101, v101, v3
	v_pk_mul_f16 v102, v102, v3
	;; [unrolled: 1-line block ×4, first 2 shown]
	v_mul_u32_u24_e32 v2, 0x10001, v2
	v_pk_mul_f16 v105, v105, v3
	v_pk_mul_f16 v92, v92, v0
	;; [unrolled: 1-line block ×25, first 2 shown]
	v_mov_b64_e32 v[0:1], v[12:13]
	v_mov_b64_e32 v[2:3], v[14:15]
	v_pk_fma_f32 v[4:5], v[4:5], v[8:9], v[10:11]
.LBB9_26:
	s_mov_b32 s3, exec_lo
	v_cmpx_gt_i32_e64 s22, v52
	s_cbranch_execz .LBB9_43
; %bb.27:
	s_load_b32 s0, s[0:1], 0xd4
	v_mov_b32_e32 v8, 1.0
	s_wait_kmcnt 0x0
	s_cmp_lg_u32 s0, 1
	s_cselect_b32 s1, -1, 0
	s_cmp_eq_u32 s0, 1
	s_cselect_b32 s3, -1, 0
	s_and_b32 vcc_lo, exec_lo, s1
	s_cbranch_vccnz .LBB9_29
; %bb.28:
	v_div_scale_f32 v8, null, v6, v6, 1.0
	s_delay_alu instid0(VALU_DEP_1) | instskip(SKIP_1) | instid1(TRANS32_DEP_1)
	v_rcp_f32_e32 v9, v8
	v_nop
	v_fma_f32 v10, -v8, v9, 1.0
	s_delay_alu instid0(VALU_DEP_1) | instskip(SKIP_1) | instid1(VALU_DEP_1)
	v_fmac_f32_e32 v9, v10, v9
	v_div_scale_f32 v10, vcc_lo, 1.0, v6, 1.0
	v_mul_f32_e32 v11, v10, v9
	s_delay_alu instid0(VALU_DEP_1) | instskip(NEXT) | instid1(VALU_DEP_1)
	v_fma_f32 v12, -v8, v11, v10
	v_fmac_f32_e32 v11, v12, v9
	s_delay_alu instid0(VALU_DEP_1) | instskip(NEXT) | instid1(VALU_DEP_1)
	v_fma_f32 v8, -v8, v11, v10
	v_div_fmas_f32 v8, v8, v9, v11
	s_delay_alu instid0(VALU_DEP_1)
	v_div_fixup_f32 v8, v8, v6, 1.0
.LBB9_29:
	v_mad_u32 v9, s28, s22, v52
	v_dual_lshrrev_b32 v21, 16, v107 :: v_dual_lshrrev_b32 v22, 16, v106
	v_dual_mov_b32 v23, 0 :: v_dual_lshrrev_b32 v11, 16, v100
	v_dual_lshrrev_b32 v13, 16, v104 :: v_dual_lshrrev_b32 v15, 16, v103
	v_dual_lshrrev_b32 v17, 16, v101 :: v_dual_lshrrev_b32 v19, 16, v102
	s_delay_alu instid0(VALU_DEP_4) | instskip(NEXT) | instid1(VALU_DEP_4)
	v_cvt_f32_f16_e32 v25, v22
	v_dual_lshrrev_b32 v27, 16, v105 :: v_dual_mov_b32 v29, v23
	v_mad_u32 v9, v9, s23, s2
	v_cvt_f32_f16_e32 v10, v100
	v_cvt_f32_f16_e32 v12, v104
	;; [unrolled: 1-line block ×10, first 2 shown]
	v_mad_u32 v9, s0, v9, s31
	v_cvt_f32_f16_e32 v19, v19
	v_cvt_f32_f16_e32 v21, v21
	v_cmp_eq_u32_e32 vcc_lo, 0, v53
	v_cvt_f32_f16_e32 v24, v106
	v_cvt_f32_f16_e32 v26, v105
	;; [unrolled: 1-line block ×3, first 2 shown]
	s_and_b32 s1, vcc_lo, s1
	v_lshl_add_u32 v22, v9, 9, v54
	v_mov_b32_e32 v31, v23
	v_pk_mul_f32 v[10:11], v[8:9], v[10:11] op_sel_hi:[0,1]
	v_pk_mul_f32 v[12:13], v[8:9], v[12:13] op_sel_hi:[0,1]
	;; [unrolled: 1-line block ×3, first 2 shown]
	v_add_nc_u32_e32 v28, 0x80, v22
	v_add_nc_u32_e32 v30, 0x100, v22
	v_lshl_add_u64 v[32:33], v[22:23], 2, s[16:17]
	v_add_nc_u32_e32 v22, 0x180, v22
	v_pk_mul_f32 v[16:17], v[8:9], v[16:17] op_sel_hi:[0,1]
	v_lshl_add_u64 v[28:29], v[28:29], 2, s[16:17]
	v_pk_mul_f32 v[18:19], v[8:9], v[18:19] op_sel_hi:[0,1]
	v_pk_mul_f32 v[20:21], v[8:9], v[20:21] op_sel_hi:[0,1]
	v_lshl_add_u64 v[30:31], v[30:31], 2, s[16:17]
	v_lshl_add_u64 v[34:35], v[22:23], 2, s[16:17]
	v_pk_mul_f32 v[22:23], v[8:9], v[24:25] op_sel_hi:[0,1]
	v_pk_mul_f32 v[24:25], v[8:9], v[26:27] op_sel_hi:[0,1]
	s_clause 0x3
	global_store_b128 v[32:33], v[10:13], off
	global_store_b128 v[28:29], v[14:17], off
	global_store_b128 v[30:31], v[18:21], off
	global_store_b128 v[34:35], v[22:25], off
	s_wait_xcnt 0x0
	s_and_saveexec_b32 s2, s1
	s_cbranch_execz .LBB9_31
; %bb.30:
	v_dual_mov_b32 v10, v0 :: v_dual_mov_b32 v11, v6
	global_store_b64 v9, v[10:11], s[18:19] scale_offset
.LBB9_31:
	s_wait_xcnt 0x0
	s_or_b32 exec_lo, exec_lo, s2
	v_cndmask_b32_e64 v8, 0, 1, s3
	v_mov_b32_e32 v0, 1.0
	s_and_not1_b32 vcc_lo, exec_lo, s3
	s_cbranch_vccnz .LBB9_33
; %bb.32:
	v_div_scale_f32 v0, null, v7, v7, 1.0
	s_delay_alu instid0(VALU_DEP_1) | instskip(SKIP_1) | instid1(TRANS32_DEP_1)
	v_rcp_f32_e32 v6, v0
	v_nop
	v_fma_f32 v10, -v0, v6, 1.0
	s_delay_alu instid0(VALU_DEP_1) | instskip(SKIP_1) | instid1(VALU_DEP_1)
	v_fmac_f32_e32 v6, v10, v6
	v_div_scale_f32 v10, vcc_lo, 1.0, v7, 1.0
	v_mul_f32_e32 v11, v10, v6
	s_delay_alu instid0(VALU_DEP_1) | instskip(NEXT) | instid1(VALU_DEP_1)
	v_fma_f32 v12, -v0, v11, v10
	v_fmac_f32_e32 v11, v12, v6
	s_delay_alu instid0(VALU_DEP_1) | instskip(NEXT) | instid1(VALU_DEP_1)
	v_fma_f32 v0, -v0, v11, v10
	v_div_fmas_f32 v0, v0, v6, v11
	s_delay_alu instid0(VALU_DEP_1)
	v_div_fixup_f32 v0, v0, v7, 1.0
.LBB9_33:
	v_dual_add_nc_u32 v9, s0, v9 :: v_dual_mov_b32 v23, 0
	v_dual_lshrrev_b32 v6, 16, v92 :: v_dual_lshrrev_b32 v13, 16, v99
	v_cvt_f32_f16_e32 v10, v92
	s_delay_alu instid0(VALU_DEP_3) | instskip(SKIP_1) | instid1(VALU_DEP_4)
	v_lshl_add_u32 v22, v9, 9, v54
	v_lshrrev_b32_e32 v16, 16, v95
	v_cvt_f32_f16_e32 v11, v6
	v_lshrrev_b32_e32 v6, 16, v94
	v_cvt_f32_f16_e32 v12, v99
	v_dual_mov_b32 v15, v23 :: v_dual_add_nc_u32 v14, 0x80, v22
	v_dual_mov_b32 v19, v23 :: v_dual_add_nc_u32 v18, 0x100, v22
	v_cvt_f32_f16_e32 v13, v13
	v_lshrrev_b32_e32 v20, 16, v96
	s_delay_alu instid0(VALU_DEP_4)
	v_lshl_add_u64 v[28:29], v[14:15], 2, s[16:17]
	v_cvt_f32_f16_e32 v15, v6
	v_lshrrev_b32_e32 v6, 16, v93
	v_lshl_add_u64 v[30:31], v[18:19], 2, s[16:17]
	v_lshrrev_b32_e32 v32, 16, v98
	v_cvt_f32_f16_e32 v14, v94
	v_cvt_f32_f16_e32 v17, v16
	;; [unrolled: 1-line block ×3, first 2 shown]
	v_lshrrev_b32_e32 v6, 16, v97
	v_cvt_f32_f16_e32 v16, v95
	v_cvt_f32_f16_e32 v18, v93
	;; [unrolled: 1-line block ×4, first 2 shown]
	v_lshl_add_u64 v[26:27], v[22:23], 2, s[16:17]
	v_add_nc_u32_e32 v22, 0x180, v22
	v_cvt_f32_f16_e32 v25, v6
	v_cvt_f32_f16_e32 v24, v97
	;; [unrolled: 1-line block ×4, first 2 shown]
	v_pk_mul_f32 v[10:11], v[0:1], v[10:11] op_sel_hi:[0,1]
	v_pk_mul_f32 v[12:13], v[0:1], v[12:13] op_sel_hi:[0,1]
	;; [unrolled: 1-line block ×6, first 2 shown]
	v_lshl_add_u64 v[34:35], v[22:23], 2, s[16:17]
	v_pk_mul_f32 v[22:23], v[0:1], v[24:25] op_sel_hi:[0,1]
	v_pk_mul_f32 v[24:25], v[0:1], v[32:33] op_sel_hi:[0,1]
	s_clause 0x3
	global_store_b128 v[26:27], v[10:13], off
	global_store_b128 v[28:29], v[14:17], off
	;; [unrolled: 1-line block ×4, first 2 shown]
	s_wait_xcnt 0x0
	s_and_saveexec_b32 s2, s1
	s_cbranch_execz .LBB9_35
; %bb.34:
	v_mov_b32_e32 v6, v1
	global_store_b64 v9, v[6:7], s[18:19] scale_offset
.LBB9_35:
	s_wait_xcnt 0x0
	s_or_b32 exec_lo, exec_lo, s2
	v_cmp_ne_u32_e32 vcc_lo, 1, v8
	v_mov_b32_e32 v0, 1.0
	s_cbranch_vccnz .LBB9_37
; %bb.36:
	v_div_scale_f32 v0, null, v4, v4, 1.0
	s_delay_alu instid0(VALU_DEP_1) | instskip(SKIP_1) | instid1(TRANS32_DEP_1)
	v_rcp_f32_e32 v1, v0
	v_nop
	v_fma_f32 v6, -v0, v1, 1.0
	s_delay_alu instid0(VALU_DEP_1) | instskip(SKIP_1) | instid1(VALU_DEP_1)
	v_fmac_f32_e32 v1, v6, v1
	v_div_scale_f32 v6, vcc_lo, 1.0, v4, 1.0
	v_mul_f32_e32 v7, v6, v1
	s_delay_alu instid0(VALU_DEP_1) | instskip(NEXT) | instid1(VALU_DEP_1)
	v_fma_f32 v10, -v0, v7, v6
	v_fmac_f32_e32 v7, v10, v1
	s_delay_alu instid0(VALU_DEP_1) | instskip(NEXT) | instid1(VALU_DEP_1)
	v_fma_f32 v0, -v0, v7, v6
	v_div_fmas_f32 v0, v0, v1, v7
	s_delay_alu instid0(VALU_DEP_1)
	v_div_fixup_f32 v0, v0, v4, 1.0
.LBB9_37:
	v_dual_add_nc_u32 v1, s0, v9 :: v_dual_mov_b32 v7, 0
	v_dual_lshrrev_b32 v9, 16, v84 :: v_dual_lshrrev_b32 v13, 16, v91
	v_cvt_f32_f16_e32 v10, v84
	s_delay_alu instid0(VALU_DEP_3) | instskip(SKIP_1) | instid1(VALU_DEP_4)
	v_lshl_add_u32 v6, v1, 9, v54
	v_lshrrev_b32_e32 v16, 16, v87
	v_cvt_f32_f16_e32 v11, v9
	v_lshrrev_b32_e32 v9, 16, v86
	v_cvt_f32_f16_e32 v12, v91
	v_dual_mov_b32 v15, v7 :: v_dual_add_nc_u32 v14, 0x80, v6
	v_dual_mov_b32 v19, v7 :: v_dual_add_nc_u32 v18, 0x100, v6
	v_cvt_f32_f16_e32 v13, v13
	v_lshrrev_b32_e32 v20, 16, v88
	s_delay_alu instid0(VALU_DEP_4)
	v_lshl_add_u64 v[28:29], v[14:15], 2, s[16:17]
	v_cvt_f32_f16_e32 v15, v9
	v_lshrrev_b32_e32 v9, 16, v85
	v_lshl_add_u64 v[30:31], v[18:19], 2, s[16:17]
	v_lshrrev_b32_e32 v24, 16, v90
	v_cvt_f32_f16_e32 v14, v86
	v_cvt_f32_f16_e32 v17, v16
	;; [unrolled: 1-line block ×3, first 2 shown]
	v_lshrrev_b32_e32 v9, 16, v89
	v_cvt_f32_f16_e32 v16, v87
	v_cvt_f32_f16_e32 v18, v85
	;; [unrolled: 1-line block ×4, first 2 shown]
	v_lshl_add_u64 v[26:27], v[6:7], 2, s[16:17]
	v_add_nc_u32_e32 v6, 0x180, v6
	v_cvt_f32_f16_e32 v23, v9
	v_cvt_f32_f16_e32 v22, v89
	;; [unrolled: 1-line block ×4, first 2 shown]
	v_pk_mul_f32 v[10:11], v[0:1], v[10:11] op_sel_hi:[0,1]
	v_pk_mul_f32 v[12:13], v[0:1], v[12:13] op_sel_hi:[0,1]
	;; [unrolled: 1-line block ×6, first 2 shown]
	v_lshl_add_u64 v[6:7], v[6:7], 2, s[16:17]
	v_pk_mul_f32 v[22:23], v[0:1], v[22:23] op_sel_hi:[0,1]
	v_pk_mul_f32 v[24:25], v[0:1], v[24:25] op_sel_hi:[0,1]
	s_clause 0x3
	global_store_b128 v[26:27], v[10:13], off
	global_store_b128 v[28:29], v[14:17], off
	;; [unrolled: 1-line block ×4, first 2 shown]
	s_wait_xcnt 0x0
	s_and_saveexec_b32 s2, s1
	s_cbranch_execz .LBB9_39
; %bb.38:
	v_dual_mov_b32 v6, v2 :: v_dual_mov_b32 v7, v4
	global_store_b64 v1, v[6:7], s[18:19] scale_offset
.LBB9_39:
	s_wait_xcnt 0x0
	s_or_b32 exec_lo, exec_lo, s2
	v_cmp_ne_u32_e32 vcc_lo, 1, v8
	v_mov_b32_e32 v0, 1.0
	s_cbranch_vccnz .LBB9_41
; %bb.40:
	v_div_scale_f32 v0, null, v5, v5, 1.0
	s_delay_alu instid0(VALU_DEP_1) | instskip(SKIP_1) | instid1(TRANS32_DEP_1)
	v_rcp_f32_e32 v2, v0
	v_nop
	v_fma_f32 v4, -v0, v2, 1.0
	s_delay_alu instid0(VALU_DEP_1) | instskip(SKIP_1) | instid1(VALU_DEP_1)
	v_fmac_f32_e32 v2, v4, v2
	v_div_scale_f32 v4, vcc_lo, 1.0, v5, 1.0
	v_mul_f32_e32 v6, v4, v2
	s_delay_alu instid0(VALU_DEP_1) | instskip(NEXT) | instid1(VALU_DEP_1)
	v_fma_f32 v7, -v0, v6, v4
	v_fmac_f32_e32 v6, v7, v2
	s_delay_alu instid0(VALU_DEP_1) | instskip(NEXT) | instid1(VALU_DEP_1)
	v_fma_f32 v0, -v0, v6, v4
	v_div_fmas_f32 v0, v0, v2, v6
	s_delay_alu instid0(VALU_DEP_1)
	v_div_fixup_f32 v0, v0, v5, 1.0
.LBB9_41:
	v_dual_add_nc_u32 v1, s0, v1 :: v_dual_mov_b32 v19, 0
	v_dual_lshrrev_b32 v2, 16, v82 :: v_dual_lshrrev_b32 v4, 16, v83
	v_cvt_f32_f16_e32 v6, v82
	s_delay_alu instid0(VALU_DEP_3) | instskip(SKIP_1) | instid1(VALU_DEP_4)
	v_lshl_add_u32 v18, v1, 9, v54
	v_cvt_f32_f16_e32 v8, v83
	v_cvt_f32_f16_e32 v7, v2
	;; [unrolled: 1-line block ×3, first 2 shown]
	v_dual_lshrrev_b32 v2, 16, v77 :: v_dual_lshrrev_b32 v4, 16, v78
	v_dual_mov_b32 v11, v19 :: v_dual_add_nc_u32 v10, 0x80, v18
	v_dual_mov_b32 v15, v19 :: v_dual_add_nc_u32 v14, 0x100, v18
	s_delay_alu instid0(VALU_DEP_3) | instskip(SKIP_1) | instid1(VALU_DEP_4)
	v_cvt_f32_f16_e32 v13, v4
	v_lshrrev_b32_e32 v4, 16, v79
	v_lshl_add_u64 v[24:25], v[10:11], 2, s[16:17]
	v_cvt_f32_f16_e32 v11, v2
	v_lshrrev_b32_e32 v2, 16, v76
	v_lshl_add_u64 v[26:27], v[14:15], 2, s[16:17]
	v_cvt_f32_f16_e32 v17, v4
	v_lshrrev_b32_e32 v4, 16, v81
	v_cvt_f32_f16_e32 v10, v77
	v_cvt_f32_f16_e32 v15, v2
	v_lshrrev_b32_e32 v2, 16, v80
	v_cvt_f32_f16_e32 v12, v78
	v_cvt_f32_f16_e32 v14, v76
	;; [unrolled: 1-line block ×3, first 2 shown]
	v_lshl_add_u64 v[22:23], v[18:19], 2, s[16:17]
	v_add_nc_u32_e32 v18, 0x180, v18
	v_cvt_f32_f16_e32 v21, v2
	v_cvt_f32_f16_e32 v20, v80
	;; [unrolled: 1-line block ×4, first 2 shown]
	v_pk_mul_f32 v[6:7], v[0:1], v[6:7] op_sel_hi:[0,1]
	v_pk_mul_f32 v[8:9], v[0:1], v[8:9] op_sel_hi:[0,1]
	;; [unrolled: 1-line block ×6, first 2 shown]
	v_lshl_add_u64 v[30:31], v[18:19], 2, s[16:17]
	v_pk_mul_f32 v[18:19], v[0:1], v[20:21] op_sel_hi:[0,1]
	v_pk_mul_f32 v[20:21], v[0:1], v[28:29] op_sel_hi:[0,1]
	s_clause 0x3
	global_store_b128 v[22:23], v[6:9], off
	global_store_b128 v[24:25], v[10:13], off
	;; [unrolled: 1-line block ×4, first 2 shown]
	s_wait_xcnt 0x0
	s_and_b32 exec_lo, exec_lo, s1
	s_cbranch_execz .LBB9_43
; %bb.42:
	v_mov_b32_e32 v4, v3
	global_store_b64 v1, v[4:5], s[18:19] scale_offset
.LBB9_43:
	s_sendmsg sendmsg(MSG_DEALLOC_VGPRS)
	s_endpgm
	.section	.rodata,"a",@progbits
	.p2align	6, 0x0
	.amdhsa_kernel _ZL15flash_attn_tileILi576ELi512ELi8ELi4ELb0EEvPKcS1_S1_S1_S1_PKiPfP15HIP_vector_typeIfLj2EEffffjfiS5_IjLj3EEiiiiiiiiiiiliiliiiiil
		.amdhsa_group_segment_fixed_size 63488
		.amdhsa_private_segment_fixed_size 0
		.amdhsa_kernarg_size 464
		.amdhsa_user_sgpr_count 2
		.amdhsa_user_sgpr_dispatch_ptr 0
		.amdhsa_user_sgpr_queue_ptr 0
		.amdhsa_user_sgpr_kernarg_segment_ptr 1
		.amdhsa_user_sgpr_dispatch_id 0
		.amdhsa_user_sgpr_kernarg_preload_length 0
		.amdhsa_user_sgpr_kernarg_preload_offset 0
		.amdhsa_user_sgpr_private_segment_size 0
		.amdhsa_wavefront_size32 1
		.amdhsa_uses_dynamic_stack 0
		.amdhsa_enable_private_segment 0
		.amdhsa_system_sgpr_workgroup_id_x 1
		.amdhsa_system_sgpr_workgroup_id_y 1
		.amdhsa_system_sgpr_workgroup_id_z 1
		.amdhsa_system_sgpr_workgroup_info 0
		.amdhsa_system_vgpr_workitem_id 1
		.amdhsa_next_free_vgpr 158
		.amdhsa_next_free_sgpr 42
		.amdhsa_named_barrier_count 0
		.amdhsa_reserve_vcc 1
		.amdhsa_float_round_mode_32 0
		.amdhsa_float_round_mode_16_64 0
		.amdhsa_float_denorm_mode_32 3
		.amdhsa_float_denorm_mode_16_64 3
		.amdhsa_fp16_overflow 0
		.amdhsa_memory_ordered 1
		.amdhsa_forward_progress 1
		.amdhsa_inst_pref_size 255
		.amdhsa_round_robin_scheduling 0
		.amdhsa_exception_fp_ieee_invalid_op 0
		.amdhsa_exception_fp_denorm_src 0
		.amdhsa_exception_fp_ieee_div_zero 0
		.amdhsa_exception_fp_ieee_overflow 0
		.amdhsa_exception_fp_ieee_underflow 0
		.amdhsa_exception_fp_ieee_inexact 0
		.amdhsa_exception_int_div_zero 0
	.end_amdhsa_kernel
	.section	.text._ZL15flash_attn_tileILi576ELi512ELi8ELi4ELb0EEvPKcS1_S1_S1_S1_PKiPfP15HIP_vector_typeIfLj2EEffffjfiS5_IjLj3EEiiiiiiiiiiiliiliiiiil,"axG",@progbits,_ZL15flash_attn_tileILi576ELi512ELi8ELi4ELb0EEvPKcS1_S1_S1_S1_PKiPfP15HIP_vector_typeIfLj2EEffffjfiS5_IjLj3EEiiiiiiiiiiiliiliiiiil,comdat
.Lfunc_end9:
	.size	_ZL15flash_attn_tileILi576ELi512ELi8ELi4ELb0EEvPKcS1_S1_S1_S1_PKiPfP15HIP_vector_typeIfLj2EEffffjfiS5_IjLj3EEiiiiiiiiiiiliiliiiiil, .Lfunc_end9-_ZL15flash_attn_tileILi576ELi512ELi8ELi4ELb0EEvPKcS1_S1_S1_S1_PKiPfP15HIP_vector_typeIfLj2EEffffjfiS5_IjLj3EEiiiiiiiiiiiliiliiiiil
                                        ; -- End function
	.set _ZL15flash_attn_tileILi576ELi512ELi8ELi4ELb0EEvPKcS1_S1_S1_S1_PKiPfP15HIP_vector_typeIfLj2EEffffjfiS5_IjLj3EEiiiiiiiiiiiliiliiiiil.num_vgpr, 158
	.set _ZL15flash_attn_tileILi576ELi512ELi8ELi4ELb0EEvPKcS1_S1_S1_S1_PKiPfP15HIP_vector_typeIfLj2EEffffjfiS5_IjLj3EEiiiiiiiiiiiliiliiiiil.num_agpr, 0
	.set _ZL15flash_attn_tileILi576ELi512ELi8ELi4ELb0EEvPKcS1_S1_S1_S1_PKiPfP15HIP_vector_typeIfLj2EEffffjfiS5_IjLj3EEiiiiiiiiiiiliiliiiiil.numbered_sgpr, 42
	.set _ZL15flash_attn_tileILi576ELi512ELi8ELi4ELb0EEvPKcS1_S1_S1_S1_PKiPfP15HIP_vector_typeIfLj2EEffffjfiS5_IjLj3EEiiiiiiiiiiiliiliiiiil.num_named_barrier, 0
	.set _ZL15flash_attn_tileILi576ELi512ELi8ELi4ELb0EEvPKcS1_S1_S1_S1_PKiPfP15HIP_vector_typeIfLj2EEffffjfiS5_IjLj3EEiiiiiiiiiiiliiliiiiil.private_seg_size, 0
	.set _ZL15flash_attn_tileILi576ELi512ELi8ELi4ELb0EEvPKcS1_S1_S1_S1_PKiPfP15HIP_vector_typeIfLj2EEffffjfiS5_IjLj3EEiiiiiiiiiiiliiliiiiil.uses_vcc, 1
	.set _ZL15flash_attn_tileILi576ELi512ELi8ELi4ELb0EEvPKcS1_S1_S1_S1_PKiPfP15HIP_vector_typeIfLj2EEffffjfiS5_IjLj3EEiiiiiiiiiiiliiliiiiil.uses_flat_scratch, 0
	.set _ZL15flash_attn_tileILi576ELi512ELi8ELi4ELb0EEvPKcS1_S1_S1_S1_PKiPfP15HIP_vector_typeIfLj2EEffffjfiS5_IjLj3EEiiiiiiiiiiiliiliiiiil.has_dyn_sized_stack, 0
	.set _ZL15flash_attn_tileILi576ELi512ELi8ELi4ELb0EEvPKcS1_S1_S1_S1_PKiPfP15HIP_vector_typeIfLj2EEffffjfiS5_IjLj3EEiiiiiiiiiiiliiliiiiil.has_recursion, 0
	.set _ZL15flash_attn_tileILi576ELi512ELi8ELi4ELb0EEvPKcS1_S1_S1_S1_PKiPfP15HIP_vector_typeIfLj2EEffffjfiS5_IjLj3EEiiiiiiiiiiiliiliiiiil.has_indirect_call, 0
	.section	.AMDGPU.csdata,"",@progbits
; Kernel info:
; codeLenInByte = 58756
; TotalNumSgprs: 44
; NumVgprs: 158
; ScratchSize: 0
; MemoryBound: 0
; FloatMode: 240
; IeeeMode: 1
; LDSByteSize: 63488 bytes/workgroup (compile time only)
; SGPRBlocks: 0
; VGPRBlocks: 9
; NumSGPRsForWavesPerEU: 44
; NumVGPRsForWavesPerEU: 158
; NamedBarCnt: 0
; Occupancy: 6
; WaveLimiterHint : 1
; COMPUTE_PGM_RSRC2:SCRATCH_EN: 0
; COMPUTE_PGM_RSRC2:USER_SGPR: 2
; COMPUTE_PGM_RSRC2:TRAP_HANDLER: 0
; COMPUTE_PGM_RSRC2:TGID_X_EN: 1
; COMPUTE_PGM_RSRC2:TGID_Y_EN: 1
; COMPUTE_PGM_RSRC2:TGID_Z_EN: 1
; COMPUTE_PGM_RSRC2:TIDIG_COMP_CNT: 1
	.section	.text._ZL25flash_attn_mask_to_KV_maxILi8EEvPK7__half2Piiii,"axG",@progbits,_ZL25flash_attn_mask_to_KV_maxILi8EEvPK7__half2Piiii,comdat
	.globl	_ZL25flash_attn_mask_to_KV_maxILi8EEvPK7__half2Piiii ; -- Begin function _ZL25flash_attn_mask_to_KV_maxILi8EEvPK7__half2Piiii
	.p2align	8
	.type	_ZL25flash_attn_mask_to_KV_maxILi8EEvPK7__half2Piiii,@function
_ZL25flash_attn_mask_to_KV_maxILi8EEvPK7__half2Piiii: ; @_ZL25flash_attn_mask_to_KV_maxILi8EEvPK7__half2Piiii
; %bb.0:
	s_load_b128 s[4:7], s[0:1], 0x0
	s_mov_b32 s2, exec_lo
	v_cmpx_gt_u32_e32 32, v0
; %bb.1:
	v_dual_mov_b32 v2, 1 :: v_dual_lshlrev_b32 v1, 2, v0
	ds_store_b32 v1, v2
; %bb.2:
	s_or_b32 exec_lo, exec_lo, s2
	s_clause 0x1
	s_load_b96 s[8:10], s[0:1], 0x10
	s_load_b32 s11, s[0:1], 0x20
	s_wait_xcnt 0x0
	s_bfe_u32 s1, ttmp6, 0x4000c
	s_bfe_u32 s2, ttmp6, 0x40010
	s_add_co_i32 s1, s1, 1
	s_add_co_i32 s2, s2, 1
	s_and_b32 s0, ttmp6, 15
	s_bfe_u32 s3, ttmp6, 0x40004
	s_mul_i32 s1, ttmp9, s1
	s_mul_i32 s2, ttmp7, s2
	s_getreg_b32 s12, hwreg(HW_REG_IB_STS2, 6, 4)
	s_add_co_i32 s0, s0, s1
	s_add_co_i32 s3, s3, s2
	s_cmp_eq_u32 s12, 0
	v_dual_lshrrev_b32 v1, 3, v0 :: v_dual_bitop2_b32 v2, 31, v0 bitop3:0x40
	s_cselect_b32 s1, ttmp9, s0
	s_cselect_b32 s12, ttmp7, s3
	s_wait_dscnt 0x0
	s_barrier_signal -1
	s_wait_kmcnt 0x0
	s_mul_i32 s0, s1, s9
	s_mul_i32 s2, s10, s12
	s_lshl_b32 s0, s0, 3
	s_barrier_wait -1
	s_add_co_i32 s2, s2, s0
	v_cmp_eq_u32_e64 s0, 0, v2
	s_ashr_i32 s3, s2, 31
	v_lshlrev_b32_e32 v2, 2, v2
	s_lshl_b64 s[2:3], s[2:3], 2
	s_delay_alu instid0(SALU_CYCLE_1)
	s_add_nc_u64 s[2:3], s[4:5], s[2:3]
	s_lshl_b32 s5, s8, 8
	s_branch .LBB10_4
.LBB10_3:                               ;   in Loop: Header=BB10_4 Depth=1
	s_or_b32 exec_lo, exec_lo, s8
	s_wait_dscnt 0x0
	s_barrier_signal -1
	s_barrier_wait -1
	ds_load_b32 v3, v2
	s_wait_dscnt 0x0
	s_barrier_signal -1
	s_barrier_wait -1
	v_cmp_ne_u32_e32 vcc_lo, 0, v3
	s_cmp_lg_u32 vcc_lo, exec_lo
	s_cselect_b32 s8, -1, 0
	s_delay_alu instid0(SALU_CYCLE_1)
	s_and_b32 vcc_lo, exec_lo, s8
	s_cbranch_vccnz .LBB10_36
.LBB10_4:                               ; =>This Inner Loop Header: Depth=1
	s_mov_b32 s4, s5
	s_addk_co_i32 s5, 0xff00
	s_delay_alu instid0(SALU_CYCLE_1)
	s_cmp_lt_i32 s5, 0
	s_cbranch_scc1 .LBB10_35
; %bb.5:                                ;   in Loop: Header=BB10_4 Depth=1
	s_lshr_b32 s8, s5, 1
	s_delay_alu instid0(SALU_CYCLE_1) | instskip(SKIP_4) | instid1(VALU_DEP_2)
	v_add_nc_u32_e32 v3, s8, v0
	global_load_b32 v4, v3, s[2:3] scale_offset
	s_wait_loadcnt 0x0
	v_lshrrev_b32_e32 v5, 16, v4
	v_cmp_class_f16_e64 s8, v4, 0x204
	v_cmp_class_f16_e64 s10, v5, 0x204
	s_and_b32 s13, s8, s10
	s_mov_b32 s10, 0
	s_and_saveexec_b32 s8, s13
	s_cbranch_execz .LBB10_33
; %bb.6:                                ;   in Loop: Header=BB10_4 Depth=1
	v_add_nc_u32_e32 v3, s9, v3
	s_mov_b32 s13, 0
	global_load_b32 v4, v3, s[2:3] scale_offset
	s_wait_loadcnt 0x0
	v_cmp_class_f16_e64 s14, v4, 0x204
	s_and_saveexec_b32 s10, s14
	s_cbranch_execz .LBB10_32
; %bb.7:                                ;   in Loop: Header=BB10_4 Depth=1
	v_lshrrev_b32_e32 v4, 16, v4
	s_mov_b32 s14, 0
	s_delay_alu instid0(VALU_DEP_1)
	v_cmp_class_f16_e64 s15, v4, 0x204
	s_and_saveexec_b32 s13, s15
	s_cbranch_execz .LBB10_31
; %bb.8:                                ;   in Loop: Header=BB10_4 Depth=1
	v_add_nc_u32_e32 v3, s9, v3
	s_mov_b32 s15, 0
	global_load_b32 v4, v3, s[2:3] scale_offset
	s_wait_loadcnt 0x0
	v_cmp_class_f16_e64 s16, v4, 0x204
	s_and_saveexec_b32 s14, s16
	s_cbranch_execz .LBB10_30
; %bb.9:                                ;   in Loop: Header=BB10_4 Depth=1
	v_lshrrev_b32_e32 v4, 16, v4
	s_mov_b32 s16, 0
	s_delay_alu instid0(VALU_DEP_1)
	v_cmp_class_f16_e64 s17, v4, 0x204
	s_and_saveexec_b32 s15, s17
	s_cbranch_execz .LBB10_29
; %bb.10:                               ;   in Loop: Header=BB10_4 Depth=1
	v_add_nc_u32_e32 v3, s9, v3
	s_mov_b32 s17, 0
	global_load_b32 v4, v3, s[2:3] scale_offset
	s_wait_loadcnt 0x0
	v_cmp_class_f16_e64 s18, v4, 0x204
	s_and_saveexec_b32 s16, s18
	s_cbranch_execz .LBB10_28
; %bb.11:                               ;   in Loop: Header=BB10_4 Depth=1
	v_lshrrev_b32_e32 v4, 16, v4
	s_mov_b32 s18, 0
	s_delay_alu instid0(VALU_DEP_1)
	v_cmp_class_f16_e64 s19, v4, 0x204
	s_and_saveexec_b32 s17, s19
	s_cbranch_execz .LBB10_27
; %bb.12:                               ;   in Loop: Header=BB10_4 Depth=1
	v_add_nc_u32_e32 v3, s9, v3
	s_mov_b32 s19, 0
	global_load_b32 v4, v3, s[2:3] scale_offset
	s_wait_loadcnt 0x0
	v_cmp_class_f16_e64 s20, v4, 0x204
	s_and_saveexec_b32 s18, s20
	s_cbranch_execz .LBB10_26
; %bb.13:                               ;   in Loop: Header=BB10_4 Depth=1
	;; [unrolled: 15-line block ×4, first 2 shown]
	v_lshrrev_b32_e32 v4, 16, v4
	s_mov_b32 s24, 0
	s_delay_alu instid0(VALU_DEP_1)
	v_cmp_class_f16_e64 s25, v4, 0x204
	s_and_saveexec_b32 s23, s25
	s_cbranch_execz .LBB10_21
; %bb.18:                               ;   in Loop: Header=BB10_4 Depth=1
	v_add_nc_u32_e32 v3, s9, v3
	global_load_b32 v3, v3, s[2:3] scale_offset
	s_wait_loadcnt 0x0
	v_cmp_class_f16_e64 s26, v3, 0x204
	s_and_saveexec_b32 s25, s26
; %bb.19:                               ;   in Loop: Header=BB10_4 Depth=1
	v_lshrrev_b32_e32 v3, 16, v3
	s_delay_alu instid0(VALU_DEP_1)
	v_cmp_class_f16_e64 s24, v3, 0x204
	s_and_b32 s24, s24, exec_lo
; %bb.20:                               ;   in Loop: Header=BB10_4 Depth=1
	s_or_b32 exec_lo, exec_lo, s25
	s_delay_alu instid0(SALU_CYCLE_1)
	s_and_b32 s24, s24, exec_lo
.LBB10_21:                              ;   in Loop: Header=BB10_4 Depth=1
	s_or_b32 exec_lo, exec_lo, s23
	s_delay_alu instid0(SALU_CYCLE_1)
	s_and_b32 s23, s24, exec_lo
.LBB10_22:                              ;   in Loop: Header=BB10_4 Depth=1
	s_or_b32 exec_lo, exec_lo, s22
	s_delay_alu instid0(SALU_CYCLE_1)
	s_and_b32 s22, s23, exec_lo
.LBB10_23:                              ;   in Loop: Header=BB10_4 Depth=1
	s_or_b32 exec_lo, exec_lo, s21
	s_delay_alu instid0(SALU_CYCLE_1)
	s_and_b32 s21, s22, exec_lo
.LBB10_24:                              ;   in Loop: Header=BB10_4 Depth=1
	s_or_b32 exec_lo, exec_lo, s20
	s_delay_alu instid0(SALU_CYCLE_1)
	s_and_b32 s20, s21, exec_lo
.LBB10_25:                              ;   in Loop: Header=BB10_4 Depth=1
	s_or_b32 exec_lo, exec_lo, s19
	s_delay_alu instid0(SALU_CYCLE_1)
	s_and_b32 s19, s20, exec_lo
.LBB10_26:                              ;   in Loop: Header=BB10_4 Depth=1
	s_or_b32 exec_lo, exec_lo, s18
	s_delay_alu instid0(SALU_CYCLE_1)
	s_and_b32 s18, s19, exec_lo
.LBB10_27:                              ;   in Loop: Header=BB10_4 Depth=1
	s_or_b32 exec_lo, exec_lo, s17
	s_delay_alu instid0(SALU_CYCLE_1)
	s_and_b32 s17, s18, exec_lo
.LBB10_28:                              ;   in Loop: Header=BB10_4 Depth=1
	s_or_b32 exec_lo, exec_lo, s16
	s_delay_alu instid0(SALU_CYCLE_1)
	s_and_b32 s16, s17, exec_lo
.LBB10_29:                              ;   in Loop: Header=BB10_4 Depth=1
	s_or_b32 exec_lo, exec_lo, s15
	s_delay_alu instid0(SALU_CYCLE_1)
	s_and_b32 s15, s16, exec_lo
.LBB10_30:                              ;   in Loop: Header=BB10_4 Depth=1
	s_or_b32 exec_lo, exec_lo, s14
	s_delay_alu instid0(SALU_CYCLE_1)
	s_and_b32 s14, s15, exec_lo
.LBB10_31:                              ;   in Loop: Header=BB10_4 Depth=1
	s_or_b32 exec_lo, exec_lo, s13
	s_delay_alu instid0(SALU_CYCLE_1)
	s_and_b32 s13, s14, exec_lo
.LBB10_32:                              ;   in Loop: Header=BB10_4 Depth=1
	s_or_b32 exec_lo, exec_lo, s10
	s_delay_alu instid0(SALU_CYCLE_1)
	s_and_b32 s10, s13, exec_lo
.LBB10_33:                              ;   in Loop: Header=BB10_4 Depth=1
	s_or_b32 exec_lo, exec_lo, s8
	v_cndmask_b32_e64 v3, 0, 1, s10
	s_mov_b32 s13, exec_lo
	s_delay_alu instid0(VALU_DEP_1)
	v_cmp_ne_u32_e32 vcc_lo, 0, v3
	s_and_saveexec_b32 s8, s0
	s_cbranch_execz .LBB10_3
; %bb.34:                               ;   in Loop: Header=BB10_4 Depth=1
	s_cmp_eq_u32 vcc_lo, s13
	s_cselect_b32 s10, -1, 0
	s_delay_alu instid0(SALU_CYCLE_1)
	v_cndmask_b32_e64 v3, 0, 1, s10
	ds_store_b32 v1, v3
	s_branch .LBB10_3
.LBB10_35:                              ;   in Loop: Header=BB10_4 Depth=1
	s_cbranch_execz .LBB10_4
.LBB10_36:
	s_mov_b32 s0, exec_lo
	v_cmpx_eq_u32_e32 0, v0
	s_cbranch_execz .LBB10_38
; %bb.37:
	s_mul_i32 s0, s11, s12
	v_mov_b32_e32 v1, s4
	s_add_co_i32 s0, s0, s1
	s_delay_alu instid0(SALU_CYCLE_1)
	v_mov_b32_e32 v0, s0
	global_store_b32 v0, v1, s[6:7] scale_offset
.LBB10_38:
	s_endpgm
	.section	.rodata,"a",@progbits
	.p2align	6, 0x0
	.amdhsa_kernel _ZL25flash_attn_mask_to_KV_maxILi8EEvPK7__half2Piiii
		.amdhsa_group_segment_fixed_size 128
		.amdhsa_private_segment_fixed_size 0
		.amdhsa_kernarg_size 288
		.amdhsa_user_sgpr_count 2
		.amdhsa_user_sgpr_dispatch_ptr 0
		.amdhsa_user_sgpr_queue_ptr 0
		.amdhsa_user_sgpr_kernarg_segment_ptr 1
		.amdhsa_user_sgpr_dispatch_id 0
		.amdhsa_user_sgpr_kernarg_preload_length 0
		.amdhsa_user_sgpr_kernarg_preload_offset 0
		.amdhsa_user_sgpr_private_segment_size 0
		.amdhsa_wavefront_size32 1
		.amdhsa_uses_dynamic_stack 0
		.amdhsa_enable_private_segment 0
		.amdhsa_system_sgpr_workgroup_id_x 1
		.amdhsa_system_sgpr_workgroup_id_y 1
		.amdhsa_system_sgpr_workgroup_id_z 0
		.amdhsa_system_sgpr_workgroup_info 0
		.amdhsa_system_vgpr_workitem_id 0
		.amdhsa_next_free_vgpr 6
		.amdhsa_next_free_sgpr 27
		.amdhsa_named_barrier_count 0
		.amdhsa_reserve_vcc 1
		.amdhsa_float_round_mode_32 0
		.amdhsa_float_round_mode_16_64 0
		.amdhsa_float_denorm_mode_32 3
		.amdhsa_float_denorm_mode_16_64 3
		.amdhsa_fp16_overflow 0
		.amdhsa_memory_ordered 1
		.amdhsa_forward_progress 1
		.amdhsa_inst_pref_size 9
		.amdhsa_round_robin_scheduling 0
		.amdhsa_exception_fp_ieee_invalid_op 0
		.amdhsa_exception_fp_denorm_src 0
		.amdhsa_exception_fp_ieee_div_zero 0
		.amdhsa_exception_fp_ieee_overflow 0
		.amdhsa_exception_fp_ieee_underflow 0
		.amdhsa_exception_fp_ieee_inexact 0
		.amdhsa_exception_int_div_zero 0
	.end_amdhsa_kernel
	.section	.text._ZL25flash_attn_mask_to_KV_maxILi8EEvPK7__half2Piiii,"axG",@progbits,_ZL25flash_attn_mask_to_KV_maxILi8EEvPK7__half2Piiii,comdat
.Lfunc_end10:
	.size	_ZL25flash_attn_mask_to_KV_maxILi8EEvPK7__half2Piiii, .Lfunc_end10-_ZL25flash_attn_mask_to_KV_maxILi8EEvPK7__half2Piiii
                                        ; -- End function
	.set _ZL25flash_attn_mask_to_KV_maxILi8EEvPK7__half2Piiii.num_vgpr, 6
	.set _ZL25flash_attn_mask_to_KV_maxILi8EEvPK7__half2Piiii.num_agpr, 0
	.set _ZL25flash_attn_mask_to_KV_maxILi8EEvPK7__half2Piiii.numbered_sgpr, 27
	.set _ZL25flash_attn_mask_to_KV_maxILi8EEvPK7__half2Piiii.num_named_barrier, 0
	.set _ZL25flash_attn_mask_to_KV_maxILi8EEvPK7__half2Piiii.private_seg_size, 0
	.set _ZL25flash_attn_mask_to_KV_maxILi8EEvPK7__half2Piiii.uses_vcc, 1
	.set _ZL25flash_attn_mask_to_KV_maxILi8EEvPK7__half2Piiii.uses_flat_scratch, 0
	.set _ZL25flash_attn_mask_to_KV_maxILi8EEvPK7__half2Piiii.has_dyn_sized_stack, 0
	.set _ZL25flash_attn_mask_to_KV_maxILi8EEvPK7__half2Piiii.has_recursion, 0
	.set _ZL25flash_attn_mask_to_KV_maxILi8EEvPK7__half2Piiii.has_indirect_call, 0
	.section	.AMDGPU.csdata,"",@progbits
; Kernel info:
; codeLenInByte = 1148
; TotalNumSgprs: 29
; NumVgprs: 6
; ScratchSize: 0
; MemoryBound: 0
; FloatMode: 240
; IeeeMode: 1
; LDSByteSize: 128 bytes/workgroup (compile time only)
; SGPRBlocks: 0
; VGPRBlocks: 0
; NumSGPRsForWavesPerEU: 29
; NumVGPRsForWavesPerEU: 6
; NamedBarCnt: 0
; Occupancy: 16
; WaveLimiterHint : 0
; COMPUTE_PGM_RSRC2:SCRATCH_EN: 0
; COMPUTE_PGM_RSRC2:USER_SGPR: 2
; COMPUTE_PGM_RSRC2:TRAP_HANDLER: 0
; COMPUTE_PGM_RSRC2:TGID_X_EN: 1
; COMPUTE_PGM_RSRC2:TGID_Y_EN: 1
; COMPUTE_PGM_RSRC2:TGID_Z_EN: 0
; COMPUTE_PGM_RSRC2:TIDIG_COMP_CNT: 0
	.section	.text._ZL33flash_attn_stream_k_fixup_uniformILi512ELi8ELi4EEvPfPK15HIP_vector_typeIfLj2EEiiiiiiS1_IjLj3EES5_S5_,"axG",@progbits,_ZL33flash_attn_stream_k_fixup_uniformILi512ELi8ELi4EEvPfPK15HIP_vector_typeIfLj2EEiiiiiiS1_IjLj3EES5_S5_,comdat
	.globl	_ZL33flash_attn_stream_k_fixup_uniformILi512ELi8ELi4EEvPfPK15HIP_vector_typeIfLj2EEiiiiiiS1_IjLj3EES5_S5_ ; -- Begin function _ZL33flash_attn_stream_k_fixup_uniformILi512ELi8ELi4EEvPfPK15HIP_vector_typeIfLj2EEiiiiiiS1_IjLj3EES5_S5_
	.p2align	8
	.type	_ZL33flash_attn_stream_k_fixup_uniformILi512ELi8ELi4EEvPfPK15HIP_vector_typeIfLj2EEiiiiiiS1_IjLj3EES5_S5_,@function
_ZL33flash_attn_stream_k_fixup_uniformILi512ELi8ELi4EEvPfPK15HIP_vector_typeIfLj2EEiiiiiiS1_IjLj3EES5_S5_: ; @_ZL33flash_attn_stream_k_fixup_uniformILi512ELi8ELi4EEvPfPK15HIP_vector_typeIfLj2EEiiiiiiS1_IjLj3EES5_S5_
; %bb.0:
	s_load_b256 s[4:11], s[0:1], 0x1c
	s_bfe_u32 s2, ttmp6, 0x40014
	s_lshr_b32 s3, ttmp7, 16
	s_add_co_i32 s2, s2, 1
	s_bfe_u32 s13, ttmp6, 0x40010
	s_mul_i32 s2, s3, s2
	s_bfe_u32 s12, ttmp6, 0x40008
	s_and_b32 s15, ttmp7, 0xffff
	s_add_co_i32 s13, s13, 1
	s_bfe_u32 s14, ttmp6, 0x4000c
	s_add_co_i32 s12, s12, s2
	s_mul_i32 s2, s15, s13
	s_bfe_u32 s13, ttmp6, 0x40004
	s_add_co_i32 s14, s14, 1
	s_add_co_i32 s13, s13, s2
	s_and_b32 s2, ttmp6, 15
	s_mul_i32 s14, ttmp9, s14
	s_getreg_b32 s20, hwreg(HW_REG_IB_STS2, 6, 4)
	s_add_co_i32 s2, s2, s14
	s_load_b128 s[16:19], s[0:1], 0x3c
	s_cmp_eq_u32 s20, 0
	s_cselect_b32 s14, ttmp9, s2
	s_cselect_b32 s13, s15, s13
	s_wait_kmcnt 0x0
	s_mul_hi_u32 s2, s7, s14
	s_cselect_b32 s12, s3, s12
	s_add_co_i32 s2, s14, s2
	s_delay_alu instid0(SALU_CYCLE_1) | instskip(NEXT) | instid1(SALU_CYCLE_1)
	s_lshr_b32 s7, s2, s8
	s_mul_i32 s2, s7, s9
	s_delay_alu instid0(SALU_CYCLE_1) | instskip(NEXT) | instid1(SALU_CYCLE_1)
	s_sub_co_i32 s8, s14, s2
	s_mul_hi_u32 s2, s8, s10
	s_delay_alu instid0(SALU_CYCLE_1) | instskip(SKIP_2) | instid1(SALU_CYCLE_1)
	s_add_co_i32 s9, s8, s2
	s_load_b64 s[2:3], s[0:1], 0x10
	s_lshr_b32 s15, s9, s11
	s_mul_i32 s9, s15, s16
	s_delay_alu instid0(SALU_CYCLE_1) | instskip(NEXT) | instid1(SALU_CYCLE_1)
	s_sub_co_i32 s8, s8, s9
	s_mul_hi_u32 s9, s8, s17
	s_delay_alu instid0(SALU_CYCLE_1) | instskip(NEXT) | instid1(SALU_CYCLE_1)
	s_add_co_i32 s9, s8, s9
	s_lshr_b32 s9, s9, s18
	s_delay_alu instid0(SALU_CYCLE_1) | instskip(SKIP_2) | instid1(SALU_CYCLE_1)
	s_mul_i32 s10, s9, s19
	s_lshl_b32 s17, s9, 2
	s_sub_co_i32 s16, s8, s10
	s_lshl_b32 s8, s16, 3
	s_delay_alu instid0(SALU_CYCLE_1) | instskip(SKIP_4) | instid1(SALU_CYCLE_1)
	s_add_co_i32 s8, s8, s13
	s_wait_kmcnt 0x0
	s_cmp_lt_i32 s8, s2
	s_cselect_b32 s8, -1, 0
	s_add_co_i32 s9, s17, s12
	s_cmp_lt_i32 s9, s5
	s_cselect_b32 s9, -1, 0
	s_delay_alu instid0(SALU_CYCLE_1) | instskip(NEXT) | instid1(SALU_CYCLE_1)
	s_and_b32 s8, s8, s9
	s_and_not1_b32 vcc_lo, exec_lo, s8
	s_cbranch_vccnz .LBB11_6
; %bb.1:
	s_mul_i32 s2, s7, s2
	s_load_b128 s[8:11], s[0:1], 0x0
	s_wait_xcnt 0x0
	s_add_co_i32 s0, s2, s13
	s_mul_i32 s15, s15, s5
	s_mul_i32 s0, s0, s3
	;; [unrolled: 1-line block ×3, first 2 shown]
	s_add_co_i32 s0, s0, s12
	s_lshl_b32 s1, s1, 12
	s_add_co_i32 s0, s0, s15
	s_mul_i32 s7, s6, s14
	s_add_co_i32 s0, s0, s17
	s_lshl_b32 s5, s13, 2
	s_lshl_b32 s0, s0, 9
	s_add_co_i32 s15, s7, s6
	s_add_co_i32 s1, s1, s0
	;; [unrolled: 1-line block ×3, first 2 shown]
	v_or_b32_e32 v4, s1, v0
	s_lshl_b32 s1, s15, 5
	s_add_co_i32 s2, s15, -2
	s_add_co_i32 s0, s0, s1
	s_delay_alu instid0(SALU_CYCLE_1)
	s_sub_co_i32 s0, s0, 32
	s_wait_kmcnt 0x0
	global_load_b32 v3, v4, s[8:9] scale_offset
	s_ashr_i32 s1, s0, 31
	v_ashrrev_i32_e32 v5, 31, v4
	s_lshl_b64 s[0:1], s[0:1], 3
	s_cmp_lt_i32 s2, s7
	s_add_nc_u64 s[0:1], s[10:11], s[0:1]
	s_load_b32 s16, s[0:1], 0x4
	s_cbranch_scc1 .LBB11_4
; %bb.2:
	s_wait_xcnt 0x0
	s_load_b32 s0, s[0:1], 0x0
	s_add_co_i32 s14, s14, 1
	s_lshl_b32 s3, s13, 11
	s_wait_xcnt 0x0
	s_mul_i32 s1, s6, s14
	s_lshl_b32 s6, s12, 9
	s_lshl_b32 s13, s1, 14
	s_add_co_i32 s6, s6, s3
	s_lshl_b32 s1, s1, 5
	s_add_co_i32 s6, s6, s13
	s_lshl_b32 s2, s4, 7
	s_wait_kmcnt 0x0
	v_dual_mov_b32 v2, s16 :: v_dual_bitop2_b32 v0, s6, v0 bitop3:0x54
	s_add_co_i32 s1, s12, s1
	s_lshl_b32 s4, s4, 5
	s_ashr_i32 s3, s2, 31
	s_add_co_i32 s1, s1, s4
	v_add_nc_u32_e32 v0, 0xffff8000, v0
	s_lshl_b64 s[2:3], s[2:3], 2
	s_add_co_i32 s4, s1, s5
	s_add_nc_u64 s[2:3], s[10:11], s[2:3]
	s_add_co_i32 s1, s15, -1
	s_sub_co_i32 s4, s4, 64
.LBB11_3:                               ; =>This Inner Loop Header: Depth=1
	global_load_b32 v7, v0, s[2:3] scale_offset
	s_ashr_i32 s5, s4, 31
	v_max_num_f32_e64 v1, s0, s0
	s_lshl_b64 s[12:13], s[4:5], 3
	s_delay_alu instid0(SALU_CYCLE_1) | instskip(SKIP_1) | instid1(VALU_DEP_1)
	s_add_nc_u64 s[12:13], s[10:11], s[12:13]
	s_load_b64 s[12:13], s[12:13], 0x0
	v_readfirstlane_b32 s5, v1
	v_add_nc_u32_e32 v0, 0xffffc000, v0
	s_wait_kmcnt 0x0
	v_max_num_f32_e64 v1, s12, s12
	s_delay_alu instid0(VALU_DEP_1) | instskip(SKIP_1) | instid1(SALU_CYCLE_3)
	v_readfirstlane_b32 s6, v1
	s_max_num_f32 s5, s5, s6
	s_sub_f32 s0, s0, s5
	s_sub_f32 s6, s12, s5
	s_delay_alu instid0(SALU_CYCLE_2) | instskip(NEXT) | instid1(SALU_CYCLE_2)
	s_mul_f32 s12, s0, 0x3fb8aa3b
	s_mul_f32 s14, s6, 0x3fb8aa3b
	s_delay_alu instid0(SALU_CYCLE_2)
	s_xor_b32 s15, s12, 0x80000000
	s_rndne_f32 s16, s12
	s_fmamk_f32 s15, s0, 0x3fb8aa3b, s15
	s_cmp_nlt_f32 s0, 0xc2ce8ed0
	s_rndne_f32 s17, s14
	s_sub_f32 s12, s12, s16
	s_fmamk_f32 s15, s0, 0x32a5705f, s15
	s_cselect_b32 vcc_lo, -1, 0
	s_cmp_ngt_f32 s0, 0x42b17218
	s_delay_alu instid0(SALU_CYCLE_1) | instskip(SKIP_2) | instid1(SALU_CYCLE_1)
	s_add_f32 s12, s12, s15
	s_cvt_i32_f32 s15, s16
	s_sub_f32 s16, s14, s17
	v_s_exp_f32 s12, s12
	v_nop
	s_delay_alu instid0(TRANS32_DEP_1) | instskip(SKIP_1) | instid1(VALU_DEP_1)
	v_ldexp_f32 v1, s12, s15
	s_cvt_i32_f32 s12, s17
	v_cndmask_b32_e32 v1, 0, v1, vcc_lo
	s_cselect_b32 vcc_lo, -1, 0
	s_cmp_ge_f32 s0, 0xc1a00000
	s_delay_alu instid0(VALU_DEP_1)
	v_cndmask_b32_e32 v1, 0x7f800000, v1, vcc_lo
	s_cselect_b32 vcc_lo, -1, 0
	s_xor_b32 s0, s14, 0x80000000
	s_cmp_nlt_f32 s6, 0xc2ce8ed0
	s_fmamk_f32 s0, s6, 0x3fb8aa3b, s0
	v_cndmask_b32_e32 v10, 0, v1, vcc_lo
	s_delay_alu instid0(SALU_CYCLE_2) | instskip(NEXT) | instid1(SALU_CYCLE_3)
	s_fmamk_f32 s0, s6, 0x32a5705f, s0
	s_add_f32 s0, s16, s0
	s_delay_alu instid0(SALU_CYCLE_3) | instskip(SKIP_1) | instid1(TRANS32_DEP_1)
	v_s_exp_f32 s0, s0
	v_nop
	v_ldexp_f32 v6, s0, s12
	s_cselect_b32 s0, -1, 0
	s_cmp_ngt_f32 s6, 0x42b17218
	s_delay_alu instid0(VALU_DEP_1) | instskip(SKIP_2) | instid1(VALU_DEP_1)
	v_cndmask_b32_e64 v6, 0, v6, s0
	s_cselect_b32 s0, -1, 0
	s_cmp_ge_f32 s6, 0xc1a00000
	v_cndmask_b32_e64 v8, 0x7f800000, v6, s0
	s_cselect_b32 s0, -1, 0
	v_mov_b32_e32 v6, s13
	s_add_co_i32 s1, s1, -1
	s_sub_co_i32 s4, s4, 32
	v_cndmask_b32_e64 v8, 0, v8, s0
	s_cmp_le_i32 s1, s7
	s_mov_b32 s0, s5
	s_wait_loadcnt 0x0
	s_delay_alu instid0(VALU_DEP_1) | instskip(NEXT) | instid1(VALU_DEP_1)
	v_pk_mul_f32 v[6:7], v[6:7], v[8:9] op_sel_hi:[1,0]
	v_pk_fma_f32 v[2:3], v[2:3], v[10:11], v[6:7] op_sel_hi:[1,0,1]
	s_cbranch_scc0 .LBB11_3
	s_branch .LBB11_5
.LBB11_4:
	s_wait_kmcnt 0x0
	v_mov_b32_e32 v2, s16
.LBB11_5:
	v_lshl_add_u64 v[0:1], v[4:5], 2, s[8:9]
	s_wait_loadcnt 0x0
	s_delay_alu instid0(VALU_DEP_2) | instskip(NEXT) | instid1(VALU_DEP_1)
	v_div_scale_f32 v4, null, v2, v2, v3
	v_rcp_f32_e32 v5, v4
	v_nop
	s_delay_alu instid0(TRANS32_DEP_1) | instskip(NEXT) | instid1(VALU_DEP_1)
	v_fma_f32 v6, -v4, v5, 1.0
	v_fmac_f32_e32 v5, v6, v5
	v_div_scale_f32 v6, vcc_lo, v3, v2, v3
	s_delay_alu instid0(VALU_DEP_1) | instskip(NEXT) | instid1(VALU_DEP_1)
	v_mul_f32_e32 v7, v6, v5
	v_fma_f32 v8, -v4, v7, v6
	s_delay_alu instid0(VALU_DEP_1) | instskip(NEXT) | instid1(VALU_DEP_1)
	v_fmac_f32_e32 v7, v8, v5
	v_fma_f32 v4, -v4, v7, v6
	s_delay_alu instid0(VALU_DEP_1) | instskip(NEXT) | instid1(VALU_DEP_1)
	v_div_fmas_f32 v4, v4, v5, v7
	v_div_fixup_f32 v2, v4, v2, v3
	global_store_b32 v[0:1], v2, off
.LBB11_6:
	s_endpgm
	.section	.rodata,"a",@progbits
	.p2align	6, 0x0
	.amdhsa_kernel _ZL33flash_attn_stream_k_fixup_uniformILi512ELi8ELi4EEvPfPK15HIP_vector_typeIfLj2EEiiiiiiS1_IjLj3EES5_S5_
		.amdhsa_group_segment_fixed_size 0
		.amdhsa_private_segment_fixed_size 0
		.amdhsa_kernarg_size 76
		.amdhsa_user_sgpr_count 2
		.amdhsa_user_sgpr_dispatch_ptr 0
		.amdhsa_user_sgpr_queue_ptr 0
		.amdhsa_user_sgpr_kernarg_segment_ptr 1
		.amdhsa_user_sgpr_dispatch_id 0
		.amdhsa_user_sgpr_kernarg_preload_length 0
		.amdhsa_user_sgpr_kernarg_preload_offset 0
		.amdhsa_user_sgpr_private_segment_size 0
		.amdhsa_wavefront_size32 1
		.amdhsa_uses_dynamic_stack 0
		.amdhsa_enable_private_segment 0
		.amdhsa_system_sgpr_workgroup_id_x 1
		.amdhsa_system_sgpr_workgroup_id_y 1
		.amdhsa_system_sgpr_workgroup_id_z 1
		.amdhsa_system_sgpr_workgroup_info 0
		.amdhsa_system_vgpr_workitem_id 0
		.amdhsa_next_free_vgpr 12
		.amdhsa_next_free_sgpr 21
		.amdhsa_named_barrier_count 0
		.amdhsa_reserve_vcc 1
		.amdhsa_float_round_mode_32 0
		.amdhsa_float_round_mode_16_64 0
		.amdhsa_float_denorm_mode_32 3
		.amdhsa_float_denorm_mode_16_64 3
		.amdhsa_fp16_overflow 0
		.amdhsa_memory_ordered 1
		.amdhsa_forward_progress 1
		.amdhsa_inst_pref_size 9
		.amdhsa_round_robin_scheduling 0
		.amdhsa_exception_fp_ieee_invalid_op 0
		.amdhsa_exception_fp_denorm_src 0
		.amdhsa_exception_fp_ieee_div_zero 0
		.amdhsa_exception_fp_ieee_overflow 0
		.amdhsa_exception_fp_ieee_underflow 0
		.amdhsa_exception_fp_ieee_inexact 0
		.amdhsa_exception_int_div_zero 0
	.end_amdhsa_kernel
	.section	.text._ZL33flash_attn_stream_k_fixup_uniformILi512ELi8ELi4EEvPfPK15HIP_vector_typeIfLj2EEiiiiiiS1_IjLj3EES5_S5_,"axG",@progbits,_ZL33flash_attn_stream_k_fixup_uniformILi512ELi8ELi4EEvPfPK15HIP_vector_typeIfLj2EEiiiiiiS1_IjLj3EES5_S5_,comdat
.Lfunc_end11:
	.size	_ZL33flash_attn_stream_k_fixup_uniformILi512ELi8ELi4EEvPfPK15HIP_vector_typeIfLj2EEiiiiiiS1_IjLj3EES5_S5_, .Lfunc_end11-_ZL33flash_attn_stream_k_fixup_uniformILi512ELi8ELi4EEvPfPK15HIP_vector_typeIfLj2EEiiiiiiS1_IjLj3EES5_S5_
                                        ; -- End function
	.set _ZL33flash_attn_stream_k_fixup_uniformILi512ELi8ELi4EEvPfPK15HIP_vector_typeIfLj2EEiiiiiiS1_IjLj3EES5_S5_.num_vgpr, 12
	.set _ZL33flash_attn_stream_k_fixup_uniformILi512ELi8ELi4EEvPfPK15HIP_vector_typeIfLj2EEiiiiiiS1_IjLj3EES5_S5_.num_agpr, 0
	.set _ZL33flash_attn_stream_k_fixup_uniformILi512ELi8ELi4EEvPfPK15HIP_vector_typeIfLj2EEiiiiiiS1_IjLj3EES5_S5_.numbered_sgpr, 21
	.set _ZL33flash_attn_stream_k_fixup_uniformILi512ELi8ELi4EEvPfPK15HIP_vector_typeIfLj2EEiiiiiiS1_IjLj3EES5_S5_.num_named_barrier, 0
	.set _ZL33flash_attn_stream_k_fixup_uniformILi512ELi8ELi4EEvPfPK15HIP_vector_typeIfLj2EEiiiiiiS1_IjLj3EES5_S5_.private_seg_size, 0
	.set _ZL33flash_attn_stream_k_fixup_uniformILi512ELi8ELi4EEvPfPK15HIP_vector_typeIfLj2EEiiiiiiS1_IjLj3EES5_S5_.uses_vcc, 1
	.set _ZL33flash_attn_stream_k_fixup_uniformILi512ELi8ELi4EEvPfPK15HIP_vector_typeIfLj2EEiiiiiiS1_IjLj3EES5_S5_.uses_flat_scratch, 0
	.set _ZL33flash_attn_stream_k_fixup_uniformILi512ELi8ELi4EEvPfPK15HIP_vector_typeIfLj2EEiiiiiiS1_IjLj3EES5_S5_.has_dyn_sized_stack, 0
	.set _ZL33flash_attn_stream_k_fixup_uniformILi512ELi8ELi4EEvPfPK15HIP_vector_typeIfLj2EEiiiiiiS1_IjLj3EES5_S5_.has_recursion, 0
	.set _ZL33flash_attn_stream_k_fixup_uniformILi512ELi8ELi4EEvPfPK15HIP_vector_typeIfLj2EEiiiiiiS1_IjLj3EES5_S5_.has_indirect_call, 0
	.section	.AMDGPU.csdata,"",@progbits
; Kernel info:
; codeLenInByte = 1092
; TotalNumSgprs: 23
; NumVgprs: 12
; ScratchSize: 0
; MemoryBound: 0
; FloatMode: 240
; IeeeMode: 1
; LDSByteSize: 0 bytes/workgroup (compile time only)
; SGPRBlocks: 0
; VGPRBlocks: 0
; NumSGPRsForWavesPerEU: 23
; NumVGPRsForWavesPerEU: 12
; NamedBarCnt: 0
; Occupancy: 16
; WaveLimiterHint : 0
; COMPUTE_PGM_RSRC2:SCRATCH_EN: 0
; COMPUTE_PGM_RSRC2:USER_SGPR: 2
; COMPUTE_PGM_RSRC2:TRAP_HANDLER: 0
; COMPUTE_PGM_RSRC2:TGID_X_EN: 1
; COMPUTE_PGM_RSRC2:TGID_Y_EN: 1
; COMPUTE_PGM_RSRC2:TGID_Z_EN: 1
; COMPUTE_PGM_RSRC2:TIDIG_COMP_CNT: 0
	.section	.text._ZL33flash_attn_stream_k_fixup_generalILi512ELi8ELi4EEvPfPK15HIP_vector_typeIfLj2EEiiiiS1_IjLj3EES5_S5_S5_,"axG",@progbits,_ZL33flash_attn_stream_k_fixup_generalILi512ELi8ELi4EEvPfPK15HIP_vector_typeIfLj2EEiiiiS1_IjLj3EES5_S5_S5_,comdat
	.globl	_ZL33flash_attn_stream_k_fixup_generalILi512ELi8ELi4EEvPfPK15HIP_vector_typeIfLj2EEiiiiS1_IjLj3EES5_S5_S5_ ; -- Begin function _ZL33flash_attn_stream_k_fixup_generalILi512ELi8ELi4EEvPfPK15HIP_vector_typeIfLj2EEiiiiS1_IjLj3EES5_S5_S5_
	.p2align	8
	.type	_ZL33flash_attn_stream_k_fixup_generalILi512ELi8ELi4EEvPfPK15HIP_vector_typeIfLj2EEiiiiS1_IjLj3EES5_S5_S5_,@function
_ZL33flash_attn_stream_k_fixup_generalILi512ELi8ELi4EEvPfPK15HIP_vector_typeIfLj2EEiiiiS1_IjLj3EES5_S5_S5_: ; @_ZL33flash_attn_stream_k_fixup_generalILi512ELi8ELi4EEvPfPK15HIP_vector_typeIfLj2EEiiiiS1_IjLj3EES5_S5_S5_
; %bb.0:
	s_clause 0x1
	s_load_b128 s[4:7], s[0:1], 0x10
	s_load_b32 s16, s[0:1], 0x50
	s_bfe_u32 s2, ttmp6, 0x4000c
	s_and_b32 s3, ttmp6, 15
	s_add_co_i32 s2, s2, 1
	s_getreg_b32 s15, hwreg(HW_REG_IB_STS2, 6, 4)
	s_mul_i32 s2, ttmp9, s2
	s_mov_b32 s17, 0
	s_add_co_i32 s3, s3, s2
	s_cmp_eq_u32 s15, 0
	s_cselect_b32 s2, ttmp9, s3
	s_delay_alu instid0(SALU_CYCLE_1) | instskip(SKIP_3) | instid1(SALU_CYCLE_1)
	s_ashr_i32 s3, s2, 31
	s_wait_kmcnt 0x0
	s_ashr_i32 s19, s7, 31
	s_mov_b32 s18, s7
	s_mul_u64 s[8:9], s[18:19], s[2:3]
	s_delay_alu instid0(SALU_CYCLE_1) | instskip(NEXT) | instid1(SALU_CYCLE_1)
	s_and_b64 s[10:11], s[8:9], 0xffffffff00000000
	s_cmp_lg_u64 s[10:11], 0
	s_cbranch_scc0 .LBB12_21
; %bb.1:
	s_add_nc_u64 s[10:11], s[16:17], 0
	s_mov_b32 s23, s17
	s_xor_b64 s[10:11], s[10:11], 0
	s_mov_b32 s27, s17
	s_cvt_f32_u32 s3, s10
	s_cvt_f32_u32 s7, s11
	s_sub_nc_u64 s[20:21], 0, s[10:11]
	s_delay_alu instid0(SALU_CYCLE_2) | instskip(NEXT) | instid1(SALU_CYCLE_3)
	s_fmamk_f32 s3, s7, 0x4f800000, s3
	v_s_rcp_f32 s3, s3
	s_delay_alu instid0(TRANS32_DEP_1) | instskip(NEXT) | instid1(SALU_CYCLE_3)
	s_mul_f32 s3, s3, 0x5f7ffffc
	s_mul_f32 s7, s3, 0x2f800000
	s_delay_alu instid0(SALU_CYCLE_3) | instskip(NEXT) | instid1(SALU_CYCLE_3)
	s_trunc_f32 s7, s7
	s_fmamk_f32 s3, s7, 0xcf800000, s3
	s_cvt_u32_f32 s13, s7
	s_delay_alu instid0(SALU_CYCLE_2) | instskip(NEXT) | instid1(SALU_CYCLE_3)
	s_cvt_u32_f32 s12, s3
	s_mul_u64 s[24:25], s[20:21], s[12:13]
	s_delay_alu instid0(SALU_CYCLE_1)
	s_mul_hi_u32 s29, s12, s25
	s_mul_i32 s28, s12, s25
	s_mul_hi_u32 s22, s12, s24
	s_mul_i32 s7, s13, s24
	s_add_nc_u64 s[22:23], s[22:23], s[28:29]
	s_mul_hi_u32 s3, s13, s24
	s_mul_hi_u32 s14, s13, s25
	s_add_co_u32 s7, s22, s7
	s_add_co_ci_u32 s26, s23, s3
	s_mul_i32 s24, s13, s25
	s_add_co_ci_u32 s25, s14, 0
	s_delay_alu instid0(SALU_CYCLE_1) | instskip(SKIP_3) | instid1(SALU_CYCLE_1)
	s_add_nc_u64 s[22:23], s[26:27], s[24:25]
	s_mov_b32 s25, s17
	s_add_co_u32 s12, s12, s22
	s_cselect_b32 s3, -1, 0
	s_cmp_lg_u32 s3, 0
	s_add_co_ci_u32 s13, s13, s23
	s_mov_b32 s23, s17
	s_mul_u64 s[20:21], s[20:21], s[12:13]
	s_delay_alu instid0(SALU_CYCLE_1)
	s_mul_hi_u32 s27, s12, s21
	s_mul_i32 s26, s12, s21
	s_mul_hi_u32 s22, s12, s20
	s_mul_i32 s7, s13, s20
	s_add_nc_u64 s[22:23], s[22:23], s[26:27]
	s_mul_hi_u32 s3, s13, s20
	s_mul_hi_u32 s14, s13, s21
	s_add_co_u32 s7, s22, s7
	s_add_co_ci_u32 s24, s23, s3
	s_mul_i32 s20, s13, s21
	s_add_co_ci_u32 s21, s14, 0
	s_mov_b32 s23, s17
	s_add_nc_u64 s[20:21], s[24:25], s[20:21]
	s_delay_alu instid0(SALU_CYCLE_1) | instskip(SKIP_1) | instid1(SALU_CYCLE_1)
	s_add_co_u32 s3, s12, s20
	s_cselect_b32 s7, -1, 0
	s_cmp_lg_u32 s7, 0
	s_add_co_ci_u32 s7, s13, s21
	s_ashr_i32 s12, s9, 31
	s_delay_alu instid0(SALU_CYCLE_1) | instskip(NEXT) | instid1(SALU_CYCLE_1)
	s_mov_b32 s13, s12
	s_add_nc_u64 s[20:21], s[8:9], s[12:13]
	s_delay_alu instid0(SALU_CYCLE_1) | instskip(NEXT) | instid1(SALU_CYCLE_1)
	s_xor_b64 s[20:21], s[20:21], s[12:13]
	s_mul_hi_u32 s27, s20, s7
	s_mul_i32 s26, s20, s7
	s_mul_hi_u32 s22, s20, s3
	s_mul_hi_u32 s14, s21, s3
	s_mul_i32 s3, s21, s3
	s_add_nc_u64 s[22:23], s[22:23], s[26:27]
	s_mul_hi_u32 s9, s21, s7
	s_add_co_u32 s3, s22, s3
	s_add_co_ci_u32 s24, s23, s14
	s_mul_i32 s26, s21, s7
	s_add_co_ci_u32 s27, s9, 0
	s_delay_alu instid0(SALU_CYCLE_1) | instskip(NEXT) | instid1(SALU_CYCLE_1)
	s_add_nc_u64 s[22:23], s[24:25], s[26:27]
	s_and_b64 s[24:25], s[22:23], 0xffffffff00000000
	s_delay_alu instid0(SALU_CYCLE_1) | instskip(NEXT) | instid1(SALU_CYCLE_1)
	s_or_b32 s24, s24, s22
	s_mul_u64 s[22:23], s[10:11], s[24:25]
	s_add_nc_u64 s[26:27], s[24:25], 1
	s_sub_co_u32 s3, s20, s22
	s_cselect_b32 s7, -1, 0
	s_sub_co_i32 s9, s21, s23
	s_cmp_lg_u32 s7, 0
	s_add_nc_u64 s[28:29], s[24:25], 2
	s_sub_co_ci_u32 s9, s9, s11
	s_sub_co_u32 s14, s3, s10
	s_cselect_b32 s20, -1, 0
	s_delay_alu instid0(SALU_CYCLE_1) | instskip(SKIP_1) | instid1(SALU_CYCLE_1)
	s_cmp_lg_u32 s20, 0
	s_sub_co_ci_u32 s9, s9, 0
	s_cmp_ge_u32 s9, s11
	s_cselect_b32 s20, -1, 0
	s_cmp_ge_u32 s14, s10
	s_cselect_b32 s14, -1, 0
	s_cmp_eq_u32 s9, s11
	s_cselect_b32 s9, s14, s20
	s_delay_alu instid0(SALU_CYCLE_1) | instskip(SKIP_4) | instid1(SALU_CYCLE_1)
	s_cmp_lg_u32 s9, 0
	s_cselect_b32 s9, s28, s26
	s_cselect_b32 s14, s29, s27
	s_cmp_lg_u32 s7, 0
	s_sub_co_ci_u32 s7, s21, s23
	s_cmp_ge_u32 s7, s11
	s_cselect_b32 s20, -1, 0
	s_cmp_ge_u32 s3, s10
	s_cselect_b32 s3, -1, 0
	s_cmp_eq_u32 s7, s11
	s_cselect_b32 s3, s3, s20
	s_delay_alu instid0(SALU_CYCLE_1) | instskip(SKIP_4) | instid1(SALU_CYCLE_1)
	s_cmp_lg_u32 s3, 0
	s_mov_b32 s3, s17
	s_cselect_b32 s11, s14, s25
	s_cselect_b32 s10, s9, s24
	s_xor_b64 s[12:13], s[12:13], 0
	s_xor_b64 s[10:11], s[10:11], s[12:13]
	s_delay_alu instid0(SALU_CYCLE_1)
	s_sub_nc_u64 s[20:21], s[10:11], s[12:13]
	s_and_not1_b32 vcc_lo, exec_lo, s3
	s_cbranch_vccnz .LBB12_3
.LBB12_2:
	v_cvt_f32_u32_e32 v1, s16
	s_sub_co_i32 s7, 0, s16
	s_mov_b32 s21, 0
	s_delay_alu instid0(VALU_DEP_1) | instskip(SKIP_1) | instid1(TRANS32_DEP_1)
	v_rcp_iflag_f32_e32 v1, v1
	v_nop
	v_mul_f32_e32 v1, 0x4f7ffffe, v1
	s_delay_alu instid0(VALU_DEP_1) | instskip(NEXT) | instid1(VALU_DEP_1)
	v_cvt_u32_f32_e32 v1, v1
	v_readfirstlane_b32 s3, v1
	s_mul_i32 s7, s7, s3
	s_delay_alu instid0(SALU_CYCLE_1) | instskip(NEXT) | instid1(SALU_CYCLE_1)
	s_mul_hi_u32 s7, s3, s7
	s_add_co_i32 s3, s3, s7
	s_delay_alu instid0(SALU_CYCLE_1) | instskip(NEXT) | instid1(SALU_CYCLE_1)
	s_mul_hi_u32 s3, s8, s3
	s_mul_i32 s7, s3, s16
	s_delay_alu instid0(SALU_CYCLE_1)
	s_sub_co_i32 s7, s8, s7
	s_add_co_i32 s8, s3, 1
	s_sub_co_i32 s9, s7, s16
	s_cmp_ge_u32 s7, s16
	s_cselect_b32 s3, s8, s3
	s_cselect_b32 s7, s9, s7
	s_add_co_i32 s8, s3, 1
	s_cmp_ge_u32 s7, s16
	s_cselect_b32 s20, s8, s3
.LBB12_3:
	s_add_co_i32 s8, s2, 1
	s_delay_alu instid0(SALU_CYCLE_1) | instskip(NEXT) | instid1(SALU_CYCLE_1)
	s_ashr_i32 s9, s8, 31
	s_mul_u64 s[8:9], s[18:19], s[8:9]
	s_delay_alu instid0(SALU_CYCLE_1) | instskip(NEXT) | instid1(SALU_CYCLE_1)
	s_and_b64 s[10:11], s[8:9], 0xffffffff00000000
	s_cmp_lg_u64 s[10:11], 0
	s_cbranch_scc0 .LBB12_22
; %bb.4:
	s_add_nc_u64 s[10:11], s[16:17], 0
	s_delay_alu instid0(SALU_CYCLE_1) | instskip(SKIP_4) | instid1(SALU_CYCLE_2)
	s_xor_b64 s[12:13], s[10:11], 0
	s_mov_b32 s11, 0
	s_cvt_f32_u32 s3, s12
	s_cvt_f32_u32 s7, s13
	s_sub_nc_u64 s[24:25], 0, s[12:13]
	s_fmamk_f32 s3, s7, 0x4f800000, s3
	s_delay_alu instid0(SALU_CYCLE_3) | instskip(NEXT) | instid1(TRANS32_DEP_1)
	v_s_rcp_f32 s3, s3
	s_mul_f32 s3, s3, 0x5f7ffffc
	s_delay_alu instid0(SALU_CYCLE_3) | instskip(NEXT) | instid1(SALU_CYCLE_3)
	s_mul_f32 s7, s3, 0x2f800000
	s_trunc_f32 s7, s7
	s_delay_alu instid0(SALU_CYCLE_3) | instskip(SKIP_1) | instid1(SALU_CYCLE_2)
	s_fmamk_f32 s3, s7, 0xcf800000, s3
	s_cvt_u32_f32 s23, s7
	s_cvt_u32_f32 s22, s3
	s_delay_alu instid0(SALU_CYCLE_3) | instskip(NEXT) | instid1(SALU_CYCLE_1)
	s_mul_u64 s[26:27], s[24:25], s[22:23]
	s_mul_hi_u32 s29, s22, s27
	s_mul_i32 s28, s22, s27
	s_mul_hi_u32 s10, s22, s26
	s_mul_i32 s7, s23, s26
	s_add_nc_u64 s[28:29], s[10:11], s[28:29]
	s_mul_hi_u32 s3, s23, s26
	s_mul_hi_u32 s14, s23, s27
	s_add_co_u32 s7, s28, s7
	s_add_co_ci_u32 s10, s29, s3
	s_mul_i32 s26, s23, s27
	s_add_co_ci_u32 s27, s14, 0
	s_delay_alu instid0(SALU_CYCLE_1) | instskip(NEXT) | instid1(SALU_CYCLE_1)
	s_add_nc_u64 s[26:27], s[10:11], s[26:27]
	s_add_co_u32 s22, s22, s26
	s_cselect_b32 s3, -1, 0
	s_delay_alu instid0(SALU_CYCLE_1) | instskip(SKIP_1) | instid1(SALU_CYCLE_1)
	s_cmp_lg_u32 s3, 0
	s_add_co_ci_u32 s23, s23, s27
	s_mul_u64 s[24:25], s[24:25], s[22:23]
	s_delay_alu instid0(SALU_CYCLE_1)
	s_mul_hi_u32 s27, s22, s25
	s_mul_i32 s26, s22, s25
	s_mul_hi_u32 s10, s22, s24
	s_mul_i32 s7, s23, s24
	s_add_nc_u64 s[26:27], s[10:11], s[26:27]
	s_mul_hi_u32 s3, s23, s24
	s_mul_hi_u32 s14, s23, s25
	s_add_co_u32 s7, s26, s7
	s_add_co_ci_u32 s10, s27, s3
	s_mul_i32 s24, s23, s25
	s_add_co_ci_u32 s25, s14, 0
	s_delay_alu instid0(SALU_CYCLE_1) | instskip(NEXT) | instid1(SALU_CYCLE_1)
	s_add_nc_u64 s[24:25], s[10:11], s[24:25]
	s_add_co_u32 s3, s22, s24
	s_cselect_b32 s7, -1, 0
	s_delay_alu instid0(SALU_CYCLE_1) | instskip(SKIP_2) | instid1(SALU_CYCLE_1)
	s_cmp_lg_u32 s7, 0
	s_add_co_ci_u32 s7, s23, s25
	s_ashr_i32 s22, s9, 31
	s_mov_b32 s23, s22
	s_delay_alu instid0(SALU_CYCLE_1) | instskip(NEXT) | instid1(SALU_CYCLE_1)
	s_add_nc_u64 s[24:25], s[8:9], s[22:23]
	s_xor_b64 s[24:25], s[24:25], s[22:23]
	s_delay_alu instid0(SALU_CYCLE_1)
	s_mul_hi_u32 s27, s24, s7
	s_mul_i32 s26, s24, s7
	s_mul_hi_u32 s10, s24, s3
	s_mul_hi_u32 s14, s25, s3
	s_mul_i32 s3, s25, s3
	s_add_nc_u64 s[26:27], s[10:11], s[26:27]
	s_mul_hi_u32 s9, s25, s7
	s_add_co_u32 s3, s26, s3
	s_add_co_ci_u32 s10, s27, s14
	s_mul_i32 s28, s25, s7
	s_add_co_ci_u32 s29, s9, 0
	s_delay_alu instid0(SALU_CYCLE_1) | instskip(NEXT) | instid1(SALU_CYCLE_1)
	s_add_nc_u64 s[26:27], s[10:11], s[28:29]
	s_and_b64 s[28:29], s[26:27], 0xffffffff00000000
	s_delay_alu instid0(SALU_CYCLE_1) | instskip(NEXT) | instid1(SALU_CYCLE_1)
	s_or_b32 s28, s28, s26
	s_mul_u64 s[26:27], s[12:13], s[28:29]
	s_add_nc_u64 s[30:31], s[28:29], 1
	s_sub_co_u32 s3, s24, s26
	s_cselect_b32 s7, -1, 0
	s_sub_co_i32 s9, s25, s27
	s_cmp_lg_u32 s7, 0
	s_add_nc_u64 s[34:35], s[28:29], 2
	s_sub_co_ci_u32 s9, s9, s13
	s_sub_co_u32 s10, s3, s12
	s_cselect_b32 s14, -1, 0
	s_delay_alu instid0(SALU_CYCLE_1) | instskip(SKIP_1) | instid1(SALU_CYCLE_1)
	s_cmp_lg_u32 s14, 0
	s_sub_co_ci_u32 s9, s9, 0
	s_cmp_ge_u32 s9, s13
	s_cselect_b32 s14, -1, 0
	s_cmp_ge_u32 s10, s12
	s_cselect_b32 s10, -1, 0
	s_cmp_eq_u32 s9, s13
	s_cselect_b32 s9, s10, s14
	s_delay_alu instid0(SALU_CYCLE_1) | instskip(SKIP_4) | instid1(SALU_CYCLE_1)
	s_cmp_lg_u32 s9, 0
	s_cselect_b32 s9, s34, s30
	s_cselect_b32 s10, s35, s31
	s_cmp_lg_u32 s7, 0
	s_sub_co_ci_u32 s7, s25, s27
	s_cmp_ge_u32 s7, s13
	s_cselect_b32 s14, -1, 0
	s_cmp_ge_u32 s3, s12
	s_cselect_b32 s3, -1, 0
	s_cmp_eq_u32 s7, s13
	s_cselect_b32 s3, s3, s14
	s_delay_alu instid0(SALU_CYCLE_1) | instskip(SKIP_3) | instid1(SALU_CYCLE_1)
	s_cmp_lg_u32 s3, 0
	s_cselect_b32 s13, s10, s29
	s_cselect_b32 s12, s9, s28
	s_xor_b64 s[22:23], s[22:23], 0
	s_xor_b64 s[12:13], s[12:13], s[22:23]
	s_delay_alu instid0(SALU_CYCLE_1)
	s_sub_nc_u64 s[24:25], s[12:13], s[22:23]
	s_load_b96 s[12:14], s[0:1], 0x44
	s_cbranch_execnz .LBB12_6
.LBB12_5:
	v_cvt_f32_u32_e32 v1, s16
	s_sub_co_i32 s7, 0, s16
	s_delay_alu instid0(VALU_DEP_1) | instskip(SKIP_1) | instid1(TRANS32_DEP_1)
	v_rcp_iflag_f32_e32 v1, v1
	v_nop
	v_mul_f32_e32 v1, 0x4f7ffffe, v1
	s_delay_alu instid0(VALU_DEP_1) | instskip(NEXT) | instid1(VALU_DEP_1)
	v_cvt_u32_f32_e32 v1, v1
	v_readfirstlane_b32 s3, v1
	s_mul_i32 s7, s7, s3
	s_delay_alu instid0(SALU_CYCLE_1) | instskip(NEXT) | instid1(SALU_CYCLE_1)
	s_mul_hi_u32 s7, s3, s7
	s_add_co_i32 s3, s3, s7
	s_delay_alu instid0(SALU_CYCLE_1) | instskip(NEXT) | instid1(SALU_CYCLE_1)
	s_mul_hi_u32 s3, s8, s3
	s_mul_i32 s7, s3, s16
	s_delay_alu instid0(SALU_CYCLE_1)
	s_sub_co_i32 s7, s8, s7
	s_add_co_i32 s8, s3, 1
	s_sub_co_i32 s9, s7, s16
	s_cmp_ge_u32 s7, s16
	s_cselect_b32 s3, s8, s3
	s_cselect_b32 s7, s9, s7
	s_add_co_i32 s8, s3, 1
	s_cmp_ge_u32 s7, s16
	s_cselect_b32 s24, s8, s3
.LBB12_6:
	s_delay_alu instid0(SALU_CYCLE_1)
	s_cmp_eq_u32 s20, s24
	s_mov_b64 s[8:9], 0xffffffff
	s_cselect_b32 s3, -1, 0
	s_and_b64 s[8:9], s[20:21], s[8:9]
	s_mov_b32 s23, 0
	s_wait_kmcnt 0x0
	s_mov_b32 s22, s12
	s_mov_b32 s25, s23
	s_mul_u64 s[10:11], s[8:9], s[22:23]
	s_delay_alu instid0(SALU_CYCLE_1) | instskip(SKIP_2) | instid1(SALU_CYCLE_1)
	s_add_co_i32 s7, s11, s20
	s_mul_u64 s[10:11], s[24:25], s[22:23]
	s_lshr_b32 s12, s7, s13
	s_mul_i32 s7, s12, s14
	s_delay_alu instid0(SALU_CYCLE_1) | instskip(SKIP_2) | instid1(SALU_CYCLE_1)
	s_cmp_eq_u32 s7, s20
	s_cselect_b32 s7, -1, 0
	s_add_co_i32 s10, s11, s24
	s_lshr_b32 s10, s10, s13
	s_delay_alu instid0(SALU_CYCLE_1)
	s_cmp_eq_u32 s12, s10
	s_mul_i32 s10, s10, s14
	s_cselect_b32 s11, -1, 0
	s_cmp_lg_u32 s10, s24
	s_cselect_b32 s10, -1, 0
	s_or_b32 s3, s3, s7
	s_and_b32 s10, s11, s10
	s_delay_alu instid0(SALU_CYCLE_1) | instskip(NEXT) | instid1(SALU_CYCLE_1)
	s_or_b32 s3, s3, s10
	s_and_b32 vcc_lo, exec_lo, s3
	s_cbranch_vccnz .LBB12_24
; %bb.7:
	s_load_b256 s[24:31], s[0:1], 0x20
	s_bfe_u32 s7, ttmp6, 0x40014
	s_bfe_u32 s33, ttmp6, 0x40010
	s_lshr_b32 s3, ttmp7, 16
	s_add_co_i32 s7, s7, 1
	s_and_b32 s21, ttmp7, 0xffff
	s_add_co_i32 s33, s33, 1
	s_bfe_u32 s10, ttmp6, 0x40008
	s_mul_i32 s7, s3, s7
	s_bfe_u32 s34, ttmp6, 0x40004
	s_mul_i32 s33, s21, s33
	s_mov_b32 s11, s23
	s_add_co_i32 s35, s10, s7
	s_add_co_i32 s34, s34, s33
	s_cmp_eq_u32 s15, 0
	s_cselect_b32 s7, s21, s34
	s_cselect_b32 s3, s3, s35
	s_wait_kmcnt 0x0
	s_mov_b32 s10, s24
	s_delay_alu instid0(SALU_CYCLE_1) | instskip(NEXT) | instid1(SALU_CYCLE_1)
	s_mul_u64 s[8:9], s[8:9], s[10:11]
	s_add_co_i32 s8, s9, s20
	s_load_b32 s9, s[0:1], 0x40
	s_lshr_b32 s8, s8, s25
	s_delay_alu instid0(SALU_CYCLE_1) | instskip(NEXT) | instid1(SALU_CYCLE_1)
	s_mul_i32 s10, s8, s26
	s_sub_co_i32 s10, s20, s10
	s_delay_alu instid0(SALU_CYCLE_1) | instskip(NEXT) | instid1(SALU_CYCLE_1)
	s_mul_hi_u32 s11, s10, s27
	s_add_co_i32 s11, s10, s11
	s_delay_alu instid0(SALU_CYCLE_1) | instskip(NEXT) | instid1(SALU_CYCLE_1)
	s_lshr_b32 s15, s11, s28
	s_mul_i32 s11, s15, s29
	s_delay_alu instid0(SALU_CYCLE_1) | instskip(NEXT) | instid1(SALU_CYCLE_1)
	s_sub_co_i32 s10, s10, s11
	s_mul_hi_u32 s11, s10, s30
	s_delay_alu instid0(SALU_CYCLE_1) | instskip(NEXT) | instid1(SALU_CYCLE_1)
	s_add_co_i32 s11, s10, s11
	s_lshr_b32 s26, s11, s31
	s_mov_b32 s11, s23
	s_wait_kmcnt 0x0
	s_mul_i32 s9, s26, s9
	s_delay_alu instid0(SALU_CYCLE_1) | instskip(NEXT) | instid1(SALU_CYCLE_1)
	s_sub_co_i32 s10, s10, s9
	s_mul_u64 s[24:25], s[10:11], s[22:23]
	s_lshl_b32 s24, s26, 2
	s_add_co_i32 s9, s10, s25
	s_delay_alu instid0(SALU_CYCLE_1) | instskip(NEXT) | instid1(SALU_CYCLE_1)
	s_lshr_b32 s21, s9, s13
	s_lshl_b32 s9, s21, 3
	s_delay_alu instid0(SALU_CYCLE_1) | instskip(NEXT) | instid1(SALU_CYCLE_1)
	s_add_co_i32 s9, s9, s7
	s_cmp_lt_i32 s9, s4
	s_cselect_b32 s9, -1, 0
	s_add_co_i32 s10, s24, s3
	s_delay_alu instid0(SALU_CYCLE_1) | instskip(SKIP_1) | instid1(SALU_CYCLE_1)
	s_cmp_lt_i32 s10, s6
	s_cselect_b32 s10, -1, 0
	s_and_b32 s9, s9, s10
	s_delay_alu instid0(SALU_CYCLE_1)
	s_and_not1_b32 vcc_lo, exec_lo, s9
	s_cbranch_vccnz .LBB12_24
; %bb.8:
	s_mul_i32 s4, s8, s4
	s_load_b128 s[8:11], s[0:1], 0x0
	s_wait_xcnt 0x0
	s_add_co_i32 s0, s4, s7
	s_mul_i32 s15, s15, s6
	s_mul_i32 s0, s0, s5
	;; [unrolled: 1-line block ×3, first 2 shown]
	s_add_co_i32 s0, s0, s3
	s_lshl_b32 s1, s1, 12
	s_add_co_i32 s0, s0, s15
	s_lshl_b32 s15, s7, 2
	s_add_co_i32 s0, s0, s24
	s_add_co_i32 s15, s15, s3
	s_lshl_b32 s0, s0, 9
	v_lshl_or_b32 v6, s15, 9, v0
	s_add_co_i32 s1, s1, s0
	v_cvt_f32_u32_e32 v4, s16
	v_or_b32_e32 v2, s1, v0
	s_add_nc_u64 s[0:1], s[16:17], 0
	s_lshl_b32 s24, s16, 7
	s_xor_b64 s[6:7], s[0:1], 0
	s_lshl_b32 s0, s2, 5
	s_cvt_f32_u32 s3, s6
	s_add_co_i32 s0, s15, s0
	s_cvt_f32_u32 s4, s7
	s_ashr_i32 s1, s0, 31
	v_rcp_iflag_f32_e32 v4, v4
	s_lshl_b64 s[0:1], s[0:1], 3
	s_fmamk_f32 s3, s4, 0x4f800000, s3
	s_wait_kmcnt 0x0
	s_add_nc_u64 s[0:1], s[10:11], s[0:1]
	s_mov_b32 s25, 0
	s_load_b64 s[28:29], s[0:1], 0x0
	v_s_rcp_f32 s3, s3
	s_wait_xcnt 0x0
	s_lshl_b64 s[0:1], s[24:25], 2
	s_add_co_i32 s36, s2, -1
	s_add_nc_u64 s[26:27], s[10:11], s[0:1]
	s_sub_nc_u64 s[34:35], 0, s[6:7]
	v_mul_f32_e32 v4, 0x4f7ffffe, v4
	s_delay_alu instid0(TRANS32_DEP_1) | instskip(NEXT) | instid1(VALU_DEP_1)
	s_mul_f32 s3, s3, 0x5f7ffffc
	v_cvt_u32_f32_e32 v7, v4
	s_delay_alu instid0(SALU_CYCLE_2) | instskip(NEXT) | instid1(SALU_CYCLE_3)
	s_mul_f32 s4, s3, 0x2f800000
	s_trunc_f32 s4, s4
	s_wait_kmcnt 0x0
	v_mov_b32_e32 v0, s29
	global_load_b32 v1, v2, s[8:9] scale_offset
	v_ashrrev_i32_e32 v3, 31, v2
	s_fmamk_f32 s0, s4, 0xcf800000, s3
	s_cvt_u32_f32 s31, s4
	s_wait_xcnt 0x0
	s_delay_alu instid0(VALU_DEP_1)
	v_lshl_add_u64 v[2:3], v[2:3], 2, s[8:9]
	s_cvt_u32_f32 s30, s0
	s_mov_b64 s[8:9], 0xffffffff
.LBB12_9:                               ; =>This Inner Loop Header: Depth=1
	s_ashr_i32 s37, s36, 31
                                        ; implicit-def: $sgpr40_sgpr41
	s_delay_alu instid0(SALU_CYCLE_1) | instskip(NEXT) | instid1(SALU_CYCLE_1)
	s_mul_u64 s[0:1], s[36:37], s[18:19]
	s_and_b64 s[2:3], s[0:1], 0xffffffff00000000
	s_delay_alu instid0(SALU_CYCLE_1)
	s_cmp_lg_u64 s[2:3], 0
	s_mov_b32 s2, -1
	s_cbranch_scc0 .LBB12_11
; %bb.10:                               ;   in Loop: Header=BB12_9 Depth=1
	s_mul_u64 s[2:3], s[34:35], s[30:31]
	s_delay_alu instid0(SALU_CYCLE_1)
	s_mul_hi_u32 s5, s30, s3
	s_mul_i32 s4, s30, s3
	s_mul_hi_u32 s24, s30, s2
	s_mul_hi_u32 s17, s31, s2
	s_add_nc_u64 s[4:5], s[24:25], s[4:5]
	s_mul_i32 s2, s31, s2
	s_mul_hi_u32 s21, s31, s3
	s_add_co_u32 s2, s4, s2
	s_add_co_ci_u32 s24, s5, s17
	s_add_co_ci_u32 s5, s21, 0
	s_mul_i32 s4, s31, s3
	s_delay_alu instid0(SALU_CYCLE_1) | instskip(NEXT) | instid1(SALU_CYCLE_1)
	s_add_nc_u64 s[2:3], s[24:25], s[4:5]
	s_add_co_u32 s2, s30, s2
	s_cselect_b32 s4, -1, 0
	s_delay_alu instid0(SALU_CYCLE_1) | instskip(SKIP_1) | instid1(SALU_CYCLE_1)
	s_cmp_lg_u32 s4, 0
	s_add_co_ci_u32 s3, s31, s3
	s_mul_u64 s[4:5], s[34:35], s[2:3]
	s_delay_alu instid0(SALU_CYCLE_1)
	s_mul_hi_u32 s39, s2, s5
	s_mul_i32 s38, s2, s5
	s_mul_hi_u32 s24, s2, s4
	s_mul_hi_u32 s17, s3, s4
	s_mul_i32 s4, s3, s4
	s_add_nc_u64 s[38:39], s[24:25], s[38:39]
	s_mul_hi_u32 s21, s3, s5
	s_add_co_u32 s4, s38, s4
	s_add_co_ci_u32 s24, s39, s17
	s_mul_i32 s4, s3, s5
	s_add_co_ci_u32 s5, s21, 0
	s_delay_alu instid0(SALU_CYCLE_1) | instskip(NEXT) | instid1(SALU_CYCLE_1)
	s_add_nc_u64 s[4:5], s[24:25], s[4:5]
	s_add_co_u32 s17, s2, s4
	s_cselect_b32 s2, -1, 0
	s_delay_alu instid0(SALU_CYCLE_1) | instskip(SKIP_2) | instid1(SALU_CYCLE_1)
	s_cmp_lg_u32 s2, 0
	s_add_co_ci_u32 s21, s3, s5
	s_ashr_i32 s2, s1, 31
	s_mov_b32 s3, s2
	s_delay_alu instid0(SALU_CYCLE_1) | instskip(NEXT) | instid1(SALU_CYCLE_1)
	s_add_nc_u64 s[4:5], s[0:1], s[2:3]
	s_xor_b64 s[4:5], s[4:5], s[2:3]
	s_delay_alu instid0(SALU_CYCLE_1)
	s_mul_hi_u32 s39, s4, s21
	s_mul_i32 s38, s4, s21
	s_mul_hi_u32 s24, s4, s17
	s_mul_hi_u32 s29, s5, s17
	s_mul_i32 s17, s5, s17
	s_add_nc_u64 s[38:39], s[24:25], s[38:39]
	s_mul_hi_u32 s1, s5, s21
	s_add_co_u32 s17, s38, s17
	s_add_co_ci_u32 s24, s39, s29
	s_mul_i32 s40, s5, s21
	s_add_co_ci_u32 s41, s1, 0
	s_delay_alu instid0(SALU_CYCLE_1) | instskip(NEXT) | instid1(SALU_CYCLE_1)
	s_add_nc_u64 s[38:39], s[24:25], s[40:41]
	s_and_b64 s[40:41], s[38:39], 0xffffffff00000000
	s_delay_alu instid0(SALU_CYCLE_1) | instskip(NEXT) | instid1(SALU_CYCLE_1)
	s_or_b32 s40, s40, s38
	s_mul_u64 s[38:39], s[6:7], s[40:41]
	s_add_nc_u64 s[42:43], s[40:41], 1
	s_sub_co_u32 s1, s4, s38
	s_cselect_b32 s4, -1, 0
	s_sub_co_i32 s17, s5, s39
	s_cmp_lg_u32 s4, 0
	s_add_nc_u64 s[44:45], s[40:41], 2
	s_sub_co_ci_u32 s17, s17, s7
	s_sub_co_u32 s21, s1, s6
	s_cselect_b32 s24, -1, 0
	s_delay_alu instid0(SALU_CYCLE_1) | instskip(SKIP_1) | instid1(SALU_CYCLE_1)
	s_cmp_lg_u32 s24, 0
	s_sub_co_ci_u32 s17, s17, 0
	s_cmp_ge_u32 s17, s7
	s_cselect_b32 s24, -1, 0
	s_cmp_ge_u32 s21, s6
	s_cselect_b32 s21, -1, 0
	s_cmp_eq_u32 s17, s7
	s_cselect_b32 s17, s21, s24
	s_delay_alu instid0(SALU_CYCLE_1) | instskip(SKIP_4) | instid1(SALU_CYCLE_1)
	s_cmp_lg_u32 s17, 0
	s_cselect_b32 s17, s44, s42
	s_cselect_b32 s21, s45, s43
	s_cmp_lg_u32 s4, 0
	s_sub_co_ci_u32 s4, s5, s39
	s_cmp_ge_u32 s4, s7
	s_cselect_b32 s5, -1, 0
	s_cmp_ge_u32 s1, s6
	s_cselect_b32 s1, -1, 0
	s_cmp_eq_u32 s4, s7
	s_cselect_b32 s1, s1, s5
	s_delay_alu instid0(SALU_CYCLE_1) | instskip(SKIP_3) | instid1(SALU_CYCLE_1)
	s_cmp_lg_u32 s1, 0
	s_cselect_b32 s5, s21, s41
	s_cselect_b32 s4, s17, s40
	s_xor_b64 s[2:3], s[2:3], 0
	s_xor_b64 s[4:5], s[4:5], s[2:3]
	s_delay_alu instid0(SALU_CYCLE_1)
	s_sub_nc_u64 s[40:41], s[4:5], s[2:3]
	s_mov_b32 s2, 0
.LBB12_11:                              ;   in Loop: Header=BB12_9 Depth=1
	s_delay_alu instid0(SALU_CYCLE_1)
	s_and_not1_b32 vcc_lo, exec_lo, s2
	s_cbranch_vccnz .LBB12_13
; %bb.12:                               ;   in Loop: Header=BB12_9 Depth=1
	v_readfirstlane_b32 s1, v7
	s_sub_co_i32 s2, 0, s16
	s_delay_alu instid0(SALU_CYCLE_1) | instskip(NEXT) | instid1(SALU_CYCLE_1)
	s_mul_i32 s2, s2, s1
	s_mul_hi_u32 s2, s1, s2
	s_delay_alu instid0(SALU_CYCLE_1) | instskip(NEXT) | instid1(SALU_CYCLE_1)
	s_add_co_i32 s1, s1, s2
	s_mul_hi_u32 s1, s0, s1
	s_delay_alu instid0(SALU_CYCLE_1) | instskip(NEXT) | instid1(SALU_CYCLE_1)
	s_mul_i32 s2, s1, s16
	s_sub_co_i32 s0, s0, s2
	s_add_co_i32 s2, s1, 1
	s_sub_co_i32 s3, s0, s16
	s_cmp_ge_u32 s0, s16
	s_cselect_b32 s1, s2, s1
	s_cselect_b32 s0, s3, s0
	s_add_co_i32 s2, s1, 1
	s_cmp_ge_u32 s0, s16
	s_cselect_b32 s24, s2, s1
	s_delay_alu instid0(SALU_CYCLE_1)
	s_mov_b64 s[40:41], s[24:25]
.LBB12_13:                              ;   in Loop: Header=BB12_9 Depth=1
	s_delay_alu instid0(SALU_CYCLE_1)
	s_cmp_lg_u32 s20, s40
	s_mov_b32 s0, -1
                                        ; implicit-def: $vgpr4_vgpr5
                                        ; implicit-def: $sgpr24
                                        ; implicit-def: $sgpr17
                                        ; implicit-def: $sgpr21
                                        ; implicit-def: $sgpr29
	s_cbranch_scc0 .LBB12_18
; %bb.14:                               ;   in Loop: Header=BB12_9 Depth=1
	s_add_co_i32 s0, s36, s16
	v_max_num_f32_e64 v4, s28, s28
	s_lshl_b32 s0, s0, 5
	s_mov_b32 s29, s20
	s_add_co_i32 s0, s0, s15
	s_load_b64 s[38:39], s[10:11], s0 offset:0x0 scale_offset
	s_wait_xcnt 0x0
	v_readfirstlane_b32 s0, v4
	s_wait_kmcnt 0x0
	v_max_num_f32_e64 v5, s38, s38
	s_delay_alu instid0(VALU_DEP_1) | instskip(SKIP_1) | instid1(SALU_CYCLE_3)
	v_readfirstlane_b32 s1, v5
	s_max_num_f32 s17, s0, s1
	s_sub_f32 s33, s28, s17
	s_sub_f32 s37, s38, s17
	s_delay_alu instid0(SALU_CYCLE_2)
	s_cmp_nlt_f32 s33, 0xc2ce8ed0
	s_cselect_b32 s1, -1, 0
	s_cmp_ngt_f32 s33, 0x42b17218
	s_cselect_b32 s2, -1, 0
	s_cmp_ge_f32 s33, 0xc1a00000
	s_cselect_b32 s0, -1, 0
	s_cmp_nlt_f32 s37, 0xc2ce8ed0
	s_cselect_b32 s3, -1, 0
	s_cmp_ngt_f32 s37, 0x42b17218
	s_cselect_b32 s4, -1, 0
	s_cmp_ge_f32 s37, 0xc1a00000
	s_cselect_b32 s5, -1, 0
	s_and_b64 s[42:43], s[40:41], s[8:9]
	s_delay_alu instid0(SALU_CYCLE_1) | instskip(NEXT) | instid1(SALU_CYCLE_1)
	s_mul_u64 s[42:43], s[42:43], s[22:23]
	s_add_co_i32 s21, s43, s40
	s_delay_alu instid0(SALU_CYCLE_1) | instskip(NEXT) | instid1(SALU_CYCLE_1)
	s_lshr_b32 s21, s21, s13
	s_mul_i32 s24, s21, s14
	s_delay_alu instid0(SALU_CYCLE_1) | instskip(SKIP_3) | instid1(SALU_CYCLE_1)
	s_cmp_eq_u32 s24, s40
	s_cselect_b32 s24, -1, 0
	s_cmp_lt_u32 s21, s12
	s_cselect_b32 s21, -1, 0
	s_or_b32 s21, s21, s24
	s_mov_b32 s24, -1
	s_and_b32 vcc_lo, exec_lo, s21
	s_mov_b32 s21, s36
	s_cbranch_vccnz .LBB12_16
; %bb.15:                               ;   in Loop: Header=BB12_9 Depth=1
	s_add_co_i32 s21, s36, -1
	s_mov_b32 s24, 0
	s_mov_b32 s29, s40
.LBB12_16:                              ;   in Loop: Header=BB12_9 Depth=1
	v_lshl_add_u32 v4, s36, 14, v6
	s_mul_f32 s40, s33, 0x3fb8aa3b
	s_mul_f32 s38, s37, 0x3fb8aa3b
	s_delay_alu instid0(SALU_CYCLE_2)
	s_xor_b32 s42, s40, 0x80000000
	global_load_b32 v5, v4, s[26:27] scale_offset
	s_fmamk_f32 s42, s33, 0x3fb8aa3b, s42
	s_rndne_f32 s44, s40
	s_xor_b32 s41, s38, 0x80000000
	s_rndne_f32 s43, s38
	s_fmamk_f32 s33, s33, 0x32a5705f, s42
	s_sub_f32 s40, s40, s44
	s_fmamk_f32 s41, s37, 0x3fb8aa3b, s41
	s_sub_f32 s38, s38, s43
	s_delay_alu instid0(SALU_CYCLE_1) | instskip(NEXT) | instid1(SALU_CYCLE_1)
	s_add_f32 s33, s40, s33
	s_fmamk_f32 s37, s37, 0x32a5705f, s41
	s_cvt_i32_f32 s40, s44
	s_delay_alu instid0(SALU_CYCLE_1) | instskip(NEXT) | instid1(SALU_CYCLE_1)
	v_s_exp_f32 s33, s33
	s_add_f32 s37, s38, s37
	s_cvt_i32_f32 s38, s43
	s_delay_alu instid0(SALU_CYCLE_2) | instskip(NEXT) | instid1(TRANS32_DEP_2)
	v_s_exp_f32 s37, s37
	v_ldexp_f32 v8, s33, s40
	s_wait_xcnt 0x0
	s_delay_alu instid0(TRANS32_DEP_1) | instskip(NEXT) | instid1(VALU_DEP_2)
	v_ldexp_f32 v4, s37, s38
	v_cndmask_b32_e64 v8, 0, v8, s1
	s_delay_alu instid0(VALU_DEP_1) | instskip(NEXT) | instid1(VALU_DEP_1)
	v_cndmask_b32_e64 v9, 0x7f800000, v8, s2
	v_dual_cndmask_b32 v4, 0, v4, s3 :: v_dual_cndmask_b32 v10, 0, v9, s0
	s_delay_alu instid0(VALU_DEP_1) | instskip(NEXT) | instid1(VALU_DEP_1)
	v_cndmask_b32_e64 v4, 0x7f800000, v4, s4
	v_dual_cndmask_b32 v8, 0, v4, s5 :: v_dual_mov_b32 v4, s39
	s_wait_loadcnt 0x0
	s_delay_alu instid0(VALU_DEP_1) | instskip(NEXT) | instid1(VALU_DEP_1)
	v_pk_mul_f32 v[4:5], v[4:5], v[8:9] op_sel_hi:[1,0]
	v_pk_fma_f32 v[4:5], v[0:1], v[10:11], v[4:5] op_sel_hi:[1,0,1]
	s_cbranch_execz .LBB12_19
.LBB12_17:                              ;   in Loop: Header=BB12_9 Depth=1
	s_and_not1_b32 vcc_lo, exec_lo, s24
	s_cbranch_vccnz .LBB12_20
	s_branch .LBB12_23
.LBB12_18:                              ;   in Loop: Header=BB12_9 Depth=1
	s_and_not1_b32 vcc_lo, exec_lo, s0
	s_cbranch_vccnz .LBB12_17
.LBB12_19:                              ;   in Loop: Header=BB12_9 Depth=1
	s_wait_loadcnt 0x0
	v_mov_b64_e32 v[4:5], v[0:1]
	s_add_co_i32 s21, s36, -1
	s_mov_b32 s29, s20
	s_mov_b32 s17, s28
	s_cbranch_execz .LBB12_23
.LBB12_20:                              ;   in Loop: Header=BB12_9 Depth=1
	s_wait_loadcnt 0x0
	s_delay_alu instid0(VALU_DEP_1)
	v_mov_b64_e32 v[0:1], v[4:5]
	s_mov_b32 s20, s29
	s_mov_b32 s36, s21
	;; [unrolled: 1-line block ×3, first 2 shown]
	s_branch .LBB12_9
.LBB12_21:
                                        ; implicit-def: $sgpr20_sgpr21
	s_branch .LBB12_2
.LBB12_22:
                                        ; implicit-def: $sgpr24_sgpr25
	s_load_b96 s[12:14], s[0:1], 0x44
	s_branch .LBB12_5
.LBB12_23:
	s_delay_alu instid0(VALU_DEP_1) | instskip(SKIP_1) | instid1(VALU_DEP_1)
	v_div_scale_f32 v0, null, v4, v4, v5
	s_wait_loadcnt 0x0
	v_rcp_f32_e32 v1, v0
	v_nop
	s_delay_alu instid0(TRANS32_DEP_1) | instskip(NEXT) | instid1(VALU_DEP_1)
	v_fma_f32 v6, -v0, v1, 1.0
	v_fmac_f32_e32 v1, v6, v1
	v_div_scale_f32 v6, vcc_lo, v5, v4, v5
	s_delay_alu instid0(VALU_DEP_1) | instskip(NEXT) | instid1(VALU_DEP_1)
	v_mul_f32_e32 v7, v6, v1
	v_fma_f32 v8, -v0, v7, v6
	s_delay_alu instid0(VALU_DEP_1) | instskip(NEXT) | instid1(VALU_DEP_1)
	v_fmac_f32_e32 v7, v8, v1
	v_fma_f32 v0, -v0, v7, v6
	s_delay_alu instid0(VALU_DEP_1) | instskip(NEXT) | instid1(VALU_DEP_1)
	v_div_fmas_f32 v0, v0, v1, v7
	v_div_fixup_f32 v0, v0, v4, v5
	global_store_b32 v[2:3], v0, off
.LBB12_24:
	s_endpgm
	.section	.rodata,"a",@progbits
	.p2align	6, 0x0
	.amdhsa_kernel _ZL33flash_attn_stream_k_fixup_generalILi512ELi8ELi4EEvPfPK15HIP_vector_typeIfLj2EEiiiiS1_IjLj3EES5_S5_S5_
		.amdhsa_group_segment_fixed_size 0
		.amdhsa_private_segment_fixed_size 0
		.amdhsa_kernarg_size 336
		.amdhsa_user_sgpr_count 2
		.amdhsa_user_sgpr_dispatch_ptr 0
		.amdhsa_user_sgpr_queue_ptr 0
		.amdhsa_user_sgpr_kernarg_segment_ptr 1
		.amdhsa_user_sgpr_dispatch_id 0
		.amdhsa_user_sgpr_kernarg_preload_length 0
		.amdhsa_user_sgpr_kernarg_preload_offset 0
		.amdhsa_user_sgpr_private_segment_size 0
		.amdhsa_wavefront_size32 1
		.amdhsa_uses_dynamic_stack 0
		.amdhsa_enable_private_segment 0
		.amdhsa_system_sgpr_workgroup_id_x 1
		.amdhsa_system_sgpr_workgroup_id_y 1
		.amdhsa_system_sgpr_workgroup_id_z 1
		.amdhsa_system_sgpr_workgroup_info 0
		.amdhsa_system_vgpr_workitem_id 0
		.amdhsa_next_free_vgpr 12
		.amdhsa_next_free_sgpr 46
		.amdhsa_named_barrier_count 0
		.amdhsa_reserve_vcc 1
		.amdhsa_float_round_mode_32 0
		.amdhsa_float_round_mode_16_64 0
		.amdhsa_float_denorm_mode_32 3
		.amdhsa_float_denorm_mode_16_64 3
		.amdhsa_fp16_overflow 0
		.amdhsa_memory_ordered 1
		.amdhsa_forward_progress 1
		.amdhsa_inst_pref_size 27
		.amdhsa_round_robin_scheduling 0
		.amdhsa_exception_fp_ieee_invalid_op 0
		.amdhsa_exception_fp_denorm_src 0
		.amdhsa_exception_fp_ieee_div_zero 0
		.amdhsa_exception_fp_ieee_overflow 0
		.amdhsa_exception_fp_ieee_underflow 0
		.amdhsa_exception_fp_ieee_inexact 0
		.amdhsa_exception_int_div_zero 0
	.end_amdhsa_kernel
	.section	.text._ZL33flash_attn_stream_k_fixup_generalILi512ELi8ELi4EEvPfPK15HIP_vector_typeIfLj2EEiiiiS1_IjLj3EES5_S5_S5_,"axG",@progbits,_ZL33flash_attn_stream_k_fixup_generalILi512ELi8ELi4EEvPfPK15HIP_vector_typeIfLj2EEiiiiS1_IjLj3EES5_S5_S5_,comdat
.Lfunc_end12:
	.size	_ZL33flash_attn_stream_k_fixup_generalILi512ELi8ELi4EEvPfPK15HIP_vector_typeIfLj2EEiiiiS1_IjLj3EES5_S5_S5_, .Lfunc_end12-_ZL33flash_attn_stream_k_fixup_generalILi512ELi8ELi4EEvPfPK15HIP_vector_typeIfLj2EEiiiiS1_IjLj3EES5_S5_S5_
                                        ; -- End function
	.set _ZL33flash_attn_stream_k_fixup_generalILi512ELi8ELi4EEvPfPK15HIP_vector_typeIfLj2EEiiiiS1_IjLj3EES5_S5_S5_.num_vgpr, 12
	.set _ZL33flash_attn_stream_k_fixup_generalILi512ELi8ELi4EEvPfPK15HIP_vector_typeIfLj2EEiiiiS1_IjLj3EES5_S5_S5_.num_agpr, 0
	.set _ZL33flash_attn_stream_k_fixup_generalILi512ELi8ELi4EEvPfPK15HIP_vector_typeIfLj2EEiiiiS1_IjLj3EES5_S5_S5_.numbered_sgpr, 46
	.set _ZL33flash_attn_stream_k_fixup_generalILi512ELi8ELi4EEvPfPK15HIP_vector_typeIfLj2EEiiiiS1_IjLj3EES5_S5_S5_.num_named_barrier, 0
	.set _ZL33flash_attn_stream_k_fixup_generalILi512ELi8ELi4EEvPfPK15HIP_vector_typeIfLj2EEiiiiS1_IjLj3EES5_S5_S5_.private_seg_size, 0
	.set _ZL33flash_attn_stream_k_fixup_generalILi512ELi8ELi4EEvPfPK15HIP_vector_typeIfLj2EEiiiiS1_IjLj3EES5_S5_S5_.uses_vcc, 1
	.set _ZL33flash_attn_stream_k_fixup_generalILi512ELi8ELi4EEvPfPK15HIP_vector_typeIfLj2EEiiiiS1_IjLj3EES5_S5_S5_.uses_flat_scratch, 0
	.set _ZL33flash_attn_stream_k_fixup_generalILi512ELi8ELi4EEvPfPK15HIP_vector_typeIfLj2EEiiiiS1_IjLj3EES5_S5_S5_.has_dyn_sized_stack, 0
	.set _ZL33flash_attn_stream_k_fixup_generalILi512ELi8ELi4EEvPfPK15HIP_vector_typeIfLj2EEiiiiS1_IjLj3EES5_S5_S5_.has_recursion, 0
	.set _ZL33flash_attn_stream_k_fixup_generalILi512ELi8ELi4EEvPfPK15HIP_vector_typeIfLj2EEiiiiS1_IjLj3EES5_S5_S5_.has_indirect_call, 0
	.section	.AMDGPU.csdata,"",@progbits
; Kernel info:
; codeLenInByte = 3360
; TotalNumSgprs: 48
; NumVgprs: 12
; ScratchSize: 0
; MemoryBound: 0
; FloatMode: 240
; IeeeMode: 1
; LDSByteSize: 0 bytes/workgroup (compile time only)
; SGPRBlocks: 0
; VGPRBlocks: 0
; NumSGPRsForWavesPerEU: 48
; NumVGPRsForWavesPerEU: 12
; NamedBarCnt: 0
; Occupancy: 16
; WaveLimiterHint : 0
; COMPUTE_PGM_RSRC2:SCRATCH_EN: 0
; COMPUTE_PGM_RSRC2:USER_SGPR: 2
; COMPUTE_PGM_RSRC2:TRAP_HANDLER: 0
; COMPUTE_PGM_RSRC2:TGID_X_EN: 1
; COMPUTE_PGM_RSRC2:TGID_Y_EN: 1
; COMPUTE_PGM_RSRC2:TGID_Z_EN: 1
; COMPUTE_PGM_RSRC2:TIDIG_COMP_CNT: 0
	.section	.text._ZL15flash_attn_tileILi576ELi512ELi4ELi4ELb0EEvPKcS1_S1_S1_S1_PKiPfP15HIP_vector_typeIfLj2EEffffjfiS5_IjLj3EEiiiiiiiiiiiliiliiiiil,"axG",@progbits,_ZL15flash_attn_tileILi576ELi512ELi4ELi4ELb0EEvPKcS1_S1_S1_S1_PKiPfP15HIP_vector_typeIfLj2EEffffjfiS5_IjLj3EEiiiiiiiiiiiliiliiiiil,comdat
	.globl	_ZL15flash_attn_tileILi576ELi512ELi4ELi4ELb0EEvPKcS1_S1_S1_S1_PKiPfP15HIP_vector_typeIfLj2EEffffjfiS5_IjLj3EEiiiiiiiiiiiliiliiiiil ; -- Begin function _ZL15flash_attn_tileILi576ELi512ELi4ELi4ELb0EEvPKcS1_S1_S1_S1_PKiPfP15HIP_vector_typeIfLj2EEffffjfiS5_IjLj3EEiiiiiiiiiiiliiliiiiil
	.p2align	8
	.type	_ZL15flash_attn_tileILi576ELi512ELi4ELi4ELb0EEvPKcS1_S1_S1_S1_PKiPfP15HIP_vector_typeIfLj2EEffffjfiS5_IjLj3EEiiiiiiiiiiiliiliiiiil,@function
_ZL15flash_attn_tileILi576ELi512ELi4ELi4ELb0EEvPKcS1_S1_S1_S1_PKiPfP15HIP_vector_typeIfLj2EEffffjfiS5_IjLj3EEiiiiiiiiiiiliiliiiiil: ; @_ZL15flash_attn_tileILi576ELi512ELi4ELi4ELb0EEvPKcS1_S1_S1_S1_PKiPfP15HIP_vector_typeIfLj2EEffffjfiS5_IjLj3EEiiiiiiiiiiiliiliiiiil
; %bb.0:
	s_clause 0x1
	s_load_b128 s[20:23], s[0:1], 0x5c
	s_load_b64 s[30:31], s[0:1], 0x80
	s_bfe_u32 s5, ttmp6, 0x40014
	s_lshr_b32 s4, ttmp7, 16
	s_add_co_i32 s5, s5, 1
	s_bfe_u32 s6, ttmp6, 0x40008
	s_mul_i32 s5, s4, s5
	s_getreg_b32 s24, hwreg(HW_REG_IB_STS2, 6, 4)
	s_add_co_i32 s6, s6, s5
	s_load_b64 s[36:37], s[0:1], 0xb8
	s_mov_b64 s[34:35], 0
	s_wait_kmcnt 0x0
	s_ashr_i32 s2, s23, 31
	s_delay_alu instid0(SALU_CYCLE_1) | instskip(NEXT) | instid1(SALU_CYCLE_1)
	s_lshr_b32 s2, s2, 30
	s_add_co_i32 s2, s23, s2
	s_delay_alu instid0(SALU_CYCLE_1) | instskip(NEXT) | instid1(SALU_CYCLE_1)
	s_ashr_i32 s2, s2, 2
	s_cvt_f32_u32 s3, s2
	s_sub_co_i32 s7, 0, s2
	s_delay_alu instid0(SALU_CYCLE_2) | instskip(SKIP_1) | instid1(TRANS32_DEP_1)
	v_rcp_iflag_f32_e32 v1, s3
	v_nop
	v_readfirstlane_b32 s3, v1
	s_mul_f32 s3, s3, 0x4f7ffffe
	s_delay_alu instid0(SALU_CYCLE_3) | instskip(NEXT) | instid1(SALU_CYCLE_3)
	s_cvt_u32_f32 s3, s3
	s_mul_i32 s7, s7, s3
	s_delay_alu instid0(SALU_CYCLE_1) | instskip(NEXT) | instid1(SALU_CYCLE_1)
	s_mul_hi_u32 s7, s3, s7
	s_add_co_i32 s3, s3, s7
	s_cmp_eq_u32 s24, 0
	s_cselect_b32 s4, s4, s6
	s_delay_alu instid0(SALU_CYCLE_1) | instskip(NEXT) | instid1(SALU_CYCLE_1)
	s_mul_hi_u32 s3, s4, s3
	s_mul_i32 s5, s3, s2
	s_add_co_i32 s6, s3, 1
	s_sub_co_i32 s5, s4, s5
	s_delay_alu instid0(SALU_CYCLE_1)
	s_sub_co_i32 s7, s5, s2
	s_cmp_ge_u32 s5, s2
	s_cselect_b32 s3, s6, s3
	s_cselect_b32 s5, s7, s5
	s_add_co_i32 s6, s3, 1
	s_cmp_ge_u32 s5, s2
	s_cselect_b32 s28, s6, s3
	s_abs_i32 s2, s31
	s_abs_i32 s7, s23
	s_cvt_f32_u32 s3, s2
	s_sub_co_i32 s5, 0, s2
	s_lshl_b32 s4, s4, 2
	s_mul_i32 s6, s28, s23
	v_rcp_iflag_f32_e32 v1, s3
	s_sub_co_i32 s33, s4, s6
	s_xor_b32 s4, s23, s31
	s_delay_alu instid0(SALU_CYCLE_1) | instskip(SKIP_1) | instid1(TRANS32_DEP_1)
	s_ashr_i32 s25, s4, 31
	v_nop
	v_readfirstlane_b32 s3, v1
	s_mul_f32 s3, s3, 0x4f7ffffe
	s_delay_alu instid0(SALU_CYCLE_3) | instskip(NEXT) | instid1(SALU_CYCLE_3)
	s_cvt_u32_f32 s3, s3
	s_mul_i32 s5, s5, s3
	s_delay_alu instid0(SALU_CYCLE_1) | instskip(NEXT) | instid1(SALU_CYCLE_1)
	s_mul_hi_u32 s5, s3, s5
	s_add_co_i32 s3, s3, s5
	s_delay_alu instid0(SALU_CYCLE_1) | instskip(NEXT) | instid1(SALU_CYCLE_1)
	s_mul_hi_u32 s3, s7, s3
	s_mul_i32 s5, s3, s2
	s_delay_alu instid0(SALU_CYCLE_1)
	s_sub_co_i32 s4, s7, s5
	s_add_co_i32 s5, s3, 1
	s_sub_co_i32 s6, s4, s2
	s_cmp_ge_u32 s4, s2
	s_cselect_b32 s3, s5, s3
	s_cselect_b32 s4, s6, s4
	s_add_co_i32 s5, s3, 1
	s_cmp_ge_u32 s4, s2
	s_cselect_b32 s2, s5, s3
	s_load_b512 s[4:19], s[0:1], 0x0
	s_xor_b32 s2, s2, s25
	s_mov_b32 s3, 0
	s_sub_co_i32 s29, s2, s25
	s_delay_alu instid0(SALU_CYCLE_1) | instskip(NEXT) | instid1(SALU_CYCLE_1)
	s_abs_i32 s38, s29
	s_cvt_f32_u32 s2, s38
	s_delay_alu instid0(SALU_CYCLE_3) | instskip(SKIP_1) | instid1(TRANS32_DEP_1)
	v_rcp_iflag_f32_e32 v1, s2
	v_nop
	v_readfirstlane_b32 s39, v1
	s_wait_kmcnt 0x0
	s_cmp_eq_u64 s[10:11], 0
	s_cbranch_scc1 .LBB13_2
; %bb.1:
	s_abs_i32 s2, s36
	s_abs_i32 s31, s28
	s_cvt_f32_u32 s25, s2
	s_sub_co_i32 s26, 0, s2
	s_delay_alu instid0(SALU_CYCLE_2) | instskip(SKIP_1) | instid1(TRANS32_DEP_1)
	v_rcp_iflag_f32_e32 v1, s25
	v_nop
	v_readfirstlane_b32 s25, v1
	s_mul_f32 s25, s25, 0x4f7ffffe
	s_delay_alu instid0(SALU_CYCLE_3) | instskip(NEXT) | instid1(SALU_CYCLE_3)
	s_cvt_u32_f32 s25, s25
	s_mul_i32 s26, s26, s25
	s_delay_alu instid0(SALU_CYCLE_1) | instskip(NEXT) | instid1(SALU_CYCLE_1)
	s_mul_hi_u32 s26, s25, s26
	s_add_co_i32 s25, s25, s26
	s_load_b64 s[26:27], s[0:1], 0xc8
	s_mul_hi_u32 s25, s31, s25
	s_delay_alu instid0(SALU_CYCLE_1) | instskip(NEXT) | instid1(SALU_CYCLE_1)
	s_mul_i32 s25, s25, s2
	s_sub_co_i32 s25, s31, s25
	s_ashr_i32 s31, s28, 31
	s_sub_co_i32 s34, s25, s2
	s_cmp_ge_u32 s25, s2
	s_cselect_b32 s25, s34, s25
	s_delay_alu instid0(SALU_CYCLE_1) | instskip(SKIP_2) | instid1(SALU_CYCLE_1)
	s_sub_co_i32 s34, s25, s2
	s_cmp_ge_u32 s25, s2
	s_cselect_b32 s2, s34, s25
	s_xor_b32 s2, s2, s31
	s_delay_alu instid0(SALU_CYCLE_1) | instskip(NEXT) | instid1(SALU_CYCLE_1)
	s_sub_co_i32 s34, s2, s31
	s_ashr_i32 s35, s34, 31
	s_wait_kmcnt 0x0
	s_mul_u64 s[26:27], s[26:27], s[34:35]
	s_delay_alu instid0(SALU_CYCLE_1)
	s_add_nc_u64 s[34:35], s[10:11], s[26:27]
.LBB13_2:
	s_bfe_u32 s2, ttmp6, 0x4000c
	v_dual_lshrrev_b32 v1, 10, v0 :: v_dual_mov_b32 v3, 0
	s_add_co_i32 s2, s2, 1
	s_and_b32 s10, ttmp6, 15
	s_mul_i32 s2, ttmp9, s2
	s_delay_alu instid0(VALU_DEP_1)
	v_bfe_u32 v1, v1, 1, 9
	s_add_co_i32 s10, s10, s2
	s_cmp_eq_u32 s24, 0
	v_bfe_u32 v6, v0, 10, 10
	s_cselect_b32 s25, ttmp9, s10
	s_clause 0x1
	s_load_b96 s[40:42], s[0:1], 0x70
	s_load_b32 s2, s[0:1], 0x40
	v_lshl_add_u32 v38, s25, 2, v1
	v_mul_u32_u24_e32 v40, 0x900, v6
	v_dual_mov_b32 v13, v3 :: v_dual_lshlrev_b32 v8, 1, v6
	s_delay_alu instid0(VALU_DEP_3) | instskip(NEXT) | instid1(VALU_DEP_1)
	v_mul_hi_u32 v1, s20, v38
	v_dual_add_nc_u32 v1, v38, v1 :: v_dual_bitop2_b32 v12, 2, v8 bitop3:0x40
	s_wait_kmcnt 0x0
	s_mul_i32 s20, s33, s41
	s_ashr_i32 s11, s41, 31
	s_mov_b32 s10, s41
	v_lshrrev_b32_e32 v1, s21, v1
	s_ashr_i32 s41, s40, 31
	s_lshr_b64 s[10:11], s[10:11], 2
	s_lshr_b64 s[26:27], s[40:41], 2
	s_ashr_i32 s21, s20, 31
	v_mul_lo_u32 v1, v1, s22
	v_mul_u64_e32 v[10:11], s[10:11], v[12:13]
	v_and_b32_e32 v13, 0x3ff, v0
	s_delay_alu instid0(VALU_DEP_1) | instskip(SKIP_2) | instid1(VALU_DEP_1)
	v_lshlrev_b32_e32 v0, 4, v13
	v_cmp_gt_u32_e32 vcc_lo, 16, v13
	v_dual_mov_b32 v1, v3 :: v_dual_sub_nc_u32 v2, v38, v1
	v_mul_u64_e32 v[4:5], s[26:27], v[2:3]
	s_mul_i32 s26, s28, s42
	s_delay_alu instid0(SALU_CYCLE_1) | instskip(NEXT) | instid1(SALU_CYCLE_1)
	s_ashr_i32 s27, s26, 31
	s_add_nc_u64 s[4:5], s[4:5], s[26:27]
	s_delay_alu instid0(SALU_CYCLE_1)
	s_add_nc_u64 s[4:5], s[4:5], s[20:21]
	s_delay_alu instid0(VALU_DEP_1) | instid1(SALU_CYCLE_1)
	v_lshl_add_u64 v[4:5], v[4:5], 2, s[4:5]
	s_delay_alu instid0(VALU_DEP_1) | instskip(NEXT) | instid1(VALU_DEP_1)
	v_add_nc_u64_e32 v[0:1], v[4:5], v[0:1]
	v_lshl_add_u64 v[4:5], v[10:11], 2, v[0:1]
	s_clause 0x3
	global_load_b128 v[14:17], v[4:5], off
	global_load_b128 v[18:21], v[4:5], off offset:512
	global_load_b128 v[22:25], v[4:5], off offset:1024
	;; [unrolled: 1-line block ×3, first 2 shown]
	s_wait_loadcnt 0x3
	v_fma_mixlo_f16 v10, s2, v14, 0
	v_fma_mixlo_f16 v11, s2, v15, 0
	v_fma_mixlo_f16 v14, s2, v16, 0
	v_fma_mixlo_f16 v15, s2, v17, 0
	s_wait_loadcnt 0x2
	v_fma_mixlo_f16 v16, s2, v18, 0
	v_fma_mixlo_f16 v17, s2, v19, 0
	v_fma_mixlo_f16 v18, s2, v20, 0
	v_fma_mixlo_f16 v19, s2, v21, 0
	;; [unrolled: 5-line block ×3, first 2 shown]
	s_wait_loadcnt 0x0
	v_fma_mixlo_f16 v24, s2, v26, 0
	v_fma_mixlo_f16 v25, s2, v27, 0
	v_dual_lshlrev_b32 v7, 3, v13 :: v_dual_lshlrev_b32 v11, 16, v11
	v_fma_mixlo_f16 v27, s2, v29, 0
	v_and_b32_e32 v10, 0xffff, v10
	v_dual_lshlrev_b32 v15, 16, v15 :: v_dual_lshlrev_b32 v17, 16, v17
	v_and_b32_e32 v14, 0xffff, v14
	v_and_b32_e32 v16, 0xffff, v16
	v_fma_mixlo_f16 v26, s2, v28, 0
	v_dual_lshlrev_b32 v19, 16, v19 :: v_dual_lshlrev_b32 v21, 16, v21
	v_and_b32_e32 v18, 0xffff, v18
	v_and_b32_e32 v20, 0xffff, v20
	v_dual_lshlrev_b32 v23, 16, v23 :: v_dual_lshlrev_b32 v25, 16, v25
	v_and_b32_e32 v24, 0xffff, v24
	v_dual_lshlrev_b32 v27, 16, v27 :: v_dual_bitop2_b32 v10, v11, v10 bitop3:0x54
	v_or3_b32 v11, v15, v14, 0
	v_or_b32_e32 v14, v17, v16
	v_and_b32_e32 v22, 0xffff, v22
	v_and_b32_e32 v26, 0xffff, v26
	v_or3_b32 v15, v19, v18, 0
	v_or_b32_e32 v16, v21, v20
	v_or_b32_e32 v18, v25, v24
	v_mad_u32_u24 v9, 0x900, v6, v7
	v_or3_b32 v10, 0, 0, v10
	v_or3_b32 v14, 0, 0, v14
	;; [unrolled: 1-line block ×6, first 2 shown]
	ds_store_2addr_b64 v9, v[10:11], v[14:15] offset1:32
	ds_store_2addr_b64 v9, v[16:17], v[18:19] offset0:64 offset1:96
	s_and_saveexec_b32 s4, vcc_lo
	s_cbranch_execz .LBB13_4
; %bb.3:
	global_load_b128 v[14:17], v[4:5], off offset:2048
	s_wait_loadcnt 0x0
	v_fma_mixlo_f16 v9, s2, v14, 0
	v_mov_b32_e32 v14, v17
	s_delay_alu instid0(VALU_DEP_2) | instskip(NEXT) | instid1(VALU_DEP_2)
	v_and_b32_e32 v9, 0xffff, v9
	v_pk_mul_f32 v[4:5], s[2:3], v[14:15] op_sel_hi:[0,1]
	s_delay_alu instid0(VALU_DEP_1) | instskip(SKIP_1) | instid1(VALU_DEP_2)
	v_cvt_pk_f16_f32 v4, v4, v5
	v_fma_mixlo_f16 v5, s2, v16, 0
	v_and_b32_e32 v10, 0xffff0000, v4
	s_delay_alu instid0(VALU_DEP_2) | instskip(NEXT) | instid1(VALU_DEP_2)
	v_and_b32_e32 v5, 0xffff, v5
	v_dual_lshlrev_b32 v4, 16, v4 :: v_dual_bitop2_b32 v9, v10, v9 bitop3:0x54
	s_delay_alu instid0(VALU_DEP_1) | instskip(NEXT) | instid1(VALU_DEP_2)
	v_or3_b32 v5, v4, v5, 0
	v_or3_b32 v4, 0, 0, v9
	v_add_nc_u32_e32 v9, v7, v40
	ds_store_b64 v9, v[4:5] offset:1024
.LBB13_4:
	s_or_b32 exec_lo, exec_lo, s4
	v_bitop3_b32 v4, v8, 3, 1 bitop3:0xc8
	v_dual_mov_b32 v5, v3 :: v_dual_bitop2_b32 v3, 1, v8 bitop3:0x54
	s_delay_alu instid0(VALU_DEP_1) | instskip(NEXT) | instid1(VALU_DEP_2)
	v_mul_u64_e32 v[4:5], s[10:11], v[4:5]
	v_mad_u32_u24 v30, 0x480, v3, v7
	s_delay_alu instid0(VALU_DEP_2)
	v_lshl_add_u64 v[0:1], v[4:5], 2, v[0:1]
	s_clause 0x3
	global_load_b128 v[14:17], v[0:1], off
	global_load_b128 v[18:21], v[0:1], off offset:512
	global_load_b128 v[22:25], v[0:1], off offset:1024
	;; [unrolled: 1-line block ×3, first 2 shown]
	s_wait_loadcnt 0x3
	v_fma_mixlo_f16 v4, s2, v14, 0
	v_fma_mixlo_f16 v5, s2, v15, 0
	;; [unrolled: 1-line block ×4, first 2 shown]
	s_wait_loadcnt 0x2
	v_fma_mixlo_f16 v10, s2, v18, 0
	v_fma_mixlo_f16 v11, s2, v19, 0
	;; [unrolled: 1-line block ×4, first 2 shown]
	s_wait_loadcnt 0x1
	v_fma_mixlo_f16 v16, s2, v22, 0
	v_fma_mixlo_f16 v17, s2, v23, 0
	s_wait_loadcnt 0x0
	v_fma_mixlo_f16 v20, s2, v26, 0
	v_fma_mixlo_f16 v21, s2, v27, 0
	v_dual_lshlrev_b32 v5, 16, v5 :: v_dual_lshlrev_b32 v11, 16, v11
	v_and_b32_e32 v4, 0xffff, v4
	v_dual_lshlrev_b32 v9, 16, v9 :: v_dual_lshlrev_b32 v15, 16, v15
	v_and_b32_e32 v8, 0xffff, v8
	v_and_b32_e32 v10, 0xffff, v10
	v_fma_mixlo_f16 v18, s2, v24, 0
	v_fma_mixlo_f16 v19, s2, v25, 0
	;; [unrolled: 1-line block ×4, first 2 shown]
	v_and_b32_e32 v14, 0xffff, v14
	s_delay_alu instid0(VALU_DEP_4) | instskip(SKIP_1) | instid1(VALU_DEP_4)
	v_dual_lshlrev_b32 v17, 16, v17 :: v_dual_lshlrev_b32 v19, 16, v19
	v_and_b32_e32 v16, 0xffff, v16
	v_dual_lshlrev_b32 v21, 16, v21 :: v_dual_lshlrev_b32 v23, 16, v23
	v_and_b32_e32 v20, 0xffff, v20
	v_or_b32_e32 v4, v5, v4
	v_or3_b32 v5, v9, v8, 0
	v_or_b32_e32 v8, v11, v10
	v_and_b32_e32 v18, 0xffff, v18
	v_and_b32_e32 v22, 0xffff, v22
	v_or3_b32 v9, v15, v14, 0
	v_or_b32_e32 v10, v17, v16
	v_or_b32_e32 v14, v21, v20
	v_or3_b32 v4, 0, 0, v4
	v_or3_b32 v8, 0, 0, v8
	;; [unrolled: 1-line block ×6, first 2 shown]
	ds_store_2addr_b64 v30, v[4:5], v[8:9] offset1:32
	ds_store_2addr_b64 v30, v[10:11], v[14:15] offset0:64 offset1:96
	s_and_saveexec_b32 s4, vcc_lo
	s_cbranch_execz .LBB13_6
; %bb.5:
	global_load_b128 v[8:11], v[0:1], off offset:2048
	v_mul_u32_u24_e32 v3, 0x480, v3
	s_delay_alu instid0(VALU_DEP_1) | instskip(SKIP_3) | instid1(VALU_DEP_2)
	v_add_nc_u32_e32 v3, v7, v3
	s_wait_loadcnt 0x0
	v_fma_mixlo_f16 v4, s2, v8, 0
	v_mov_b32_e32 v8, v11
	v_and_b32_e32 v4, 0xffff, v4
	s_delay_alu instid0(VALU_DEP_2) | instskip(NEXT) | instid1(VALU_DEP_1)
	v_pk_mul_f32 v[0:1], s[2:3], v[8:9] op_sel_hi:[0,1]
	v_cvt_pk_f16_f32 v0, v0, v1
	v_fma_mixlo_f16 v1, s2, v10, 0
	s_delay_alu instid0(VALU_DEP_2) | instskip(NEXT) | instid1(VALU_DEP_2)
	v_and_b32_e32 v5, 0xffff0000, v0
	v_and_b32_e32 v1, 0xffff, v1
	v_lshlrev_b32_e32 v0, 16, v0
	s_delay_alu instid0(VALU_DEP_3) | instskip(NEXT) | instid1(VALU_DEP_2)
	v_or_b32_e32 v4, v5, v4
	v_or3_b32 v1, v0, v1, 0
	s_delay_alu instid0(VALU_DEP_2)
	v_or3_b32 v0, 0, 0, v4
	ds_store_b64 v3, v[0:1] offset:1024
.LBB13_6:
	s_or_b32 exec_lo, exec_lo, s4
	s_cmp_eq_u64 s[14:15], 0
	s_wait_dscnt 0x0
	s_barrier_signal -1
	s_barrier_wait -1
	s_cbranch_scc1 .LBB13_8
; %bb.7:
	s_load_b32 s2, s[0:1], 0xd0
	s_wait_kmcnt 0x0
	s_mul_i32 s2, s2, s28
	s_delay_alu instid0(SALU_CYCLE_1)
	s_add_co_i32 s2, s2, s25
	s_load_b32 s30, s[14:15], s2 offset:0x0 scale_offset
.LBB13_8:
	s_wait_xcnt 0x0
	s_bfe_u32 s2, ttmp6, 0x40010
	s_and_b32 s4, ttmp7, 0xffff
	s_add_co_i32 s2, s2, 1
	s_bfe_u32 s5, ttmp6, 0x40004
	s_mul_i32 s2, s4, s2
	v_lshlrev_b32_e32 v39, 2, v13
	s_add_co_i32 s5, s5, s2
	s_cmp_eq_u32 s24, 0
	v_mbcnt_lo_u32_b32 v41, -1, 0
	s_cselect_b32 s31, s4, s5
	s_mov_b32 s2, 0
	s_lshl_b32 s10, s31, 6
	s_wait_kmcnt 0x0
	s_cmp_lt_i32 s10, s30
	s_cbranch_scc1 .LBB13_11
; %bb.9:
	v_mbcnt_lo_u32_b32 v1, -1, 0
	s_delay_alu instid0(VALU_DEP_1)
	v_dual_mov_b32 v0, 32 :: v_dual_bitop2_b32 v46, 16, v1 bitop3:0x14
	v_xor_b32_e32 v45, 8, v1
	v_xor_b32_e32 v44, 4, v1
	;; [unrolled: 1-line block ×4, first 2 shown]
	s_and_not1_b32 vcc_lo, exec_lo, s2
	s_cbranch_vccz .LBB13_12
; %bb.10:
	v_dual_mov_b32 v9, 0xfeffffff :: v_dual_mov_b32 v68, 0
	v_dual_mov_b32 v15, 0 :: v_dual_mov_b32 v74, 0
	;; [unrolled: 1-line block ×3, first 2 shown]
	s_delay_alu instid0(VALU_DEP_2)
	v_dual_mov_b32 v8, v9 :: v_dual_mov_b32 v14, v15
	v_dual_mov_b32 v73, 0 :: v_dual_mov_b32 v71, 0
	;; [unrolled: 1-line block ×7, first 2 shown]
	s_branch .LBB13_15
.LBB13_11:
                                        ; implicit-def: $vgpr1
                                        ; implicit-def: $vgpr0
                                        ; implicit-def: $vgpr46
                                        ; implicit-def: $vgpr45
                                        ; implicit-def: $vgpr44
                                        ; implicit-def: $vgpr43
                                        ; implicit-def: $vgpr42
.LBB13_12:
	s_clause 0x1
	s_load_b64 s[4:5], s[0:1], 0x8c
	s_load_b128 s[24:27], s[0:1], 0x98
	s_mul_f32 s2, s39, 0x4f7ffffe
	s_sub_co_i32 s11, 0, s38
	s_mov_b32 s15, s3
	s_load_b64 s[40:41], s[0:1], 0xa8
	s_cvt_u32_f32 s14, s2
	s_abs_i32 s2, s33
	s_ashr_i32 s20, s33, 31
	s_ashr_i32 s21, s29, 31
	s_mul_i32 s11, s11, s14
	s_ashr_i32 s29, s28, 31
	s_mul_hi_u32 s11, s14, s11
	s_xor_b32 s21, s20, s21
	s_add_co_i32 s14, s14, s11
	s_ashr_i32 s11, s37, 1
	s_mul_u64 s[14:15], s[2:3], s[14:15]
	v_dual_lshrrev_b32 v1, 3, v13 :: v_dual_bitop2_b32 v0, 28, v39 bitop3:0x40
	s_mul_i32 s3, s15, s38
	s_wait_kmcnt 0x0
	s_ashr_i32 s20, s4, 2
	s_sub_co_i32 s2, s2, s3
	s_ashr_i32 s14, s26, 2
	s_add_co_i32 s3, s15, 1
	s_sub_co_i32 s4, s2, s38
	s_cmp_ge_u32 s2, s38
	v_mul_lo_u32 v4, s14, v6
	s_cselect_b32 s3, s3, s15
	s_cselect_b32 s2, s4, s2
	s_add_co_i32 s4, s3, 1
	s_cmp_ge_u32 s2, s38
	v_lshl_add_u32 v1, v6, 2, v1
	s_cselect_b32 s2, s4, s3
	v_dual_lshlrev_b32 v3, 2, v0 :: v_dual_mov_b32 v19, 0
	s_xor_b32 s2, s2, s21
	s_delay_alu instid0(VALU_DEP_2)
	v_mul_lo_u32 v16, s20, v1
	s_sub_co_i32 s15, s2, s21
	s_mul_u64 s[2:3], s[24:25], s[28:29]
	s_mul_i32 s4, s15, s5
	s_add_nc_u64 s[2:3], s[6:7], s[2:3]
	s_mul_u64 s[6:7], s[40:41], s[28:29]
	s_mul_i32 s24, s15, s27
	v_dual_mov_b32 v8, 0xfeffffff :: v_dual_ashrrev_i32 v5, 31, v4
	s_ashr_i32 s5, s4, 31
	s_add_nc_u64 s[6:7], s[8:9], s[6:7]
	s_ashr_i32 s25, s24, 31
	v_mad_u32_u24 v1, 0x90, v1, v3
	v_dual_lshlrev_b32 v18, 2, v39 :: v_dual_ashrrev_i32 v17, 31, v16
	s_add_nc_u64 s[8:9], s[2:3], s[4:5]
	s_add_nc_u64 s[2:3], s[6:7], s[24:25]
	v_mad_u32 v50, v2, s11, v13
	v_lshl_add_u64 v[2:3], v[4:5], 2, s[2:3]
	v_dual_mov_b32 v60, v19 :: v_dual_add_nc_u32 v47, 0x4800, v1
	v_lshl_add_u32 v20, s20, 5, v16
	v_dual_mov_b32 v59, v19 :: v_dual_add_nc_u32 v48, 0x5a00, v1
	v_lshl_add_u32 v1, v6, 10, v18
	v_lshl_add_u32 v51, v6, 8, 0x6c00
	v_dual_mov_b32 v63, v19 :: v_dual_add_nc_u32 v54, 0x4800, v7
	s_movk_i32 s4, 0x4800
	v_add_nc_u64_e32 v[22:23], v[2:3], v[18:19]
	v_dual_ashrrev_i32 v21, 31, v20 :: v_dual_bitop2_b32 v46, 16, v41 bitop3:0x14
	v_mad_u32_u24 v49, 0x90, v13, s4
	v_dual_mov_b32 v61, v19 :: v_dual_add_nc_u32 v52, 0x4800, v1
	v_dual_mov_b32 v64, v19 :: v_dual_add_nc_u32 v53, 0x4a00, v1
	v_dual_lshlrev_b32 v18, 2, v0 :: v_dual_bitop2_b32 v45, 8, v41 bitop3:0x14
	v_dual_add_nc_u32 v55, v51, v39 :: v_dual_bitop2_b32 v44, 4, v41 bitop3:0x14
	v_dual_mov_b32 v65, v19 :: v_dual_bitop2_b32 v43, 2, v41 bitop3:0x14
	v_dual_mov_b32 v66, v19 :: v_dual_bitop2_b32 v42, 1, v41 bitop3:0x14
	v_dual_mov_b32 v67, v19 :: v_dual_add_nc_u32 v56, 0x800, v54
	v_dual_mov_b32 v62, v19 :: v_dual_add_nc_u32 v57, 0x1000, v54
	;; [unrolled: 1-line block ×3, first 2 shown]
	v_dual_mov_b32 v71, v19 :: v_dual_mov_b32 v73, v19
	v_dual_mov_b32 v70, v19 :: v_dual_mov_b32 v72, v19
	;; [unrolled: 1-line block ×4, first 2 shown]
	v_mov_b32_e32 v15, v19
	s_ashr_i32 s21, s20, 31
	s_ashr_i32 s15, s14, 31
	s_add_nc_u64 s[24:25], s[0:1], 0xd0
.LBB13_13:                              ; =>This Inner Loop Header: Depth=1
	s_ashr_i32 s11, s10, 31
	v_dual_add_nc_u32 v36, s10, v50 :: v_dual_mov_b32 v34, v9
	s_mul_u64 s[2:3], s[10:11], s[20:21]
	v_cmp_gt_i32_e32 vcc_lo, 32, v46
	s_lshl_b64 s[2:3], s[2:3], 2
	v_mov_b32_e32 v35, v8
	s_add_nc_u64 s[2:3], s[8:9], s[2:3]
	v_dual_mov_b32 v75, 0 :: v_dual_mov_b32 v76, 0
	v_lshl_add_u64 v[0:1], v[16:17], 2, s[2:3]
	v_lshl_add_u64 v[2:3], v[20:21], 2, s[2:3]
	v_dual_mov_b32 v77, 0 :: v_dual_mov_b32 v78, 0
	v_cndmask_b32_e32 v28, v41, v46, vcc_lo
	s_delay_alu instid0(VALU_DEP_4) | instskip(NEXT) | instid1(VALU_DEP_4)
	v_add_nc_u64_e32 v[24:25], v[0:1], v[18:19]
	v_add_nc_u64_e32 v[26:27], v[2:3], v[18:19]
	v_cmp_gt_i32_e32 vcc_lo, 32, v45
	s_or_b32 s4, s10, 16
	s_or_b32 s6, s10, 24
	s_clause 0x1
	global_load_b128 v[0:3], v[24:25], off
	global_load_b128 v[4:7], v[26:27], off
	v_cndmask_b32_e32 v29, v41, v45, vcc_lo
	v_cmp_gt_i32_e32 vcc_lo, 32, v44
	s_or_b32 s26, s10, 32
	s_ashr_i32 s5, s4, 31
	s_ashr_i32 s7, s6, 31
	;; [unrolled: 1-line block ×3, first 2 shown]
	v_cndmask_b32_e32 v30, v41, v44, vcc_lo
	v_cmp_gt_i32_e32 vcc_lo, 32, v43
	v_dual_lshlrev_b32 v79, 2, v28 :: v_dual_lshlrev_b32 v84, 2, v29
	s_mul_u64 s[42:43], s[4:5], s[14:15]
	s_mul_u64 s[4:5], s[6:7], s[14:15]
	v_cndmask_b32_e32 v31, v41, v43, vcc_lo
	v_cmp_gt_i32_e32 vcc_lo, 32, v42
	s_mul_u64 s[6:7], s[26:27], s[14:15]
	s_mul_u64 s[40:41], s[10:11], s[14:15]
	s_or_b32 s2, s10, 8
	v_lshl_add_u64 v[32:33], s[40:41], 2, v[22:23]
	v_cndmask_b32_e32 v37, v41, v42, vcc_lo
	v_dual_lshlrev_b32 v85, 2, v30 :: v_dual_lshlrev_b32 v86, 2, v31
	s_or_b32 s36, s10, 40
	s_ashr_i32 s3, s2, 31
	s_ashr_i32 s37, s36, 31
	s_mul_u64 s[40:41], s[2:3], s[14:15]
	s_mul_u64 s[2:3], s[36:37], s[14:15]
	v_lshl_add_u64 v[30:31], s[40:41], 2, v[22:23]
	v_lshl_add_u64 v[28:29], s[42:43], 2, v[22:23]
	s_or_b32 s38, s10, 48
	s_or_b32 s44, s10, 56
	s_ashr_i32 s39, s38, 31
	s_ashr_i32 s45, s44, 31
	s_mul_u64 s[26:27], s[38:39], s[14:15]
	s_mul_u64 s[36:37], s[44:45], s[14:15]
	s_wait_loadcnt 0x1
	ds_store_b128 v47, v[0:3]
	s_wait_loadcnt 0x0
	ds_store_b128 v48, v[4:7]
	s_wait_dscnt 0x0
	s_barrier_signal -1
	s_barrier_wait -1
	ds_load_b128 v[0:3], v49
	ds_load_b128 v[4:7], v40
	ds_load_b128 v[8:11], v40 offset:1152
	ds_load_b128 v[80:83], v49 offset:4608
	s_wait_dscnt 0x2
	;;#ASMSTART
	v_dot2_f32_f16 v75, v0, v4, v75
	;;#ASMEND
	;;#ASMSTART
	v_dot2_f32_f16 v75, v1, v5, v75
	;;#ASMEND
	;;#ASMSTART
	v_dot2_f32_f16 v75, v2, v6, v75
	;;#ASMEND
	;;#ASMSTART
	v_dot2_f32_f16 v75, v3, v7, v75
	;;#ASMEND
	s_wait_dscnt 0x1
	;;#ASMSTART
	v_dot2_f32_f16 v76, v0, v8, v76
	;;#ASMEND
	;;#ASMSTART
	v_dot2_f32_f16 v76, v1, v9, v76
	;;#ASMEND
	;;#ASMSTART
	v_dot2_f32_f16 v76, v2, v10, v76
	;;#ASMEND
	;;#ASMSTART
	v_dot2_f32_f16 v76, v3, v11, v76
	;;#ASMEND
	s_wait_dscnt 0x0
	;;#ASMSTART
	v_dot2_f32_f16 v77, v80, v4, v77
	;;#ASMEND
	;;#ASMSTART
	v_dot2_f32_f16 v77, v81, v5, v77
	;;#ASMEND
	;;#ASMSTART
	v_dot2_f32_f16 v77, v82, v6, v77
	;;#ASMEND
	;;#ASMSTART
	v_dot2_f32_f16 v77, v83, v7, v77
	;;#ASMEND
	;;#ASMSTART
	v_dot2_f32_f16 v78, v80, v8, v78
	;;#ASMEND
	;;#ASMSTART
	v_dot2_f32_f16 v78, v81, v9, v78
	;;#ASMEND
	;;#ASMSTART
	v_dot2_f32_f16 v78, v82, v10, v78
	;;#ASMEND
	;;#ASMSTART
	v_dot2_f32_f16 v78, v83, v11, v78
	;;#ASMEND
	ds_load_b128 v[0:3], v49 offset:16
	ds_load_b128 v[4:7], v40 offset:16
	ds_load_b128 v[8:11], v40 offset:1168
	ds_load_b128 v[80:83], v49 offset:4624
	s_wait_dscnt 0x2
	;;#ASMSTART
	v_dot2_f32_f16 v75, v0, v4, v75
	;;#ASMEND
	;;#ASMSTART
	v_dot2_f32_f16 v75, v1, v5, v75
	;;#ASMEND
	;;#ASMSTART
	v_dot2_f32_f16 v75, v2, v6, v75
	;;#ASMEND
	;;#ASMSTART
	v_dot2_f32_f16 v75, v3, v7, v75
	;;#ASMEND
	s_wait_dscnt 0x1
	;;#ASMSTART
	v_dot2_f32_f16 v76, v0, v8, v76
	;;#ASMEND
	;;#ASMSTART
	v_dot2_f32_f16 v76, v1, v9, v76
	;;#ASMEND
	;;#ASMSTART
	v_dot2_f32_f16 v76, v2, v10, v76
	;;#ASMEND
	;;#ASMSTART
	v_dot2_f32_f16 v76, v3, v11, v76
	;;#ASMEND
	s_wait_dscnt 0x0
	;;#ASMSTART
	v_dot2_f32_f16 v77, v80, v4, v77
	;;#ASMEND
	;;#ASMSTART
	v_dot2_f32_f16 v77, v81, v5, v77
	;;#ASMEND
	;;#ASMSTART
	v_dot2_f32_f16 v77, v82, v6, v77
	;;#ASMEND
	;;#ASMSTART
	v_dot2_f32_f16 v77, v83, v7, v77
	;;#ASMEND
	;;#ASMSTART
	v_dot2_f32_f16 v78, v80, v8, v78
	;;#ASMEND
	;;#ASMSTART
	v_dot2_f32_f16 v78, v81, v9, v78
	;;#ASMEND
	;;#ASMSTART
	v_dot2_f32_f16 v78, v82, v10, v78
	;;#ASMEND
	;;#ASMSTART
	v_dot2_f32_f16 v78, v83, v11, v78
	;;#ASMEND
	ds_load_b128 v[0:3], v49 offset:32
	ds_load_b128 v[4:7], v40 offset:32
	;; [unrolled: 55-line block ×7, first 2 shown]
	ds_load_b128 v[8:11], v40 offset:1264
	ds_load_b128 v[80:83], v49 offset:4720
	s_wait_dscnt 0x2
	;;#ASMSTART
	v_dot2_f32_f16 v75, v0, v4, v75
	;;#ASMEND
	;;#ASMSTART
	v_dot2_f32_f16 v75, v1, v5, v75
	;;#ASMEND
	;;#ASMSTART
	v_dot2_f32_f16 v75, v2, v6, v75
	;;#ASMEND
	;;#ASMSTART
	v_dot2_f32_f16 v75, v3, v7, v75
	;;#ASMEND
	s_wait_dscnt 0x1
	;;#ASMSTART
	v_dot2_f32_f16 v76, v0, v8, v76
	;;#ASMEND
	;;#ASMSTART
	v_dot2_f32_f16 v76, v1, v9, v76
	;;#ASMEND
	;;#ASMSTART
	v_dot2_f32_f16 v76, v2, v10, v76
	;;#ASMEND
	;;#ASMSTART
	v_dot2_f32_f16 v76, v3, v11, v76
	;;#ASMEND
	;; [unrolled: 13-line block ×3, first 2 shown]
	;;#ASMSTART
	v_dot2_f32_f16 v78, v80, v8, v78
	;;#ASMEND
	;;#ASMSTART
	v_dot2_f32_f16 v78, v81, v9, v78
	;;#ASMEND
	;; [unrolled: 3-line block ×4, first 2 shown]
	s_barrier_signal -1
	s_barrier_wait -1
	s_clause 0x1
	global_load_b128 v[0:3], v[24:25], off offset:128
	global_load_b128 v[4:7], v[26:27], off offset:128
	s_wait_loadcnt 0x1
	ds_store_b128 v47, v[0:3]
	s_wait_loadcnt 0x0
	ds_store_b128 v48, v[4:7]
	s_wait_dscnt 0x0
	s_barrier_signal -1
	s_barrier_wait -1
	ds_load_b128 v[0:3], v49
	ds_load_b128 v[4:7], v40 offset:128
	ds_load_b128 v[8:11], v40 offset:1280
	ds_load_b128 v[80:83], v49 offset:4608
	s_wait_dscnt 0x2
	;;#ASMSTART
	v_dot2_f32_f16 v75, v0, v4, v75
	;;#ASMEND
	;;#ASMSTART
	v_dot2_f32_f16 v75, v1, v5, v75
	;;#ASMEND
	;;#ASMSTART
	v_dot2_f32_f16 v75, v2, v6, v75
	;;#ASMEND
	;;#ASMSTART
	v_dot2_f32_f16 v75, v3, v7, v75
	;;#ASMEND
	s_wait_dscnt 0x1
	;;#ASMSTART
	v_dot2_f32_f16 v76, v0, v8, v76
	;;#ASMEND
	;;#ASMSTART
	v_dot2_f32_f16 v76, v1, v9, v76
	;;#ASMEND
	;;#ASMSTART
	v_dot2_f32_f16 v76, v2, v10, v76
	;;#ASMEND
	;;#ASMSTART
	v_dot2_f32_f16 v76, v3, v11, v76
	;;#ASMEND
	s_wait_dscnt 0x0
	;;#ASMSTART
	v_dot2_f32_f16 v77, v80, v4, v77
	;;#ASMEND
	;;#ASMSTART
	v_dot2_f32_f16 v77, v81, v5, v77
	;;#ASMEND
	;;#ASMSTART
	v_dot2_f32_f16 v77, v82, v6, v77
	;;#ASMEND
	;;#ASMSTART
	v_dot2_f32_f16 v77, v83, v7, v77
	;;#ASMEND
	;;#ASMSTART
	v_dot2_f32_f16 v78, v80, v8, v78
	;;#ASMEND
	;;#ASMSTART
	v_dot2_f32_f16 v78, v81, v9, v78
	;;#ASMEND
	;;#ASMSTART
	v_dot2_f32_f16 v78, v82, v10, v78
	;;#ASMEND
	;;#ASMSTART
	v_dot2_f32_f16 v78, v83, v11, v78
	;;#ASMEND
	ds_load_b128 v[0:3], v49 offset:16
	ds_load_b128 v[4:7], v40 offset:144
	ds_load_b128 v[8:11], v40 offset:1296
	ds_load_b128 v[80:83], v49 offset:4624
	s_wait_dscnt 0x2
	;;#ASMSTART
	v_dot2_f32_f16 v75, v0, v4, v75
	;;#ASMEND
	;;#ASMSTART
	v_dot2_f32_f16 v75, v1, v5, v75
	;;#ASMEND
	;;#ASMSTART
	v_dot2_f32_f16 v75, v2, v6, v75
	;;#ASMEND
	;;#ASMSTART
	v_dot2_f32_f16 v75, v3, v7, v75
	;;#ASMEND
	s_wait_dscnt 0x1
	;;#ASMSTART
	v_dot2_f32_f16 v76, v0, v8, v76
	;;#ASMEND
	;;#ASMSTART
	v_dot2_f32_f16 v76, v1, v9, v76
	;;#ASMEND
	;;#ASMSTART
	v_dot2_f32_f16 v76, v2, v10, v76
	;;#ASMEND
	;;#ASMSTART
	v_dot2_f32_f16 v76, v3, v11, v76
	;;#ASMEND
	s_wait_dscnt 0x0
	;;#ASMSTART
	v_dot2_f32_f16 v77, v80, v4, v77
	;;#ASMEND
	;;#ASMSTART
	v_dot2_f32_f16 v77, v81, v5, v77
	;;#ASMEND
	;;#ASMSTART
	v_dot2_f32_f16 v77, v82, v6, v77
	;;#ASMEND
	;;#ASMSTART
	v_dot2_f32_f16 v77, v83, v7, v77
	;;#ASMEND
	;;#ASMSTART
	v_dot2_f32_f16 v78, v80, v8, v78
	;;#ASMEND
	;;#ASMSTART
	v_dot2_f32_f16 v78, v81, v9, v78
	;;#ASMEND
	;;#ASMSTART
	v_dot2_f32_f16 v78, v82, v10, v78
	;;#ASMEND
	;;#ASMSTART
	v_dot2_f32_f16 v78, v83, v11, v78
	;;#ASMEND
	ds_load_b128 v[0:3], v49 offset:32
	;; [unrolled: 55-line block ×7, first 2 shown]
	ds_load_b128 v[4:7], v40 offset:240
	ds_load_b128 v[8:11], v40 offset:1392
	;; [unrolled: 1-line block ×3, first 2 shown]
	s_wait_dscnt 0x2
	;;#ASMSTART
	v_dot2_f32_f16 v75, v0, v4, v75
	;;#ASMEND
	;;#ASMSTART
	v_dot2_f32_f16 v75, v1, v5, v75
	;;#ASMEND
	;;#ASMSTART
	v_dot2_f32_f16 v75, v2, v6, v75
	;;#ASMEND
	;;#ASMSTART
	v_dot2_f32_f16 v75, v3, v7, v75
	;;#ASMEND
	s_wait_dscnt 0x1
	;;#ASMSTART
	v_dot2_f32_f16 v76, v0, v8, v76
	;;#ASMEND
	;;#ASMSTART
	v_dot2_f32_f16 v76, v1, v9, v76
	;;#ASMEND
	;;#ASMSTART
	v_dot2_f32_f16 v76, v2, v10, v76
	;;#ASMEND
	;;#ASMSTART
	v_dot2_f32_f16 v76, v3, v11, v76
	;;#ASMEND
	;; [unrolled: 13-line block ×3, first 2 shown]
	;;#ASMSTART
	v_dot2_f32_f16 v78, v80, v8, v78
	;;#ASMEND
	;;#ASMSTART
	v_dot2_f32_f16 v78, v81, v9, v78
	;;#ASMEND
	;; [unrolled: 3-line block ×4, first 2 shown]
	s_barrier_signal -1
	s_barrier_wait -1
	s_clause 0x1
	global_load_b128 v[0:3], v[24:25], off offset:256
	global_load_b128 v[4:7], v[26:27], off offset:256
	s_wait_loadcnt 0x1
	ds_store_b128 v47, v[0:3]
	s_wait_loadcnt 0x0
	ds_store_b128 v48, v[4:7]
	s_wait_dscnt 0x0
	s_barrier_signal -1
	s_barrier_wait -1
	ds_load_b128 v[0:3], v49
	ds_load_b128 v[4:7], v40 offset:256
	ds_load_b128 v[8:11], v40 offset:1408
	ds_load_b128 v[80:83], v49 offset:4608
	s_wait_dscnt 0x2
	;;#ASMSTART
	v_dot2_f32_f16 v75, v0, v4, v75
	;;#ASMEND
	;;#ASMSTART
	v_dot2_f32_f16 v75, v1, v5, v75
	;;#ASMEND
	;;#ASMSTART
	v_dot2_f32_f16 v75, v2, v6, v75
	;;#ASMEND
	;;#ASMSTART
	v_dot2_f32_f16 v75, v3, v7, v75
	;;#ASMEND
	s_wait_dscnt 0x1
	;;#ASMSTART
	v_dot2_f32_f16 v76, v0, v8, v76
	;;#ASMEND
	;;#ASMSTART
	v_dot2_f32_f16 v76, v1, v9, v76
	;;#ASMEND
	;;#ASMSTART
	v_dot2_f32_f16 v76, v2, v10, v76
	;;#ASMEND
	;;#ASMSTART
	v_dot2_f32_f16 v76, v3, v11, v76
	;;#ASMEND
	s_wait_dscnt 0x0
	;;#ASMSTART
	v_dot2_f32_f16 v77, v80, v4, v77
	;;#ASMEND
	;;#ASMSTART
	v_dot2_f32_f16 v77, v81, v5, v77
	;;#ASMEND
	;;#ASMSTART
	v_dot2_f32_f16 v77, v82, v6, v77
	;;#ASMEND
	;;#ASMSTART
	v_dot2_f32_f16 v77, v83, v7, v77
	;;#ASMEND
	;;#ASMSTART
	v_dot2_f32_f16 v78, v80, v8, v78
	;;#ASMEND
	;;#ASMSTART
	v_dot2_f32_f16 v78, v81, v9, v78
	;;#ASMEND
	;;#ASMSTART
	v_dot2_f32_f16 v78, v82, v10, v78
	;;#ASMEND
	;;#ASMSTART
	v_dot2_f32_f16 v78, v83, v11, v78
	;;#ASMEND
	ds_load_b128 v[0:3], v49 offset:16
	ds_load_b128 v[4:7], v40 offset:272
	ds_load_b128 v[8:11], v40 offset:1424
	ds_load_b128 v[80:83], v49 offset:4624
	s_wait_dscnt 0x2
	;;#ASMSTART
	v_dot2_f32_f16 v75, v0, v4, v75
	;;#ASMEND
	;;#ASMSTART
	v_dot2_f32_f16 v75, v1, v5, v75
	;;#ASMEND
	;;#ASMSTART
	v_dot2_f32_f16 v75, v2, v6, v75
	;;#ASMEND
	;;#ASMSTART
	v_dot2_f32_f16 v75, v3, v7, v75
	;;#ASMEND
	s_wait_dscnt 0x1
	;;#ASMSTART
	v_dot2_f32_f16 v76, v0, v8, v76
	;;#ASMEND
	;;#ASMSTART
	v_dot2_f32_f16 v76, v1, v9, v76
	;;#ASMEND
	;;#ASMSTART
	v_dot2_f32_f16 v76, v2, v10, v76
	;;#ASMEND
	;;#ASMSTART
	v_dot2_f32_f16 v76, v3, v11, v76
	;;#ASMEND
	s_wait_dscnt 0x0
	;;#ASMSTART
	v_dot2_f32_f16 v77, v80, v4, v77
	;;#ASMEND
	;;#ASMSTART
	v_dot2_f32_f16 v77, v81, v5, v77
	;;#ASMEND
	;;#ASMSTART
	v_dot2_f32_f16 v77, v82, v6, v77
	;;#ASMEND
	;;#ASMSTART
	v_dot2_f32_f16 v77, v83, v7, v77
	;;#ASMEND
	;;#ASMSTART
	v_dot2_f32_f16 v78, v80, v8, v78
	;;#ASMEND
	;;#ASMSTART
	v_dot2_f32_f16 v78, v81, v9, v78
	;;#ASMEND
	;;#ASMSTART
	v_dot2_f32_f16 v78, v82, v10, v78
	;;#ASMEND
	;;#ASMSTART
	v_dot2_f32_f16 v78, v83, v11, v78
	;;#ASMEND
	ds_load_b128 v[0:3], v49 offset:32
	;; [unrolled: 55-line block ×7, first 2 shown]
	ds_load_b128 v[4:7], v40 offset:368
	ds_load_b128 v[8:11], v40 offset:1520
	;; [unrolled: 1-line block ×3, first 2 shown]
	s_wait_dscnt 0x2
	;;#ASMSTART
	v_dot2_f32_f16 v75, v0, v4, v75
	;;#ASMEND
	;;#ASMSTART
	v_dot2_f32_f16 v75, v1, v5, v75
	;;#ASMEND
	;;#ASMSTART
	v_dot2_f32_f16 v75, v2, v6, v75
	;;#ASMEND
	;;#ASMSTART
	v_dot2_f32_f16 v75, v3, v7, v75
	;;#ASMEND
	s_wait_dscnt 0x1
	;;#ASMSTART
	v_dot2_f32_f16 v76, v0, v8, v76
	;;#ASMEND
	;;#ASMSTART
	v_dot2_f32_f16 v76, v1, v9, v76
	;;#ASMEND
	;;#ASMSTART
	v_dot2_f32_f16 v76, v2, v10, v76
	;;#ASMEND
	;;#ASMSTART
	v_dot2_f32_f16 v76, v3, v11, v76
	;;#ASMEND
	;; [unrolled: 13-line block ×3, first 2 shown]
	;;#ASMSTART
	v_dot2_f32_f16 v78, v80, v8, v78
	;;#ASMEND
	;;#ASMSTART
	v_dot2_f32_f16 v78, v81, v9, v78
	;;#ASMEND
	;; [unrolled: 3-line block ×4, first 2 shown]
	s_barrier_signal -1
	s_barrier_wait -1
	s_clause 0x1
	global_load_b128 v[0:3], v[24:25], off offset:384
	global_load_b128 v[4:7], v[26:27], off offset:384
	s_wait_loadcnt 0x1
	ds_store_b128 v47, v[0:3]
	s_wait_loadcnt 0x0
	ds_store_b128 v48, v[4:7]
	s_wait_dscnt 0x0
	s_barrier_signal -1
	s_barrier_wait -1
	ds_load_b128 v[0:3], v49
	ds_load_b128 v[4:7], v40 offset:384
	ds_load_b128 v[8:11], v40 offset:1536
	ds_load_b128 v[80:83], v49 offset:4608
	s_wait_dscnt 0x2
	;;#ASMSTART
	v_dot2_f32_f16 v75, v0, v4, v75
	;;#ASMEND
	;;#ASMSTART
	v_dot2_f32_f16 v75, v1, v5, v75
	;;#ASMEND
	;;#ASMSTART
	v_dot2_f32_f16 v75, v2, v6, v75
	;;#ASMEND
	;;#ASMSTART
	v_dot2_f32_f16 v75, v3, v7, v75
	;;#ASMEND
	s_wait_dscnt 0x1
	;;#ASMSTART
	v_dot2_f32_f16 v76, v0, v8, v76
	;;#ASMEND
	;;#ASMSTART
	v_dot2_f32_f16 v76, v1, v9, v76
	;;#ASMEND
	;;#ASMSTART
	v_dot2_f32_f16 v76, v2, v10, v76
	;;#ASMEND
	;;#ASMSTART
	v_dot2_f32_f16 v76, v3, v11, v76
	;;#ASMEND
	s_wait_dscnt 0x0
	;;#ASMSTART
	v_dot2_f32_f16 v77, v80, v4, v77
	;;#ASMEND
	;;#ASMSTART
	v_dot2_f32_f16 v77, v81, v5, v77
	;;#ASMEND
	;;#ASMSTART
	v_dot2_f32_f16 v77, v82, v6, v77
	;;#ASMEND
	;;#ASMSTART
	v_dot2_f32_f16 v77, v83, v7, v77
	;;#ASMEND
	;;#ASMSTART
	v_dot2_f32_f16 v78, v80, v8, v78
	;;#ASMEND
	;;#ASMSTART
	v_dot2_f32_f16 v78, v81, v9, v78
	;;#ASMEND
	;;#ASMSTART
	v_dot2_f32_f16 v78, v82, v10, v78
	;;#ASMEND
	;;#ASMSTART
	v_dot2_f32_f16 v78, v83, v11, v78
	;;#ASMEND
	ds_load_b128 v[0:3], v49 offset:16
	ds_load_b128 v[4:7], v40 offset:400
	ds_load_b128 v[8:11], v40 offset:1552
	ds_load_b128 v[80:83], v49 offset:4624
	s_wait_dscnt 0x2
	;;#ASMSTART
	v_dot2_f32_f16 v75, v0, v4, v75
	;;#ASMEND
	;;#ASMSTART
	v_dot2_f32_f16 v75, v1, v5, v75
	;;#ASMEND
	;;#ASMSTART
	v_dot2_f32_f16 v75, v2, v6, v75
	;;#ASMEND
	;;#ASMSTART
	v_dot2_f32_f16 v75, v3, v7, v75
	;;#ASMEND
	s_wait_dscnt 0x1
	;;#ASMSTART
	v_dot2_f32_f16 v76, v0, v8, v76
	;;#ASMEND
	;;#ASMSTART
	v_dot2_f32_f16 v76, v1, v9, v76
	;;#ASMEND
	;;#ASMSTART
	v_dot2_f32_f16 v76, v2, v10, v76
	;;#ASMEND
	;;#ASMSTART
	v_dot2_f32_f16 v76, v3, v11, v76
	;;#ASMEND
	s_wait_dscnt 0x0
	;;#ASMSTART
	v_dot2_f32_f16 v77, v80, v4, v77
	;;#ASMEND
	;;#ASMSTART
	v_dot2_f32_f16 v77, v81, v5, v77
	;;#ASMEND
	;;#ASMSTART
	v_dot2_f32_f16 v77, v82, v6, v77
	;;#ASMEND
	;;#ASMSTART
	v_dot2_f32_f16 v77, v83, v7, v77
	;;#ASMEND
	;;#ASMSTART
	v_dot2_f32_f16 v78, v80, v8, v78
	;;#ASMEND
	;;#ASMSTART
	v_dot2_f32_f16 v78, v81, v9, v78
	;;#ASMEND
	;;#ASMSTART
	v_dot2_f32_f16 v78, v82, v10, v78
	;;#ASMEND
	;;#ASMSTART
	v_dot2_f32_f16 v78, v83, v11, v78
	;;#ASMEND
	ds_load_b128 v[0:3], v49 offset:32
	;; [unrolled: 55-line block ×7, first 2 shown]
	ds_load_b128 v[4:7], v40 offset:496
	ds_load_b128 v[8:11], v40 offset:1648
	;; [unrolled: 1-line block ×3, first 2 shown]
	s_wait_dscnt 0x2
	;;#ASMSTART
	v_dot2_f32_f16 v75, v0, v4, v75
	;;#ASMEND
	;;#ASMSTART
	v_dot2_f32_f16 v75, v1, v5, v75
	;;#ASMEND
	;;#ASMSTART
	v_dot2_f32_f16 v75, v2, v6, v75
	;;#ASMEND
	;;#ASMSTART
	v_dot2_f32_f16 v75, v3, v7, v75
	;;#ASMEND
	s_wait_dscnt 0x1
	;;#ASMSTART
	v_dot2_f32_f16 v76, v0, v8, v76
	;;#ASMEND
	;;#ASMSTART
	v_dot2_f32_f16 v76, v1, v9, v76
	;;#ASMEND
	;;#ASMSTART
	v_dot2_f32_f16 v76, v2, v10, v76
	;;#ASMEND
	;;#ASMSTART
	v_dot2_f32_f16 v76, v3, v11, v76
	;;#ASMEND
	;; [unrolled: 13-line block ×3, first 2 shown]
	;;#ASMSTART
	v_dot2_f32_f16 v78, v80, v8, v78
	;;#ASMEND
	;;#ASMSTART
	v_dot2_f32_f16 v78, v81, v9, v78
	;;#ASMEND
	;; [unrolled: 3-line block ×4, first 2 shown]
	s_barrier_signal -1
	s_barrier_wait -1
	s_clause 0x1
	global_load_b128 v[0:3], v[24:25], off offset:512
	global_load_b128 v[4:7], v[26:27], off offset:512
	s_wait_loadcnt 0x1
	ds_store_b128 v47, v[0:3]
	s_wait_loadcnt 0x0
	ds_store_b128 v48, v[4:7]
	s_wait_dscnt 0x0
	s_barrier_signal -1
	s_barrier_wait -1
	ds_load_b128 v[0:3], v49
	ds_load_b128 v[4:7], v40 offset:512
	ds_load_b128 v[8:11], v40 offset:1664
	ds_load_b128 v[80:83], v49 offset:4608
	s_wait_dscnt 0x2
	;;#ASMSTART
	v_dot2_f32_f16 v75, v0, v4, v75
	;;#ASMEND
	;;#ASMSTART
	v_dot2_f32_f16 v75, v1, v5, v75
	;;#ASMEND
	;;#ASMSTART
	v_dot2_f32_f16 v75, v2, v6, v75
	;;#ASMEND
	;;#ASMSTART
	v_dot2_f32_f16 v75, v3, v7, v75
	;;#ASMEND
	s_wait_dscnt 0x1
	;;#ASMSTART
	v_dot2_f32_f16 v76, v0, v8, v76
	;;#ASMEND
	;;#ASMSTART
	v_dot2_f32_f16 v76, v1, v9, v76
	;;#ASMEND
	;;#ASMSTART
	v_dot2_f32_f16 v76, v2, v10, v76
	;;#ASMEND
	;;#ASMSTART
	v_dot2_f32_f16 v76, v3, v11, v76
	;;#ASMEND
	s_wait_dscnt 0x0
	;;#ASMSTART
	v_dot2_f32_f16 v77, v80, v4, v77
	;;#ASMEND
	;;#ASMSTART
	v_dot2_f32_f16 v77, v81, v5, v77
	;;#ASMEND
	;;#ASMSTART
	v_dot2_f32_f16 v77, v82, v6, v77
	;;#ASMEND
	;;#ASMSTART
	v_dot2_f32_f16 v77, v83, v7, v77
	;;#ASMEND
	;;#ASMSTART
	v_dot2_f32_f16 v78, v80, v8, v78
	;;#ASMEND
	;;#ASMSTART
	v_dot2_f32_f16 v78, v81, v9, v78
	;;#ASMEND
	;;#ASMSTART
	v_dot2_f32_f16 v78, v82, v10, v78
	;;#ASMEND
	;;#ASMSTART
	v_dot2_f32_f16 v78, v83, v11, v78
	;;#ASMEND
	ds_load_b128 v[0:3], v49 offset:16
	ds_load_b128 v[4:7], v40 offset:528
	ds_load_b128 v[8:11], v40 offset:1680
	ds_load_b128 v[80:83], v49 offset:4624
	s_wait_dscnt 0x2
	;;#ASMSTART
	v_dot2_f32_f16 v75, v0, v4, v75
	;;#ASMEND
	;;#ASMSTART
	v_dot2_f32_f16 v75, v1, v5, v75
	;;#ASMEND
	;;#ASMSTART
	v_dot2_f32_f16 v75, v2, v6, v75
	;;#ASMEND
	;;#ASMSTART
	v_dot2_f32_f16 v75, v3, v7, v75
	;;#ASMEND
	s_wait_dscnt 0x1
	;;#ASMSTART
	v_dot2_f32_f16 v76, v0, v8, v76
	;;#ASMEND
	;;#ASMSTART
	v_dot2_f32_f16 v76, v1, v9, v76
	;;#ASMEND
	;;#ASMSTART
	v_dot2_f32_f16 v76, v2, v10, v76
	;;#ASMEND
	;;#ASMSTART
	v_dot2_f32_f16 v76, v3, v11, v76
	;;#ASMEND
	s_wait_dscnt 0x0
	;;#ASMSTART
	v_dot2_f32_f16 v77, v80, v4, v77
	;;#ASMEND
	;;#ASMSTART
	v_dot2_f32_f16 v77, v81, v5, v77
	;;#ASMEND
	;;#ASMSTART
	v_dot2_f32_f16 v77, v82, v6, v77
	;;#ASMEND
	;;#ASMSTART
	v_dot2_f32_f16 v77, v83, v7, v77
	;;#ASMEND
	;;#ASMSTART
	v_dot2_f32_f16 v78, v80, v8, v78
	;;#ASMEND
	;;#ASMSTART
	v_dot2_f32_f16 v78, v81, v9, v78
	;;#ASMEND
	;;#ASMSTART
	v_dot2_f32_f16 v78, v82, v10, v78
	;;#ASMEND
	;;#ASMSTART
	v_dot2_f32_f16 v78, v83, v11, v78
	;;#ASMEND
	ds_load_b128 v[0:3], v49 offset:32
	;; [unrolled: 55-line block ×7, first 2 shown]
	ds_load_b128 v[4:7], v40 offset:624
	ds_load_b128 v[8:11], v40 offset:1776
	;; [unrolled: 1-line block ×3, first 2 shown]
	s_wait_dscnt 0x2
	;;#ASMSTART
	v_dot2_f32_f16 v75, v0, v4, v75
	;;#ASMEND
	;;#ASMSTART
	v_dot2_f32_f16 v75, v1, v5, v75
	;;#ASMEND
	;;#ASMSTART
	v_dot2_f32_f16 v75, v2, v6, v75
	;;#ASMEND
	;;#ASMSTART
	v_dot2_f32_f16 v75, v3, v7, v75
	;;#ASMEND
	s_wait_dscnt 0x1
	;;#ASMSTART
	v_dot2_f32_f16 v76, v0, v8, v76
	;;#ASMEND
	;;#ASMSTART
	v_dot2_f32_f16 v76, v1, v9, v76
	;;#ASMEND
	;;#ASMSTART
	v_dot2_f32_f16 v76, v2, v10, v76
	;;#ASMEND
	;;#ASMSTART
	v_dot2_f32_f16 v76, v3, v11, v76
	;;#ASMEND
	;; [unrolled: 13-line block ×3, first 2 shown]
	;;#ASMSTART
	v_dot2_f32_f16 v78, v80, v8, v78
	;;#ASMEND
	;;#ASMSTART
	v_dot2_f32_f16 v78, v81, v9, v78
	;;#ASMEND
	;; [unrolled: 3-line block ×4, first 2 shown]
	s_barrier_signal -1
	s_barrier_wait -1
	s_clause 0x1
	global_load_b128 v[0:3], v[24:25], off offset:640
	global_load_b128 v[4:7], v[26:27], off offset:640
	s_wait_loadcnt 0x1
	ds_store_b128 v47, v[0:3]
	s_wait_loadcnt 0x0
	ds_store_b128 v48, v[4:7]
	s_wait_dscnt 0x0
	s_barrier_signal -1
	s_barrier_wait -1
	ds_load_b128 v[0:3], v49
	ds_load_b128 v[4:7], v40 offset:640
	ds_load_b128 v[8:11], v40 offset:1792
	ds_load_b128 v[80:83], v49 offset:4608
	s_wait_dscnt 0x2
	;;#ASMSTART
	v_dot2_f32_f16 v75, v0, v4, v75
	;;#ASMEND
	;;#ASMSTART
	v_dot2_f32_f16 v75, v1, v5, v75
	;;#ASMEND
	;;#ASMSTART
	v_dot2_f32_f16 v75, v2, v6, v75
	;;#ASMEND
	;;#ASMSTART
	v_dot2_f32_f16 v75, v3, v7, v75
	;;#ASMEND
	s_wait_dscnt 0x1
	;;#ASMSTART
	v_dot2_f32_f16 v76, v0, v8, v76
	;;#ASMEND
	;;#ASMSTART
	v_dot2_f32_f16 v76, v1, v9, v76
	;;#ASMEND
	;;#ASMSTART
	v_dot2_f32_f16 v76, v2, v10, v76
	;;#ASMEND
	;;#ASMSTART
	v_dot2_f32_f16 v76, v3, v11, v76
	;;#ASMEND
	s_wait_dscnt 0x0
	;;#ASMSTART
	v_dot2_f32_f16 v77, v80, v4, v77
	;;#ASMEND
	;;#ASMSTART
	v_dot2_f32_f16 v77, v81, v5, v77
	;;#ASMEND
	;;#ASMSTART
	v_dot2_f32_f16 v77, v82, v6, v77
	;;#ASMEND
	;;#ASMSTART
	v_dot2_f32_f16 v77, v83, v7, v77
	;;#ASMEND
	;;#ASMSTART
	v_dot2_f32_f16 v78, v80, v8, v78
	;;#ASMEND
	;;#ASMSTART
	v_dot2_f32_f16 v78, v81, v9, v78
	;;#ASMEND
	;;#ASMSTART
	v_dot2_f32_f16 v78, v82, v10, v78
	;;#ASMEND
	;;#ASMSTART
	v_dot2_f32_f16 v78, v83, v11, v78
	;;#ASMEND
	ds_load_b128 v[0:3], v49 offset:16
	ds_load_b128 v[4:7], v40 offset:656
	ds_load_b128 v[8:11], v40 offset:1808
	ds_load_b128 v[80:83], v49 offset:4624
	s_wait_dscnt 0x2
	;;#ASMSTART
	v_dot2_f32_f16 v75, v0, v4, v75
	;;#ASMEND
	;;#ASMSTART
	v_dot2_f32_f16 v75, v1, v5, v75
	;;#ASMEND
	;;#ASMSTART
	v_dot2_f32_f16 v75, v2, v6, v75
	;;#ASMEND
	;;#ASMSTART
	v_dot2_f32_f16 v75, v3, v7, v75
	;;#ASMEND
	s_wait_dscnt 0x1
	;;#ASMSTART
	v_dot2_f32_f16 v76, v0, v8, v76
	;;#ASMEND
	;;#ASMSTART
	v_dot2_f32_f16 v76, v1, v9, v76
	;;#ASMEND
	;;#ASMSTART
	v_dot2_f32_f16 v76, v2, v10, v76
	;;#ASMEND
	;;#ASMSTART
	v_dot2_f32_f16 v76, v3, v11, v76
	;;#ASMEND
	s_wait_dscnt 0x0
	;;#ASMSTART
	v_dot2_f32_f16 v77, v80, v4, v77
	;;#ASMEND
	;;#ASMSTART
	v_dot2_f32_f16 v77, v81, v5, v77
	;;#ASMEND
	;;#ASMSTART
	v_dot2_f32_f16 v77, v82, v6, v77
	;;#ASMEND
	;;#ASMSTART
	v_dot2_f32_f16 v77, v83, v7, v77
	;;#ASMEND
	;;#ASMSTART
	v_dot2_f32_f16 v78, v80, v8, v78
	;;#ASMEND
	;;#ASMSTART
	v_dot2_f32_f16 v78, v81, v9, v78
	;;#ASMEND
	;;#ASMSTART
	v_dot2_f32_f16 v78, v82, v10, v78
	;;#ASMEND
	;;#ASMSTART
	v_dot2_f32_f16 v78, v83, v11, v78
	;;#ASMEND
	ds_load_b128 v[0:3], v49 offset:32
	;; [unrolled: 55-line block ×7, first 2 shown]
	ds_load_b128 v[4:7], v40 offset:752
	ds_load_b128 v[8:11], v40 offset:1904
	;; [unrolled: 1-line block ×3, first 2 shown]
	s_wait_dscnt 0x2
	;;#ASMSTART
	v_dot2_f32_f16 v75, v0, v4, v75
	;;#ASMEND
	;;#ASMSTART
	v_dot2_f32_f16 v75, v1, v5, v75
	;;#ASMEND
	;;#ASMSTART
	v_dot2_f32_f16 v75, v2, v6, v75
	;;#ASMEND
	;;#ASMSTART
	v_dot2_f32_f16 v75, v3, v7, v75
	;;#ASMEND
	s_wait_dscnt 0x1
	;;#ASMSTART
	v_dot2_f32_f16 v76, v0, v8, v76
	;;#ASMEND
	;;#ASMSTART
	v_dot2_f32_f16 v76, v1, v9, v76
	;;#ASMEND
	;;#ASMSTART
	v_dot2_f32_f16 v76, v2, v10, v76
	;;#ASMEND
	;;#ASMSTART
	v_dot2_f32_f16 v76, v3, v11, v76
	;;#ASMEND
	;; [unrolled: 13-line block ×3, first 2 shown]
	;;#ASMSTART
	v_dot2_f32_f16 v78, v80, v8, v78
	;;#ASMEND
	;;#ASMSTART
	v_dot2_f32_f16 v78, v81, v9, v78
	;;#ASMEND
	;; [unrolled: 3-line block ×4, first 2 shown]
	s_barrier_signal -1
	s_barrier_wait -1
	s_clause 0x1
	global_load_b128 v[0:3], v[24:25], off offset:768
	global_load_b128 v[4:7], v[26:27], off offset:768
	s_wait_loadcnt 0x1
	ds_store_b128 v47, v[0:3]
	s_wait_loadcnt 0x0
	ds_store_b128 v48, v[4:7]
	s_wait_dscnt 0x0
	s_barrier_signal -1
	s_barrier_wait -1
	ds_load_b128 v[0:3], v49
	ds_load_b128 v[4:7], v40 offset:768
	ds_load_b128 v[8:11], v40 offset:1920
	ds_load_b128 v[80:83], v49 offset:4608
	s_wait_dscnt 0x2
	;;#ASMSTART
	v_dot2_f32_f16 v75, v0, v4, v75
	;;#ASMEND
	;;#ASMSTART
	v_dot2_f32_f16 v75, v1, v5, v75
	;;#ASMEND
	;;#ASMSTART
	v_dot2_f32_f16 v75, v2, v6, v75
	;;#ASMEND
	;;#ASMSTART
	v_dot2_f32_f16 v75, v3, v7, v75
	;;#ASMEND
	s_wait_dscnt 0x1
	;;#ASMSTART
	v_dot2_f32_f16 v76, v0, v8, v76
	;;#ASMEND
	;;#ASMSTART
	v_dot2_f32_f16 v76, v1, v9, v76
	;;#ASMEND
	;;#ASMSTART
	v_dot2_f32_f16 v76, v2, v10, v76
	;;#ASMEND
	;;#ASMSTART
	v_dot2_f32_f16 v76, v3, v11, v76
	;;#ASMEND
	s_wait_dscnt 0x0
	;;#ASMSTART
	v_dot2_f32_f16 v77, v80, v4, v77
	;;#ASMEND
	;;#ASMSTART
	v_dot2_f32_f16 v77, v81, v5, v77
	;;#ASMEND
	;;#ASMSTART
	v_dot2_f32_f16 v77, v82, v6, v77
	;;#ASMEND
	;;#ASMSTART
	v_dot2_f32_f16 v77, v83, v7, v77
	;;#ASMEND
	;;#ASMSTART
	v_dot2_f32_f16 v78, v80, v8, v78
	;;#ASMEND
	;;#ASMSTART
	v_dot2_f32_f16 v78, v81, v9, v78
	;;#ASMEND
	;;#ASMSTART
	v_dot2_f32_f16 v78, v82, v10, v78
	;;#ASMEND
	;;#ASMSTART
	v_dot2_f32_f16 v78, v83, v11, v78
	;;#ASMEND
	ds_load_b128 v[0:3], v49 offset:16
	ds_load_b128 v[4:7], v40 offset:784
	ds_load_b128 v[8:11], v40 offset:1936
	ds_load_b128 v[80:83], v49 offset:4624
	s_wait_dscnt 0x2
	;;#ASMSTART
	v_dot2_f32_f16 v75, v0, v4, v75
	;;#ASMEND
	;;#ASMSTART
	v_dot2_f32_f16 v75, v1, v5, v75
	;;#ASMEND
	;;#ASMSTART
	v_dot2_f32_f16 v75, v2, v6, v75
	;;#ASMEND
	;;#ASMSTART
	v_dot2_f32_f16 v75, v3, v7, v75
	;;#ASMEND
	s_wait_dscnt 0x1
	;;#ASMSTART
	v_dot2_f32_f16 v76, v0, v8, v76
	;;#ASMEND
	;;#ASMSTART
	v_dot2_f32_f16 v76, v1, v9, v76
	;;#ASMEND
	;;#ASMSTART
	v_dot2_f32_f16 v76, v2, v10, v76
	;;#ASMEND
	;;#ASMSTART
	v_dot2_f32_f16 v76, v3, v11, v76
	;;#ASMEND
	s_wait_dscnt 0x0
	;;#ASMSTART
	v_dot2_f32_f16 v77, v80, v4, v77
	;;#ASMEND
	;;#ASMSTART
	v_dot2_f32_f16 v77, v81, v5, v77
	;;#ASMEND
	;;#ASMSTART
	v_dot2_f32_f16 v77, v82, v6, v77
	;;#ASMEND
	;;#ASMSTART
	v_dot2_f32_f16 v77, v83, v7, v77
	;;#ASMEND
	;;#ASMSTART
	v_dot2_f32_f16 v78, v80, v8, v78
	;;#ASMEND
	;;#ASMSTART
	v_dot2_f32_f16 v78, v81, v9, v78
	;;#ASMEND
	;;#ASMSTART
	v_dot2_f32_f16 v78, v82, v10, v78
	;;#ASMEND
	;;#ASMSTART
	v_dot2_f32_f16 v78, v83, v11, v78
	;;#ASMEND
	ds_load_b128 v[0:3], v49 offset:32
	;; [unrolled: 55-line block ×7, first 2 shown]
	ds_load_b128 v[4:7], v40 offset:880
	ds_load_b128 v[8:11], v40 offset:2032
	;; [unrolled: 1-line block ×3, first 2 shown]
	s_wait_dscnt 0x2
	;;#ASMSTART
	v_dot2_f32_f16 v75, v0, v4, v75
	;;#ASMEND
	;;#ASMSTART
	v_dot2_f32_f16 v75, v1, v5, v75
	;;#ASMEND
	;;#ASMSTART
	v_dot2_f32_f16 v75, v2, v6, v75
	;;#ASMEND
	;;#ASMSTART
	v_dot2_f32_f16 v75, v3, v7, v75
	;;#ASMEND
	s_wait_dscnt 0x1
	;;#ASMSTART
	v_dot2_f32_f16 v76, v0, v8, v76
	;;#ASMEND
	;;#ASMSTART
	v_dot2_f32_f16 v76, v1, v9, v76
	;;#ASMEND
	;;#ASMSTART
	v_dot2_f32_f16 v76, v2, v10, v76
	;;#ASMEND
	;;#ASMSTART
	v_dot2_f32_f16 v76, v3, v11, v76
	;;#ASMEND
	;; [unrolled: 13-line block ×3, first 2 shown]
	;;#ASMSTART
	v_dot2_f32_f16 v78, v80, v8, v78
	;;#ASMEND
	;;#ASMSTART
	v_dot2_f32_f16 v78, v81, v9, v78
	;;#ASMEND
	;; [unrolled: 3-line block ×4, first 2 shown]
	s_barrier_signal -1
	s_barrier_wait -1
	s_clause 0x1
	global_load_b128 v[0:3], v[24:25], off offset:896
	global_load_b128 v[4:7], v[26:27], off offset:896
	s_wait_loadcnt 0x1
	ds_store_b128 v47, v[0:3]
	s_wait_loadcnt 0x0
	ds_store_b128 v48, v[4:7]
	s_wait_dscnt 0x0
	s_barrier_signal -1
	s_barrier_wait -1
	ds_load_b128 v[0:3], v49
	ds_load_b128 v[4:7], v40 offset:896
	ds_load_b128 v[8:11], v40 offset:2048
	ds_load_b128 v[80:83], v49 offset:4608
	s_wait_dscnt 0x2
	;;#ASMSTART
	v_dot2_f32_f16 v75, v0, v4, v75
	;;#ASMEND
	;;#ASMSTART
	v_dot2_f32_f16 v75, v1, v5, v75
	;;#ASMEND
	;;#ASMSTART
	v_dot2_f32_f16 v75, v2, v6, v75
	;;#ASMEND
	;;#ASMSTART
	v_dot2_f32_f16 v75, v3, v7, v75
	;;#ASMEND
	s_wait_dscnt 0x1
	;;#ASMSTART
	v_dot2_f32_f16 v76, v0, v8, v76
	;;#ASMEND
	;;#ASMSTART
	v_dot2_f32_f16 v76, v1, v9, v76
	;;#ASMEND
	;;#ASMSTART
	v_dot2_f32_f16 v76, v2, v10, v76
	;;#ASMEND
	;;#ASMSTART
	v_dot2_f32_f16 v76, v3, v11, v76
	;;#ASMEND
	s_wait_dscnt 0x0
	;;#ASMSTART
	v_dot2_f32_f16 v77, v80, v4, v77
	;;#ASMEND
	;;#ASMSTART
	v_dot2_f32_f16 v77, v81, v5, v77
	;;#ASMEND
	;;#ASMSTART
	v_dot2_f32_f16 v77, v82, v6, v77
	;;#ASMEND
	;;#ASMSTART
	v_dot2_f32_f16 v77, v83, v7, v77
	;;#ASMEND
	;;#ASMSTART
	v_dot2_f32_f16 v78, v80, v8, v78
	;;#ASMEND
	;;#ASMSTART
	v_dot2_f32_f16 v78, v81, v9, v78
	;;#ASMEND
	;;#ASMSTART
	v_dot2_f32_f16 v78, v82, v10, v78
	;;#ASMEND
	;;#ASMSTART
	v_dot2_f32_f16 v78, v83, v11, v78
	;;#ASMEND
	ds_load_b128 v[0:3], v49 offset:16
	ds_load_b128 v[4:7], v40 offset:912
	ds_load_b128 v[8:11], v40 offset:2064
	ds_load_b128 v[80:83], v49 offset:4624
	s_wait_dscnt 0x2
	;;#ASMSTART
	v_dot2_f32_f16 v75, v0, v4, v75
	;;#ASMEND
	;;#ASMSTART
	v_dot2_f32_f16 v75, v1, v5, v75
	;;#ASMEND
	;;#ASMSTART
	v_dot2_f32_f16 v75, v2, v6, v75
	;;#ASMEND
	;;#ASMSTART
	v_dot2_f32_f16 v75, v3, v7, v75
	;;#ASMEND
	s_wait_dscnt 0x1
	;;#ASMSTART
	v_dot2_f32_f16 v76, v0, v8, v76
	;;#ASMEND
	;;#ASMSTART
	v_dot2_f32_f16 v76, v1, v9, v76
	;;#ASMEND
	;;#ASMSTART
	v_dot2_f32_f16 v76, v2, v10, v76
	;;#ASMEND
	;;#ASMSTART
	v_dot2_f32_f16 v76, v3, v11, v76
	;;#ASMEND
	s_wait_dscnt 0x0
	;;#ASMSTART
	v_dot2_f32_f16 v77, v80, v4, v77
	;;#ASMEND
	;;#ASMSTART
	v_dot2_f32_f16 v77, v81, v5, v77
	;;#ASMEND
	;;#ASMSTART
	v_dot2_f32_f16 v77, v82, v6, v77
	;;#ASMEND
	;;#ASMSTART
	v_dot2_f32_f16 v77, v83, v7, v77
	;;#ASMEND
	;;#ASMSTART
	v_dot2_f32_f16 v78, v80, v8, v78
	;;#ASMEND
	;;#ASMSTART
	v_dot2_f32_f16 v78, v81, v9, v78
	;;#ASMEND
	;;#ASMSTART
	v_dot2_f32_f16 v78, v82, v10, v78
	;;#ASMEND
	;;#ASMSTART
	v_dot2_f32_f16 v78, v83, v11, v78
	;;#ASMEND
	ds_load_b128 v[0:3], v49 offset:32
	;; [unrolled: 55-line block ×7, first 2 shown]
	ds_load_b128 v[8:11], v40 offset:1008
	ds_load_b128 v[0:3], v40 offset:2160
	;; [unrolled: 1-line block ×3, first 2 shown]
	s_wait_dscnt 0x2
	;;#ASMSTART
	v_dot2_f32_f16 v75, v80, v8, v75
	;;#ASMEND
	;;#ASMSTART
	v_dot2_f32_f16 v75, v81, v9, v75
	;;#ASMEND
	;;#ASMSTART
	v_dot2_f32_f16 v75, v82, v10, v75
	;;#ASMEND
	;;#ASMSTART
	v_dot2_f32_f16 v75, v83, v11, v75
	;;#ASMEND
	s_wait_dscnt 0x1
	;;#ASMSTART
	v_dot2_f32_f16 v76, v80, v0, v76
	;;#ASMEND
	;;#ASMSTART
	v_dot2_f32_f16 v76, v81, v1, v76
	;;#ASMEND
	;;#ASMSTART
	v_dot2_f32_f16 v76, v82, v2, v76
	;;#ASMEND
	;;#ASMSTART
	v_dot2_f32_f16 v76, v83, v3, v76
	;;#ASMEND
	s_wait_dscnt 0x0
	;;#ASMSTART
	v_dot2_f32_f16 v77, v4, v8, v77
	;;#ASMEND
	;;#ASMSTART
	v_dot2_f32_f16 v77, v5, v9, v77
	;;#ASMEND
	;;#ASMSTART
	v_dot2_f32_f16 v77, v6, v10, v77
	;;#ASMEND
	;;#ASMSTART
	v_dot2_f32_f16 v77, v7, v11, v77
	;;#ASMEND
	;;#ASMSTART
	v_dot2_f32_f16 v78, v4, v0, v78
	;;#ASMEND
	;;#ASMSTART
	v_dot2_f32_f16 v78, v5, v1, v78
	;;#ASMEND
	;; [unrolled: 3-line block ×4, first 2 shown]
	s_barrier_signal -1
	s_barrier_wait -1
	s_clause 0x1
	global_load_b128 v[0:3], v[24:25], off offset:1024
	global_load_b128 v[4:7], v[26:27], off offset:1024
	s_wait_loadcnt 0x1
	ds_store_b128 v47, v[0:3]
	s_wait_loadcnt 0x0
	ds_store_b128 v48, v[4:7]
	s_wait_dscnt 0x0
	s_barrier_signal -1
	s_barrier_wait -1
	ds_load_b128 v[0:3], v49
	ds_load_b128 v[4:7], v40 offset:1024
	ds_load_b128 v[8:11], v40 offset:2176
	ds_load_b128 v[24:27], v49 offset:4608
	s_wait_dscnt 0x2
	;;#ASMSTART
	v_dot2_f32_f16 v75, v0, v4, v75
	;;#ASMEND
	;;#ASMSTART
	v_dot2_f32_f16 v75, v1, v5, v75
	;;#ASMEND
	;;#ASMSTART
	v_dot2_f32_f16 v75, v2, v6, v75
	;;#ASMEND
	;;#ASMSTART
	v_dot2_f32_f16 v75, v3, v7, v75
	;;#ASMEND
	s_wait_dscnt 0x1
	;;#ASMSTART
	v_dot2_f32_f16 v76, v0, v8, v76
	;;#ASMEND
	;;#ASMSTART
	v_dot2_f32_f16 v76, v1, v9, v76
	;;#ASMEND
	;;#ASMSTART
	v_dot2_f32_f16 v76, v2, v10, v76
	;;#ASMEND
	;;#ASMSTART
	v_dot2_f32_f16 v76, v3, v11, v76
	;;#ASMEND
	s_wait_dscnt 0x0
	;;#ASMSTART
	v_dot2_f32_f16 v77, v24, v4, v77
	;;#ASMEND
	;;#ASMSTART
	v_dot2_f32_f16 v77, v25, v5, v77
	;;#ASMEND
	;;#ASMSTART
	v_dot2_f32_f16 v77, v26, v6, v77
	;;#ASMEND
	;;#ASMSTART
	v_dot2_f32_f16 v77, v27, v7, v77
	;;#ASMEND
	;;#ASMSTART
	v_dot2_f32_f16 v78, v24, v8, v78
	;;#ASMEND
	;;#ASMSTART
	v_dot2_f32_f16 v78, v25, v9, v78
	;;#ASMEND
	;;#ASMSTART
	v_dot2_f32_f16 v78, v26, v10, v78
	;;#ASMEND
	;;#ASMSTART
	v_dot2_f32_f16 v78, v27, v11, v78
	;;#ASMEND
	ds_load_b128 v[0:3], v49 offset:16
	ds_load_b128 v[4:7], v40 offset:1040
	ds_load_b128 v[8:11], v40 offset:2192
	ds_load_b128 v[24:27], v49 offset:4624
	s_wait_dscnt 0x2
	;;#ASMSTART
	v_dot2_f32_f16 v75, v0, v4, v75
	;;#ASMEND
	;;#ASMSTART
	v_dot2_f32_f16 v75, v1, v5, v75
	;;#ASMEND
	;;#ASMSTART
	v_dot2_f32_f16 v75, v2, v6, v75
	;;#ASMEND
	;;#ASMSTART
	v_dot2_f32_f16 v75, v3, v7, v75
	;;#ASMEND
	s_wait_dscnt 0x1
	;;#ASMSTART
	v_dot2_f32_f16 v76, v0, v8, v76
	;;#ASMEND
	;;#ASMSTART
	v_dot2_f32_f16 v76, v1, v9, v76
	;;#ASMEND
	;;#ASMSTART
	v_dot2_f32_f16 v76, v2, v10, v76
	;;#ASMEND
	;;#ASMSTART
	v_dot2_f32_f16 v76, v3, v11, v76
	;;#ASMEND
	s_wait_dscnt 0x0
	;;#ASMSTART
	v_dot2_f32_f16 v77, v24, v4, v77
	;;#ASMEND
	;;#ASMSTART
	v_dot2_f32_f16 v77, v25, v5, v77
	;;#ASMEND
	;;#ASMSTART
	v_dot2_f32_f16 v77, v26, v6, v77
	;;#ASMEND
	;;#ASMSTART
	v_dot2_f32_f16 v77, v27, v7, v77
	;;#ASMEND
	;;#ASMSTART
	v_dot2_f32_f16 v78, v24, v8, v78
	;;#ASMEND
	;;#ASMSTART
	v_dot2_f32_f16 v78, v25, v9, v78
	;;#ASMEND
	;;#ASMSTART
	v_dot2_f32_f16 v78, v26, v10, v78
	;;#ASMEND
	;;#ASMSTART
	v_dot2_f32_f16 v78, v27, v11, v78
	;;#ASMEND
	ds_load_b128 v[0:3], v49 offset:32
	;; [unrolled: 55-line block ×7, first 2 shown]
	ds_load_b128 v[4:7], v40 offset:1136
	ds_load_b128 v[8:11], v40 offset:2288
	;; [unrolled: 1-line block ×3, first 2 shown]
	s_wait_dscnt 0x2
	;;#ASMSTART
	v_dot2_f32_f16 v75, v0, v4, v75
	;;#ASMEND
	;;#ASMSTART
	v_dot2_f32_f16 v75, v1, v5, v75
	;;#ASMEND
	;;#ASMSTART
	v_dot2_f32_f16 v75, v2, v6, v75
	;;#ASMEND
	;;#ASMSTART
	v_dot2_f32_f16 v75, v3, v7, v75
	;;#ASMEND
	s_wait_dscnt 0x1
	;;#ASMSTART
	v_dot2_f32_f16 v76, v0, v8, v76
	;;#ASMEND
	;;#ASMSTART
	v_dot2_f32_f16 v76, v1, v9, v76
	;;#ASMEND
	;;#ASMSTART
	v_dot2_f32_f16 v76, v2, v10, v76
	;;#ASMEND
	;;#ASMSTART
	v_dot2_f32_f16 v76, v3, v11, v76
	;;#ASMEND
	s_wait_dscnt 0x0
	;;#ASMSTART
	v_dot2_f32_f16 v77, v80, v4, v77
	;;#ASMEND
	;;#ASMSTART
	v_dot2_f32_f16 v77, v81, v5, v77
	;;#ASMEND
	;;#ASMSTART
	v_dot2_f32_f16 v77, v82, v6, v77
	;;#ASMEND
	;;#ASMSTART
	v_dot2_f32_f16 v77, v83, v7, v77
	;;#ASMEND
	;;#ASMSTART
	v_dot2_f32_f16 v78, v80, v8, v78
	;;#ASMEND
	;;#ASMSTART
	v_dot2_f32_f16 v78, v81, v9, v78
	;;#ASMEND
	;; [unrolled: 3-line block ×4, first 2 shown]
	s_clause 0x1
	global_load_u16 v0, v36, s[34:35] scale_offset
	global_load_u16 v1, v36, s[34:35] offset:64 scale_offset
	v_lshl_add_u64 v[24:25], s[6:7], 2, v[22:23]
	s_wait_loadcnt 0x0
	s_barrier_signal -1
	s_barrier_wait -1
	v_lshl_add_u64 v[26:27], s[4:5], 2, v[22:23]
	v_cvt_f32_f16_e32 v0, v0
	v_cvt_f32_f16_e32 v1, v1
	s_delay_alu instid0(VALU_DEP_2) | instskip(NEXT) | instid1(VALU_DEP_2)
	v_dual_add_f32 v2, v75, v0 :: v_dual_lshlrev_b32 v37, 2, v37
	v_dual_add_f32 v3, v77, v1 :: v_dual_add_f32 v0, v76, v0
	s_delay_alu instid0(VALU_DEP_2) | instskip(NEXT) | instid1(VALU_DEP_2)
	v_dual_add_f32 v1, v78, v1 :: v_dual_add_f32 v4, 0x40051340, v2
	v_dual_add_f32 v5, 0x40051340, v3 :: v_dual_add_f32 v6, 0x40051340, v0
	s_delay_alu instid0(VALU_DEP_2) | instskip(NEXT) | instid1(VALU_DEP_2)
	v_add_f32_e32 v7, 0x40051340, v1
	v_max3_num_f32 v4, v35, v4, v5
	s_delay_alu instid0(VALU_DEP_2) | instskip(SKIP_4) | instid1(VALU_DEP_1)
	v_max3_num_f32 v5, v34, v6, v7
	ds_bpermute_b32 v6, v79, v4
	ds_bpermute_b32 v7, v79, v5
	s_wait_dscnt 0x0
	v_dual_max_num_f32 v6, v6, v6 :: v_dual_max_num_f32 v7, v7, v7
	v_max_num_f32_e32 v4, v4, v6
	ds_bpermute_b32 v6, v84, v4
	s_wait_dscnt 0x0
	v_dual_max_num_f32 v5, v5, v7 :: v_dual_max_num_f32 v6, v6, v6
	ds_bpermute_b32 v7, v84, v5
	v_max_num_f32_e32 v4, v4, v6
	ds_bpermute_b32 v6, v85, v4
	s_wait_dscnt 0x1
	v_max_num_f32_e32 v7, v7, v7
	s_wait_dscnt 0x0
	s_delay_alu instid0(VALU_DEP_1)
	v_dual_max_num_f32 v5, v5, v7 :: v_dual_max_num_f32 v6, v6, v6
	ds_bpermute_b32 v7, v85, v5
	v_max_num_f32_e32 v4, v4, v6
	ds_bpermute_b32 v6, v86, v4
	s_wait_dscnt 0x1
	v_max_num_f32_e32 v7, v7, v7
	s_wait_dscnt 0x0
	s_delay_alu instid0(VALU_DEP_1)
	v_dual_max_num_f32 v5, v5, v7 :: v_dual_max_num_f32 v6, v6, v6
	ds_bpermute_b32 v7, v86, v5
	v_max_num_f32_e32 v4, v4, v6
	ds_bpermute_b32 v6, v37, v4
	s_wait_dscnt 0x1
	v_max_num_f32_e32 v7, v7, v7
	s_wait_dscnt 0x0
	s_delay_alu instid0(VALU_DEP_1) | instskip(SKIP_3) | instid1(VALU_DEP_1)
	v_dual_max_num_f32 v5, v5, v7 :: v_dual_max_num_f32 v6, v6, v6
	ds_bpermute_b32 v7, v37, v5
	v_max_num_f32_e32 v8, v4, v6
	s_wait_xcnt 0x0
	v_dual_sub_f32 v36, v2, v8 :: v_dual_sub_f32 v35, v35, v8
	s_delay_alu instid0(VALU_DEP_1) | instskip(SKIP_2) | instid1(VALU_DEP_1)
	v_cmp_ngt_f32_e64 s4, 0xc2ce8ed0, v35
	s_wait_dscnt 0x0
	v_max_num_f32_e32 v7, v7, v7
	v_dual_max_num_f32 v9, v5, v7 :: v_dual_sub_f32 v4, v3, v8
	v_mul_f32_e32 v5, 0x3fb8aa3b, v35
	s_delay_alu instid0(VALU_DEP_2) | instskip(NEXT) | instid1(VALU_DEP_3)
	v_dual_sub_f32 v37, v0, v9 :: v_dual_sub_f32 v75, v1, v9
	v_dual_sub_f32 v34, v34, v9 :: v_dual_mul_f32 v1, 0x3fb8aa3b, v4
	v_mul_f32_e32 v0, 0x3fb8aa3b, v36
	s_delay_alu instid0(VALU_DEP_3) | instskip(SKIP_1) | instid1(VALU_DEP_4)
	v_dual_mul_f32 v2, 0x3fb8aa3b, v37 :: v_dual_mul_f32 v3, 0x3fb8aa3b, v75
	v_rndne_f32_e32 v80, v5
	v_fma_f32 v10, 0x3fb8aa3b, v4, -v1
	s_delay_alu instid0(VALU_DEP_4)
	v_fma_f32 v7, 0x3fb8aa3b, v36, -v0
	v_rndne_f32_e32 v76, v0
	v_rndne_f32_e32 v78, v1
	v_fma_f32 v11, 0x3fb8aa3b, v37, -v2
	v_rndne_f32_e32 v79, v2
	v_fmac_f32_e32 v7, 0x32a5705f, v36
	s_delay_alu instid0(VALU_DEP_4) | instskip(NEXT) | instid1(VALU_DEP_4)
	v_dual_sub_f32 v0, v0, v76 :: v_dual_sub_f32 v1, v1, v78
	v_dual_fmac_f32 v10, 0x32a5705f, v4 :: v_dual_fmac_f32 v11, 0x32a5705f, v37
	s_delay_alu instid0(VALU_DEP_4) | instskip(NEXT) | instid1(VALU_DEP_3)
	v_sub_f32_e32 v2, v2, v79
	v_add_f32_e32 v0, v0, v7
	v_rndne_f32_e32 v7, v3
	s_delay_alu instid0(VALU_DEP_4)
	v_add_f32_e32 v1, v1, v10
	v_fma_f32 v10, 0x3fb8aa3b, v35, -v5
	v_sub_f32_e32 v5, v5, v80
	v_exp_f32_e32 v0, v0
	v_mul_f32_e32 v6, 0x3fb8aa3b, v34
	v_fma_f32 v77, 0x3fb8aa3b, v75, -v3
	v_fmac_f32_e32 v10, 0x32a5705f, v35
	v_sub_f32_e32 v3, v3, v7
	v_exp_f32_e32 v1, v1
	v_cmp_ngt_f32_e32 vcc_lo, 0xc2ce8ed0, v4
	v_cmp_ngt_f32_e64 s6, 0xc2ce8ed0, v37
	v_add_f32_e32 v5, v5, v10
	v_cvt_i32_f32_e32 v10, v76
	v_cvt_i32_f32_e32 v7, v7
	v_cmp_ngt_f32_e64 s5, 0xc2ce8ed0, v34
	s_delay_alu instid0(VALU_DEP_3) | instskip(SKIP_3) | instid1(VALU_DEP_3)
	v_ldexp_f32 v76, v0, v10
	v_cvt_i32_f32_e32 v0, v78
	v_cvt_i32_f32_e32 v78, v79
	;; [unrolled: 1-line block ×3, first 2 shown]
	v_ldexp_f32 v80, v1, v0
	s_delay_alu instid0(VALU_DEP_1) | instskip(NEXT) | instid1(VALU_DEP_1)
	v_dual_fmac_f32 v77, 0x32a5705f, v75 :: v_dual_cndmask_b32 v80, 0, v80
	v_dual_add_f32 v2, v2, v11 :: v_dual_add_f32 v3, v3, v77
	v_fma_f32 v11, 0x3fb8aa3b, v34, -v6
	v_rndne_f32_e32 v77, v6
	v_cmp_nlt_f32_e32 vcc_lo, 0x42b17218, v4
	s_delay_alu instid0(VALU_DEP_4) | instskip(SKIP_1) | instid1(VALU_DEP_2)
	v_exp_f32_e32 v2, v2
	v_exp_f32_e32 v3, v3
	v_dual_fmac_f32 v11, 0x32a5705f, v34 :: v_dual_sub_f32 v6, v6, v77
	v_exp_f32_e32 v5, v5
	s_delay_alu instid0(TRANS32_DEP_3) | instskip(NEXT) | instid1(VALU_DEP_2)
	v_ldexp_f32 v78, v2, v78
	v_add_f32_e32 v6, v6, v11
	s_delay_alu instid0(TRANS32_DEP_2)
	v_ldexp_f32 v81, v3, v7
	global_load_b128 v[0:3], v[32:33], off
	v_ldexp_f32 v79, v5, v79
	v_cvt_i32_f32_e32 v5, v77
	v_exp_f32_e32 v6, v6
	v_lshl_add_u64 v[10:11], s[2:3], 2, v[22:23]
	v_cmp_ngt_f32_e64 s2, 0xc2ce8ed0, v36
	v_cmp_ngt_f32_e64 s3, 0xc2ce8ed0, v75
	s_delay_alu instid0(TRANS32_DEP_1)
	v_ldexp_f32 v77, v6, v5
	global_load_b128 v[4:7], v[32:33], off offset:512
	s_wait_xcnt 0x0
	v_cndmask_b32_e64 v32, 0, v78, s6
	v_cmp_nlt_f32_e64 s6, 0x42b17218, v37
	v_dual_cndmask_b32 v33, 0, v81, s3 :: v_dual_cndmask_b32 v37, 0, v76, s2
	v_cmp_nlt_f32_e64 s3, 0x42b17218, v75
	v_dual_cndmask_b32 v75, 0, v79, s4 :: v_dual_cndmask_b32 v76, 0, v77, s5
	v_cmp_nlt_f32_e64 s5, 0x42b17218, v36
	v_cmp_nlt_f32_e64 s2, 0x42b17218, v35
	;; [unrolled: 1-line block ×3, first 2 shown]
	v_cndmask_b32_e64 v35, 0x7f800000, v32, s6
	v_cndmask_b32_e32 v36, 0x7f800000, v80, vcc_lo
	v_cndmask_b32_e64 v34, 0x7f800000, v37, s5
	v_cndmask_b32_e64 v37, 0x7f800000, v33, s3
	;; [unrolled: 1-line block ×4, first 2 shown]
	s_delay_alu instid0(VALU_DEP_4) | instskip(NEXT) | instid1(VALU_DEP_4)
	v_cvt_pk_f16_f32 v75, v34, v35
	v_cvt_pk_f16_f32 v76, v36, v37
	ds_store_2addr_b32 v55, v75, v76 offset1:32
	s_wait_loadcnt 0x1
	ds_store_b128 v52, v[0:3]
	s_wait_loadcnt 0x0
	ds_store_b128 v53, v[4:7]
	s_wait_dscnt 0x0
	s_barrier_signal -1
	s_barrier_wait -1
	ds_load_b128 v[2:5], v51
	v_cvt_f16_f32_e32 v77, v32
	v_cvt_f16_f32_e32 v78, v33
	v_pk_add_f32 v[80:81], v[34:35], v[36:37]
	s_delay_alu instid0(VALU_DEP_3) | instskip(NEXT) | instid1(VALU_DEP_3)
	v_and_b32_e32 v0, 0xffff, v77
	v_and_b32_e32 v1, 0xffff, v78
	ds_load_2addr_b64 v[34:37], v54 offset0:64 offset1:96
	ds_load_b128 v[76:79], v51 offset:16
	v_pk_fma_f32 v[14:15], v[14:15], v[32:33], v[80:81]
	v_mul_u32_u24_e32 v6, 0x10001, v0
	v_mul_u32_u24_e32 v7, 0x10001, v1
	s_delay_alu instid0(VALU_DEP_2)
	v_pk_mul_f16 v33, v67, v6
	v_pk_mul_f16 v0, v73, v6
	v_pk_mul_f16 v1, v71, v6
	v_pk_mul_f16 v32, v69, v6
	s_wait_dscnt 0x2
	v_and_b32_e32 v67, 0xffff, v2
	v_lshrrev_b32_e32 v2, 16, v2
	v_pk_mul_f16 v64, v64, v7
	v_pk_mul_f16 v61, v61, v7
	;; [unrolled: 1-line block ×3, first 2 shown]
	v_mul_u32_u24_e32 v67, 0x10001, v67
	v_mul_u32_u24_e32 v2, 0x10001, v2
	v_pk_mul_f16 v59, v59, v7
	v_pk_mul_f16 v71, v72, v6
	;; [unrolled: 1-line block ×3, first 2 shown]
	s_wait_dscnt 0x1
	v_pk_fma_f16 v0, v34, v67, v0
	v_pk_fma_f16 v64, v34, v2, v64
	;; [unrolled: 1-line block ×7, first 2 shown]
	ds_load_2addr_b64 v[32:35], v54 offset1:32
	v_pk_fma_f16 v37, v37, v2, v59
	v_pk_mul_f16 v59, v74, v6
	v_pk_mul_f16 v66, v66, v7
	;; [unrolled: 1-line block ×4, first 2 shown]
	s_wait_dscnt 0x0
	v_pk_fma_f16 v59, v33, v67, v59
	v_pk_fma_f16 v71, v34, v67, v71
	;; [unrolled: 1-line block ×3, first 2 shown]
	v_pk_mul_f16 v67, v32, v67
	v_pk_fma_f16 v66, v33, v2, v66
	v_pk_fma_f16 v65, v34, v2, v65
	;; [unrolled: 1-line block ×3, first 2 shown]
	v_pk_mul_f16 v72, v32, v2
	ds_load_2addr_b64 v[32:35], v54 offset0:192 offset1:224
	v_and_b32_e32 v2, 0xffff, v3
	v_lshrrev_b32_e32 v3, 16, v3
	v_pk_fma_f16 v6, v68, v6, v67
	v_pk_fma_f16 v7, v62, v7, v72
	s_delay_alu instid0(VALU_DEP_4) | instskip(NEXT) | instid1(VALU_DEP_4)
	v_mul_u32_u24_e32 v73, 0x10001, v2
	v_mul_u32_u24_e32 v74, 0x10001, v3
	v_lshl_add_u64 v[2:3], s[26:27], 2, v[22:23]
	s_wait_dscnt 0x0
	s_delay_alu instid0(VALU_DEP_3) | instskip(NEXT) | instid1(VALU_DEP_3)
	v_pk_fma_f16 v75, v32, v73, v0
	v_pk_fma_f16 v64, v32, v74, v64
	;; [unrolled: 1-line block ×8, first 2 shown]
	ds_load_2addr_b64 v[32:35], v54 offset0:128 offset1:160
	v_lshl_add_u64 v[0:1], s[36:37], 2, v[22:23]
	s_wait_dscnt 0x0
	v_pk_fma_f16 v59, v33, v73, v59
	v_pk_fma_f16 v62, v34, v73, v71
	;; [unrolled: 1-line block ×8, first 2 shown]
	ds_load_2addr_b64 v[32:35], v56 offset0:64 offset1:96
	v_and_b32_e32 v7, 0xffff, v4
	v_lshrrev_b32_e32 v4, 16, v4
	v_and_b32_e32 v73, 0xffff, v5
	v_lshrrev_b32_e32 v74, 16, v5
	s_delay_alu instid0(VALU_DEP_4) | instskip(NEXT) | instid1(VALU_DEP_4)
	v_mul_u32_u24_e32 v7, 0x10001, v7
	v_mul_u32_u24_e32 v70, 0x10001, v4
	s_wait_dscnt 0x0
	s_delay_alu instid0(VALU_DEP_2) | instskip(NEXT) | instid1(VALU_DEP_2)
	v_pk_fma_f16 v71, v32, v7, v75
	v_pk_fma_f16 v64, v32, v70, v64
	;; [unrolled: 1-line block ×8, first 2 shown]
	ds_load_2addr_b64 v[32:35], v56 offset1:32
	s_wait_dscnt 0x0
	v_pk_fma_f16 v59, v33, v7, v59
	v_pk_fma_f16 v62, v34, v7, v62
	;; [unrolled: 1-line block ×4, first 2 shown]
	ds_load_2addr_b64 v[4:7], v56 offset0:192 offset1:224
	v_pk_fma_f16 v66, v33, v70, v66
	v_pk_fma_f16 v65, v34, v70, v65
	;; [unrolled: 1-line block ×4, first 2 shown]
	ds_load_2addr_b64 v[32:35], v56 offset0:128 offset1:160
	v_mul_u32_u24_e32 v70, 0x10001, v73
	v_mul_u32_u24_e32 v73, 0x10001, v74
	v_lshrrev_b32_e32 v74, 16, v76
	s_delay_alu instid0(VALU_DEP_1)
	v_mul_u32_u24_e32 v74, 0x10001, v74
	s_wait_dscnt 0x1
	v_pk_fma_f16 v71, v4, v70, v71
	v_pk_fma_f16 v64, v4, v73, v64
	;; [unrolled: 1-line block ×8, first 2 shown]
	ds_load_2addr_b64 v[4:7], v57 offset0:64 offset1:96
	s_wait_dscnt 0x1
	v_pk_fma_f16 v59, v33, v70, v59
	v_pk_fma_f16 v62, v34, v70, v62
	;; [unrolled: 1-line block ×8, first 2 shown]
	ds_load_2addr_b64 v[32:35], v57 offset1:32
	v_and_b32_e32 v73, 0xffff, v76
	s_delay_alu instid0(VALU_DEP_1) | instskip(SKIP_1) | instid1(VALU_DEP_1)
	v_mul_u32_u24_e32 v73, 0x10001, v73
	s_wait_dscnt 0x1
	v_pk_fma_f16 v71, v4, v73, v71
	v_pk_fma_f16 v64, v4, v74, v64
	;; [unrolled: 1-line block ×8, first 2 shown]
	ds_load_2addr_b64 v[4:7], v57 offset0:192 offset1:224
	s_wait_dscnt 0x1
	v_pk_fma_f16 v59, v33, v73, v59
	v_pk_fma_f16 v62, v34, v73, v62
	;; [unrolled: 1-line block ×8, first 2 shown]
	ds_load_2addr_b64 v[32:35], v57 offset0:128 offset1:160
	v_and_b32_e32 v73, 0xffff, v77
	v_lshrrev_b32_e32 v74, 16, v77
	v_and_b32_e32 v77, 0xffff, v79
	s_delay_alu instid0(VALU_DEP_3) | instskip(NEXT) | instid1(VALU_DEP_3)
	v_mul_u32_u24_e32 v73, 0x10001, v73
	v_mul_u32_u24_e32 v74, 0x10001, v74
	s_wait_dscnt 0x1
	s_delay_alu instid0(VALU_DEP_2) | instskip(NEXT) | instid1(VALU_DEP_2)
	v_pk_fma_f16 v71, v4, v73, v71
	v_pk_fma_f16 v64, v4, v74, v64
	;; [unrolled: 1-line block ×8, first 2 shown]
	ds_load_2addr_b64 v[4:7], v58 offset0:64 offset1:96
	s_wait_dscnt 0x1
	v_pk_fma_f16 v59, v33, v73, v59
	v_pk_fma_f16 v62, v34, v73, v62
	;; [unrolled: 1-line block ×5, first 2 shown]
	v_and_b32_e32 v70, 0xffff, v78
	v_lshrrev_b32_e32 v73, 16, v78
	v_pk_fma_f16 v66, v33, v74, v66
	v_pk_fma_f16 v65, v34, v74, v65
	;; [unrolled: 1-line block ×3, first 2 shown]
	ds_load_2addr_b64 v[32:35], v58 offset1:32
	v_mul_u32_u24_e32 v70, 0x10001, v70
	v_mul_u32_u24_e32 v73, 0x10001, v73
	v_lshrrev_b32_e32 v78, 16, v79
	s_wait_dscnt 0x1
	s_delay_alu instid0(VALU_DEP_3) | instskip(NEXT) | instid1(VALU_DEP_3)
	v_pk_fma_f16 v71, v4, v70, v71
	v_pk_fma_f16 v64, v4, v73, v64
	;; [unrolled: 1-line block ×8, first 2 shown]
	ds_load_2addr_b64 v[4:7], v58 offset0:192 offset1:224
	s_wait_dscnt 0x1
	v_pk_fma_f16 v66, v33, v73, v66
	v_pk_fma_f16 v65, v34, v73, v65
	;; [unrolled: 1-line block ×4, first 2 shown]
	v_mul_u32_u24_e32 v73, 0x10001, v77
	v_mul_u32_u24_e32 v77, 0x10001, v78
	v_pk_fma_f16 v59, v33, v70, v59
	v_pk_fma_f16 v79, v34, v70, v62
	v_pk_fma_f16 v67, v35, v70, v67
	v_pk_fma_f16 v70, v32, v70, v63
	ds_load_2addr_b64 v[60:63], v58 offset0:128 offset1:160
	s_wait_dscnt 0x0
	s_barrier_signal -1
	s_barrier_wait -1
	global_load_b128 v[32:35], v[30:31], off
	v_pk_fma_f16 v71, v4, v73, v71
	v_pk_fma_f16 v64, v4, v77, v64
	;; [unrolled: 1-line block ×8, first 2 shown]
	global_load_b128 v[4:7], v[30:31], off offset:512
	s_wait_loadcnt 0x1
	ds_store_b128 v52, v[32:35]
	s_wait_loadcnt 0x0
	ds_store_b128 v53, v[4:7]
	s_wait_dscnt 0x0
	s_barrier_signal -1
	s_barrier_wait -1
	ds_load_b128 v[4:7], v51 offset:32
	ds_load_2addr_b64 v[30:33], v54 offset1:32
	ds_load_b128 v[34:37], v51 offset:48
	v_pk_fma_f16 v59, v61, v73, v59
	v_pk_fma_f16 v61, v61, v77, v66
	;; [unrolled: 1-line block ×8, first 2 shown]
	s_wait_dscnt 0x2
	v_and_b32_e32 v66, 0xffff, v4
	v_lshrrev_b32_e32 v4, 16, v4
	s_delay_alu instid0(VALU_DEP_2) | instskip(NEXT) | instid1(VALU_DEP_2)
	v_mul_u32_u24_e32 v66, 0x10001, v66
	v_mul_u32_u24_e32 v4, 0x10001, v4
	s_wait_dscnt 0x1
	s_delay_alu instid0(VALU_DEP_2) | instskip(NEXT) | instid1(VALU_DEP_2)
	v_pk_fma_f16 v65, v30, v66, v65
	v_pk_fma_f16 v68, v30, v4, v60
	;; [unrolled: 1-line block ×8, first 2 shown]
	ds_load_2addr_b64 v[30:33], v54 offset0:64 offset1:96
	ds_load_2addr_b64 v[60:63], v54 offset0:128 offset1:160
	s_wait_dscnt 0x1
	v_pk_fma_f16 v71, v30, v66, v71
	v_pk_fma_f16 v64, v30, v4, v64
	v_and_b32_e32 v30, 0xffff, v5
	v_pk_fma_f16 v72, v31, v66, v72
	v_pk_fma_f16 v69, v32, v66, v69
	;; [unrolled: 1-line block ×6, first 2 shown]
	v_mul_u32_u24_e32 v78, 0x10001, v30
	ds_load_2addr_b64 v[30:33], v54 offset0:192 offset1:224
	v_lshrrev_b32_e32 v5, 16, v5
	s_wait_dscnt 0x1
	v_pk_fma_f16 v65, v60, v78, v65
	v_pk_fma_f16 v59, v61, v78, v59
	s_delay_alu instid0(VALU_DEP_3) | instskip(SKIP_2) | instid1(VALU_DEP_3)
	v_mul_u32_u24_e32 v5, 0x10001, v5
	v_pk_fma_f16 v73, v62, v78, v73
	v_pk_fma_f16 v67, v63, v78, v67
	;; [unrolled: 1-line block ×6, first 2 shown]
	ds_load_2addr_b64 v[60:63], v56 offset1:32
	s_wait_dscnt 0x1
	v_pk_fma_f16 v71, v30, v78, v71
	v_pk_fma_f16 v72, v31, v78, v72
	;; [unrolled: 1-line block ×8, first 2 shown]
	ds_load_2addr_b64 v[30:33], v56 offset0:64 offset1:96
	v_and_b32_e32 v5, 0xffff, v6
	v_lshrrev_b32_e32 v6, 16, v6
	s_delay_alu instid0(VALU_DEP_2) | instskip(SKIP_1) | instid1(VALU_DEP_1)
	v_mul_u32_u24_e32 v5, 0x10001, v5
	s_wait_dscnt 0x1
	v_pk_fma_f16 v65, v60, v5, v65
	v_pk_fma_f16 v59, v61, v5, v59
	;; [unrolled: 1-line block ×4, first 2 shown]
	s_wait_dscnt 0x0
	v_pk_fma_f16 v71, v30, v5, v71
	v_pk_fma_f16 v72, v31, v5, v72
	;; [unrolled: 1-line block ×4, first 2 shown]
	v_lshrrev_b32_e32 v5, 16, v7
	v_mul_u32_u24_e32 v6, 0x10001, v6
	s_delay_alu instid0(VALU_DEP_2) | instskip(NEXT) | instid1(VALU_DEP_2)
	v_mul_u32_u24_e32 v80, 0x10001, v5
	v_pk_fma_f16 v68, v60, v6, v68
	v_pk_fma_f16 v70, v61, v6, v70
	;; [unrolled: 1-line block ×4, first 2 shown]
	ds_load_2addr_b64 v[60:63], v56 offset0:128 offset1:160
	v_pk_fma_f16 v64, v30, v6, v64
	v_pk_fma_f16 v74, v31, v6, v74
	;; [unrolled: 1-line block ×4, first 2 shown]
	ds_load_2addr_b64 v[30:33], v56 offset0:192 offset1:224
	v_and_b32_e32 v4, 0xffff, v7
	s_delay_alu instid0(VALU_DEP_1)
	v_mul_u32_u24_e32 v79, 0x10001, v4
	ds_load_2addr_b64 v[4:7], v57 offset1:32
	s_wait_dscnt 0x2
	v_pk_fma_f16 v65, v60, v79, v65
	v_pk_fma_f16 v68, v60, v80, v68
	;; [unrolled: 1-line block ×8, first 2 shown]
	ds_load_2addr_b64 v[60:63], v57 offset0:64 offset1:96
	s_wait_dscnt 0x2
	v_pk_fma_f16 v71, v30, v79, v71
	v_pk_fma_f16 v72, v31, v79, v72
	;; [unrolled: 1-line block ×4, first 2 shown]
	v_and_b32_e32 v30, 0xffff, v34
	v_lshrrev_b32_e32 v31, 16, v34
	v_pk_fma_f16 v69, v32, v79, v69
	v_pk_fma_f16 v66, v33, v79, v66
	;; [unrolled: 1-line block ×3, first 2 shown]
	v_mul_u32_u24_e32 v30, 0x10001, v30
	v_mul_u32_u24_e32 v34, 0x10001, v31
	v_pk_fma_f16 v78, v33, v80, v78
	v_lshrrev_b32_e32 v80, 16, v37
	v_and_b32_e32 v79, 0xffff, v37
	s_wait_dscnt 0x1
	v_pk_fma_f16 v65, v4, v30, v65
	v_pk_fma_f16 v68, v4, v34, v68
	;; [unrolled: 1-line block ×8, first 2 shown]
	ds_load_2addr_b64 v[4:7], v57 offset0:128 offset1:160
	s_wait_dscnt 0x1
	v_pk_fma_f16 v71, v60, v30, v71
	v_pk_fma_f16 v72, v61, v30, v72
	;; [unrolled: 1-line block ×4, first 2 shown]
	ds_load_2addr_b64 v[30:33], v57 offset0:192 offset1:224
	v_pk_fma_f16 v64, v60, v34, v64
	v_and_b32_e32 v60, 0xffff, v35
	v_lshrrev_b32_e32 v35, 16, v35
	v_pk_fma_f16 v74, v61, v34, v74
	v_pk_fma_f16 v76, v62, v34, v76
	;; [unrolled: 1-line block ×3, first 2 shown]
	v_mul_u32_u24_e32 v60, 0x10001, v60
	v_mul_u32_u24_e32 v35, 0x10001, v35
	s_wait_dscnt 0x1
	s_delay_alu instid0(VALU_DEP_2) | instskip(NEXT) | instid1(VALU_DEP_2)
	v_pk_fma_f16 v65, v4, v60, v65
	v_pk_fma_f16 v68, v4, v35, v68
	;; [unrolled: 1-line block ×8, first 2 shown]
	ds_load_2addr_b64 v[4:7], v58 offset1:32
	s_wait_dscnt 0x1
	v_pk_fma_f16 v71, v30, v60, v71
	v_pk_fma_f16 v72, v31, v60, v72
	v_pk_fma_f16 v69, v32, v60, v69
	v_pk_fma_f16 v66, v33, v60, v66
	ds_load_2addr_b64 v[60:63], v58 offset0:64 offset1:96
	v_pk_fma_f16 v64, v30, v35, v64
	v_pk_fma_f16 v74, v31, v35, v74
	v_and_b32_e32 v30, 0xffff, v36
	v_lshrrev_b32_e32 v31, 16, v36
	v_pk_fma_f16 v76, v32, v35, v76
	v_pk_fma_f16 v34, v33, v35, v34
	s_delay_alu instid0(VALU_DEP_4) | instskip(NEXT) | instid1(VALU_DEP_4)
	v_mul_u32_u24_e32 v30, 0x10001, v30
	v_mul_u32_u24_e32 v35, 0x10001, v31
	s_wait_dscnt 0x1
	s_delay_alu instid0(VALU_DEP_2) | instskip(NEXT) | instid1(VALU_DEP_2)
	v_pk_fma_f16 v65, v4, v30, v65
	v_pk_fma_f16 v68, v4, v35, v68
	;; [unrolled: 1-line block ×8, first 2 shown]
	ds_load_2addr_b64 v[4:7], v58 offset0:128 offset1:160
	s_wait_dscnt 0x1
	v_pk_fma_f16 v71, v60, v30, v71
	v_pk_fma_f16 v72, v61, v30, v72
	;; [unrolled: 1-line block ×4, first 2 shown]
	ds_load_2addr_b64 v[30:33], v58 offset0:192 offset1:224
	s_wait_dscnt 0x0
	s_barrier_signal -1
	s_barrier_wait -1
	v_pk_fma_f16 v64, v60, v35, v64
	v_pk_fma_f16 v74, v61, v35, v74
	;; [unrolled: 1-line block ×4, first 2 shown]
	s_clause 0x1
	global_load_b128 v[60:63], v[28:29], off
	global_load_b128 v[34:37], v[28:29], off offset:512
	s_wait_xcnt 0x0
	v_mul_u32_u24_e32 v28, 0x10001, v79
	v_mul_u32_u24_e32 v29, 0x10001, v80
	s_wait_loadcnt 0x1
	ds_store_b128 v52, v[60:63]
	s_wait_loadcnt 0x0
	ds_store_b128 v53, v[34:37]
	v_pk_fma_f16 v65, v4, v28, v65
	v_pk_fma_f16 v68, v4, v29, v68
	;; [unrolled: 1-line block ×16, first 2 shown]
	s_wait_dscnt 0x0
	s_barrier_signal -1
	s_barrier_wait -1
	ds_load_b128 v[4:7], v51 offset:64
	ds_load_2addr_b64 v[28:31], v54 offset1:32
	ds_load_2addr_b64 v[32:35], v54 offset0:64 offset1:96
	ds_load_b128 v[60:63], v51 offset:80
	s_wait_dscnt 0x3
	v_and_b32_e32 v36, 0xffff, v4
	v_dual_lshrrev_b32 v4, 16, v4 :: v_dual_lshrrev_b32 v79, 16, v7
	s_delay_alu instid0(VALU_DEP_2) | instskip(NEXT) | instid1(VALU_DEP_2)
	v_mul_u32_u24_e32 v36, 0x10001, v36
	v_mul_u32_u24_e32 v4, 0x10001, v4
	s_wait_dscnt 0x2
	s_delay_alu instid0(VALU_DEP_2) | instskip(NEXT) | instid1(VALU_DEP_2)
	v_pk_fma_f16 v37, v28, v36, v65
	v_pk_fma_f16 v65, v28, v4, v68
	;; [unrolled: 1-line block ×8, first 2 shown]
	ds_load_2addr_b64 v[28:31], v54 offset0:128 offset1:160
	s_wait_dscnt 0x2
	v_pk_fma_f16 v71, v32, v36, v71
	v_pk_fma_f16 v72, v33, v36, v72
	;; [unrolled: 1-line block ×8, first 2 shown]
	ds_load_2addr_b64 v[32:35], v54 offset0:192 offset1:224
	v_and_b32_e32 v76, 0xffff, v5
	v_lshrrev_b32_e32 v5, 16, v5
	v_and_b32_e32 v78, 0xffff, v7
	s_delay_alu instid0(VALU_DEP_3) | instskip(NEXT) | instid1(VALU_DEP_3)
	v_mul_u32_u24_e32 v76, 0x10001, v76
	v_mul_u32_u24_e32 v5, 0x10001, v5
	s_wait_dscnt 0x1
	s_delay_alu instid0(VALU_DEP_2) | instskip(NEXT) | instid1(VALU_DEP_2)
	v_pk_fma_f16 v37, v28, v76, v37
	v_pk_fma_f16 v65, v28, v5, v65
	;; [unrolled: 1-line block ×8, first 2 shown]
	ds_load_2addr_b64 v[28:31], v56 offset1:32
	s_wait_dscnt 0x1
	v_pk_fma_f16 v71, v32, v76, v71
	v_pk_fma_f16 v72, v33, v76, v72
	;; [unrolled: 1-line block ×8, first 2 shown]
	ds_load_2addr_b64 v[32:35], v56 offset0:64 offset1:96
	v_and_b32_e32 v4, 0xffff, v6
	v_lshrrev_b32_e32 v5, 16, v6
	s_delay_alu instid0(VALU_DEP_2) | instskip(NEXT) | instid1(VALU_DEP_2)
	v_mul_u32_u24_e32 v4, 0x10001, v4
	v_mul_u32_u24_e32 v77, 0x10001, v5
	s_wait_dscnt 0x1
	s_delay_alu instid0(VALU_DEP_2) | instskip(NEXT) | instid1(VALU_DEP_2)
	v_pk_fma_f16 v37, v28, v4, v37
	v_pk_fma_f16 v65, v28, v77, v65
	;; [unrolled: 1-line block ×8, first 2 shown]
	ds_load_2addr_b64 v[28:31], v56 offset0:128 offset1:160
	s_wait_dscnt 0x1
	v_pk_fma_f16 v71, v32, v4, v71
	v_pk_fma_f16 v72, v33, v4, v72
	;; [unrolled: 1-line block ×4, first 2 shown]
	ds_load_2addr_b64 v[4:7], v56 offset0:192 offset1:224
	v_pk_fma_f16 v64, v32, v77, v64
	v_pk_fma_f16 v66, v33, v77, v66
	;; [unrolled: 1-line block ×4, first 2 shown]
	v_mul_u32_u24_e32 v77, 0x10001, v78
	v_mul_u32_u24_e32 v78, 0x10001, v79
	ds_load_2addr_b64 v[32:35], v57 offset1:32
	s_wait_dscnt 0x2
	v_pk_fma_f16 v37, v28, v77, v37
	v_pk_fma_f16 v65, v28, v78, v65
	;; [unrolled: 1-line block ×8, first 2 shown]
	ds_load_2addr_b64 v[28:31], v57 offset0:64 offset1:96
	s_wait_dscnt 0x2
	v_pk_fma_f16 v71, v4, v77, v71
	v_pk_fma_f16 v72, v5, v77, v72
	;; [unrolled: 1-line block ×8, first 2 shown]
	ds_load_2addr_b64 v[4:7], v57 offset0:128 offset1:160
	v_and_b32_e32 v77, 0xffff, v60
	v_lshrrev_b32_e32 v60, 16, v60
	s_delay_alu instid0(VALU_DEP_2) | instskip(NEXT) | instid1(VALU_DEP_2)
	v_mul_u32_u24_e32 v77, 0x10001, v77
	v_mul_u32_u24_e32 v60, 0x10001, v60
	s_wait_dscnt 0x2
	s_delay_alu instid0(VALU_DEP_2) | instskip(NEXT) | instid1(VALU_DEP_2)
	v_pk_fma_f16 v37, v32, v77, v37
	v_pk_fma_f16 v65, v32, v60, v65
	;; [unrolled: 1-line block ×8, first 2 shown]
	ds_load_2addr_b64 v[32:35], v57 offset0:192 offset1:224
	s_wait_dscnt 0x2
	v_pk_fma_f16 v64, v28, v60, v64
	v_pk_fma_f16 v66, v29, v60, v66
	;; [unrolled: 1-line block ×4, first 2 shown]
	v_and_b32_e32 v76, 0xffff, v61
	v_lshrrev_b32_e32 v61, 16, v61
	v_pk_fma_f16 v71, v28, v77, v71
	v_pk_fma_f16 v72, v29, v77, v72
	;; [unrolled: 1-line block ×3, first 2 shown]
	v_mul_u32_u24_e32 v76, 0x10001, v76
	v_mul_u32_u24_e32 v61, 0x10001, v61
	v_pk_fma_f16 v36, v31, v77, v36
	ds_load_2addr_b64 v[28:31], v58 offset1:32
	s_wait_dscnt 0x2
	v_pk_fma_f16 v37, v4, v76, v37
	v_pk_fma_f16 v65, v4, v61, v65
	;; [unrolled: 1-line block ×8, first 2 shown]
	ds_load_2addr_b64 v[4:7], v58 offset0:64 offset1:96
	s_wait_dscnt 0x2
	v_pk_fma_f16 v64, v32, v61, v64
	v_pk_fma_f16 v66, v33, v61, v66
	;; [unrolled: 1-line block ×4, first 2 shown]
	v_and_b32_e32 v61, 0xffff, v62
	v_lshrrev_b32_e32 v62, 16, v62
	v_pk_fma_f16 v71, v32, v76, v71
	v_pk_fma_f16 v72, v33, v76, v72
	;; [unrolled: 1-line block ×4, first 2 shown]
	v_mul_u32_u24_e32 v61, 0x10001, v61
	v_mul_u32_u24_e32 v62, 0x10001, v62
	ds_load_2addr_b64 v[32:35], v58 offset0:128 offset1:160
	s_wait_dscnt 0x2
	v_pk_fma_f16 v37, v28, v61, v37
	v_pk_fma_f16 v76, v28, v62, v65
	;; [unrolled: 1-line block ×8, first 2 shown]
	ds_load_2addr_b64 v[28:31], v58 offset0:192 offset1:224
	s_wait_dscnt 0x0
	s_barrier_signal -1
	s_barrier_wait -1
	v_pk_fma_f16 v71, v4, v61, v71
	v_pk_fma_f16 v72, v5, v61, v72
	;; [unrolled: 1-line block ×8, first 2 shown]
	s_clause 0x1
	global_load_b128 v[4:7], v[26:27], off
	global_load_b128 v[64:67], v[26:27], off offset:512
	s_wait_xcnt 0x0
	v_and_b32_e32 v26, 0xffff, v63
	v_lshrrev_b32_e32 v27, 16, v63
	s_wait_loadcnt 0x1
	ds_store_b128 v52, v[4:7]
	s_wait_loadcnt 0x0
	ds_store_b128 v53, v[64:67]
	v_mul_u32_u24_e32 v26, 0x10001, v26
	v_mul_u32_u24_e32 v27, 0x10001, v27
	s_wait_dscnt 0x0
	s_barrier_signal -1
	s_barrier_wait -1
	v_pk_fma_f16 v62, v32, v26, v37
	v_pk_fma_f16 v63, v32, v27, v76
	;; [unrolled: 1-line block ×16, first 2 shown]
	ds_load_b128 v[4:7], v51 offset:96
	ds_load_2addr_b64 v[26:29], v54 offset1:32
	ds_load_2addr_b64 v[30:33], v54 offset0:64 offset1:96
	ds_load_b128 v[34:37], v51 offset:112
	s_wait_dscnt 0x3
	v_and_b32_e32 v60, 0xffff, v4
	s_wait_dscnt 0x0
	v_dual_lshrrev_b32 v4, 16, v4 :: v_dual_lshrrev_b32 v81, 16, v37
	s_delay_alu instid0(VALU_DEP_2) | instskip(NEXT) | instid1(VALU_DEP_2)
	v_mul_u32_u24_e32 v60, 0x10001, v60
	v_mul_u32_u24_e32 v4, 0x10001, v4
	s_delay_alu instid0(VALU_DEP_2) | instskip(NEXT) | instid1(VALU_DEP_2)
	v_pk_fma_f16 v64, v26, v60, v62
	v_pk_fma_f16 v65, v26, v4, v63
	;; [unrolled: 1-line block ×8, first 2 shown]
	ds_load_2addr_b64 v[26:29], v54 offset0:128 offset1:160
	v_pk_fma_f16 v71, v30, v60, v71
	v_pk_fma_f16 v72, v31, v60, v72
	;; [unrolled: 1-line block ×4, first 2 shown]
	ds_load_2addr_b64 v[60:63], v54 offset0:192 offset1:224
	v_pk_fma_f16 v76, v30, v4, v79
	v_and_b32_e32 v30, 0xffff, v5
	v_lshrrev_b32_e32 v5, 16, v5
	v_pk_fma_f16 v77, v31, v4, v78
	v_pk_fma_f16 v74, v32, v4, v74
	;; [unrolled: 1-line block ×3, first 2 shown]
	v_mul_u32_u24_e32 v30, 0x10001, v30
	v_mul_u32_u24_e32 v5, 0x10001, v5
	s_wait_dscnt 0x1
	s_delay_alu instid0(VALU_DEP_2) | instskip(NEXT) | instid1(VALU_DEP_2)
	v_pk_fma_f16 v64, v26, v30, v64
	v_pk_fma_f16 v65, v26, v5, v65
	;; [unrolled: 1-line block ×8, first 2 shown]
	ds_load_2addr_b64 v[26:29], v56 offset1:32
	s_wait_dscnt 0x1
	v_pk_fma_f16 v71, v60, v30, v71
	v_pk_fma_f16 v72, v61, v30, v72
	;; [unrolled: 1-line block ×4, first 2 shown]
	ds_load_2addr_b64 v[30:33], v56 offset0:64 offset1:96
	v_pk_fma_f16 v76, v60, v5, v76
	v_pk_fma_f16 v77, v61, v5, v77
	v_pk_fma_f16 v74, v62, v5, v74
	v_pk_fma_f16 v4, v63, v5, v4
	v_and_b32_e32 v5, 0xffff, v6
	v_lshrrev_b32_e32 v6, 16, v6
	ds_load_2addr_b64 v[60:63], v56 offset0:192 offset1:224
	v_mul_u32_u24_e32 v5, 0x10001, v5
	s_wait_dscnt 0x2
	s_delay_alu instid0(VALU_DEP_1)
	v_pk_fma_f16 v64, v26, v5, v64
	v_pk_fma_f16 v59, v27, v5, v59
	v_pk_fma_f16 v67, v28, v5, v67
	v_pk_fma_f16 v70, v29, v5, v70
	s_wait_dscnt 0x1
	v_pk_fma_f16 v71, v30, v5, v71
	v_pk_fma_f16 v72, v31, v5, v72
	;; [unrolled: 1-line block ×4, first 2 shown]
	v_lshrrev_b32_e32 v5, 16, v7
	v_mul_u32_u24_e32 v6, 0x10001, v6
	s_delay_alu instid0(VALU_DEP_2) | instskip(NEXT) | instid1(VALU_DEP_2)
	v_mul_u32_u24_e32 v80, 0x10001, v5
	v_pk_fma_f16 v65, v26, v6, v65
	v_pk_fma_f16 v66, v27, v6, v66
	;; [unrolled: 1-line block ×4, first 2 shown]
	ds_load_2addr_b64 v[26:29], v56 offset0:128 offset1:160
	v_pk_fma_f16 v78, v33, v6, v4
	v_and_b32_e32 v4, 0xffff, v7
	v_pk_fma_f16 v76, v30, v6, v76
	v_pk_fma_f16 v77, v31, v6, v77
	;; [unrolled: 1-line block ×3, first 2 shown]
	ds_load_2addr_b64 v[30:33], v57 offset1:32
	v_mul_u32_u24_e32 v79, 0x10001, v4
	ds_load_2addr_b64 v[4:7], v57 offset0:64 offset1:96
	s_wait_dscnt 0x3
	v_pk_fma_f16 v76, v60, v80, v76
	v_pk_fma_f16 v77, v61, v80, v77
	;; [unrolled: 1-line block ×4, first 2 shown]
	v_and_b32_e32 v60, 0xffff, v34
	v_lshrrev_b32_e32 v34, 16, v34
	v_pk_fma_f16 v72, v61, v79, v72
	v_pk_fma_f16 v69, v62, v79, v69
	;; [unrolled: 1-line block ×3, first 2 shown]
	v_mul_u32_u24_e32 v60, 0x10001, v60
	v_mul_u32_u24_e32 v34, 0x10001, v34
	s_wait_dscnt 0x2
	v_pk_fma_f16 v64, v26, v79, v64
	v_pk_fma_f16 v65, v26, v80, v65
	;; [unrolled: 1-line block ×8, first 2 shown]
	ds_load_2addr_b64 v[26:29], v57 offset0:128 offset1:160
	s_wait_dscnt 0x2
	v_pk_fma_f16 v64, v30, v60, v64
	v_pk_fma_f16 v65, v30, v34, v65
	;; [unrolled: 1-line block ×8, first 2 shown]
	ds_load_2addr_b64 v[30:33], v57 offset0:192 offset1:224
	v_pk_fma_f16 v78, v63, v80, v78
	s_wait_dscnt 0x2
	v_pk_fma_f16 v71, v4, v60, v71
	v_pk_fma_f16 v72, v5, v60, v72
	;; [unrolled: 1-line block ×4, first 2 shown]
	ds_load_2addr_b64 v[60:63], v58 offset1:32
	v_pk_fma_f16 v76, v4, v34, v76
	v_pk_fma_f16 v77, v5, v34, v77
	v_and_b32_e32 v4, 0xffff, v35
	v_lshrrev_b32_e32 v5, 16, v35
	v_pk_fma_f16 v74, v6, v34, v74
	v_pk_fma_f16 v34, v7, v34, v78
	v_and_b32_e32 v79, 0xffff, v36
	v_mul_u32_u24_e32 v35, 0x10001, v4
	v_mul_u32_u24_e32 v78, 0x10001, v5
	v_lshrrev_b32_e32 v36, 16, v36
	ds_load_2addr_b64 v[4:7], v58 offset0:64 offset1:96
	v_mul_u32_u24_e32 v79, 0x10001, v79
	s_wait_dscnt 0x3
	v_pk_fma_f16 v64, v26, v35, v64
	v_pk_fma_f16 v65, v26, v78, v65
	;; [unrolled: 1-line block ×8, first 2 shown]
	v_mul_u32_u24_e32 v82, 0x10001, v36
	v_and_b32_e32 v80, 0xffff, v37
	s_wait_dscnt 0x2
	v_pk_fma_f16 v71, v30, v35, v71
	v_pk_fma_f16 v72, v31, v35, v72
	;; [unrolled: 1-line block ×4, first 2 shown]
	ds_load_2addr_b64 v[26:29], v58 offset0:128 offset1:160
	v_pk_fma_f16 v76, v30, v78, v76
	v_pk_fma_f16 v77, v31, v78, v77
	;; [unrolled: 1-line block ×4, first 2 shown]
	ds_load_2addr_b64 v[30:33], v58 offset0:192 offset1:224
	s_wait_dscnt 0x0
	s_barrier_signal -1
	s_barrier_wait -1
	global_load_b128 v[34:37], v[24:25], off
	v_pk_fma_f16 v64, v60, v79, v64
	v_pk_fma_f16 v65, v60, v82, v65
	v_pk_fma_f16 v59, v61, v79, v59
	v_pk_fma_f16 v66, v61, v82, v66
	v_pk_fma_f16 v67, v62, v79, v67
	v_pk_fma_f16 v68, v62, v82, v68
	v_pk_fma_f16 v70, v63, v79, v70
	v_pk_fma_f16 v73, v63, v82, v73
	global_load_b128 v[60:63], v[24:25], off offset:512
	v_pk_fma_f16 v71, v4, v79, v71
	v_pk_fma_f16 v72, v5, v79, v72
	;; [unrolled: 1-line block ×4, first 2 shown]
	s_wait_xcnt 0x0
	v_mul_u32_u24_e32 v24, 0x10001, v80
	v_mul_u32_u24_e32 v25, 0x10001, v81
	v_pk_fma_f16 v4, v4, v82, v76
	v_pk_fma_f16 v5, v5, v82, v77
	v_pk_fma_f16 v6, v6, v82, v74
	v_pk_fma_f16 v7, v7, v82, v78
	v_pk_fma_f16 v64, v26, v24, v64
	v_pk_fma_f16 v65, v26, v25, v65
	v_pk_fma_f16 v59, v27, v24, v59
	v_pk_fma_f16 v66, v27, v25, v66
	v_pk_fma_f16 v67, v28, v24, v67
	v_pk_fma_f16 v68, v28, v25, v68
	v_pk_fma_f16 v70, v29, v24, v70
	v_pk_fma_f16 v73, v29, v25, v73
	v_pk_fma_f16 v71, v30, v24, v71
	v_pk_fma_f16 v72, v31, v24, v72
	v_pk_fma_f16 v69, v32, v24, v69
	v_pk_fma_f16 v74, v33, v24, v75
	v_pk_fma_f16 v75, v30, v25, v4
	v_pk_fma_f16 v76, v31, v25, v5
	v_pk_fma_f16 v77, v32, v25, v6
	v_pk_fma_f16 v78, v33, v25, v7
	s_wait_loadcnt 0x1
	ds_store_b128 v52, v[34:37]
	s_wait_loadcnt 0x0
	ds_store_b128 v53, v[60:63]
	s_wait_dscnt 0x0
	s_barrier_signal -1
	s_barrier_wait -1
	ds_load_b128 v[4:7], v51 offset:128
	ds_load_2addr_b64 v[24:27], v54 offset1:32
	ds_load_2addr_b64 v[28:31], v54 offset0:64 offset1:96
	ds_load_2addr_b64 v[32:35], v54 offset0:128 offset1:160
	ds_load_b128 v[60:63], v51 offset:144
	s_wait_dscnt 0x4
	v_and_b32_e32 v36, 0xffff, v4
	v_dual_lshrrev_b32 v4, 16, v4 :: v_dual_lshrrev_b32 v79, 16, v7
	s_wait_dscnt 0x0
	v_lshrrev_b32_e32 v80, 16, v63
	s_delay_alu instid0(VALU_DEP_3) | instskip(NEXT) | instid1(VALU_DEP_3)
	v_mul_u32_u24_e32 v36, 0x10001, v36
	v_mul_u32_u24_e32 v4, 0x10001, v4
	s_delay_alu instid0(VALU_DEP_2) | instskip(NEXT) | instid1(VALU_DEP_2)
	v_pk_fma_f16 v37, v24, v36, v64
	v_pk_fma_f16 v64, v24, v4, v65
	;; [unrolled: 1-line block ×8, first 2 shown]
	ds_load_2addr_b64 v[24:27], v54 offset0:192 offset1:224
	v_pk_fma_f16 v71, v28, v36, v71
	v_pk_fma_f16 v72, v29, v36, v72
	;; [unrolled: 1-line block ×8, first 2 shown]
	ds_load_2addr_b64 v[28:31], v56 offset1:32
	v_and_b32_e32 v76, 0xffff, v5
	v_lshrrev_b32_e32 v5, 16, v5
	v_and_b32_e32 v78, 0xffff, v7
	s_delay_alu instid0(VALU_DEP_3) | instskip(NEXT) | instid1(VALU_DEP_3)
	v_mul_u32_u24_e32 v76, 0x10001, v76
	v_mul_u32_u24_e32 v5, 0x10001, v5
	s_delay_alu instid0(VALU_DEP_2) | instskip(NEXT) | instid1(VALU_DEP_2)
	v_pk_fma_f16 v37, v32, v76, v37
	v_pk_fma_f16 v64, v32, v5, v64
	;; [unrolled: 1-line block ×8, first 2 shown]
	ds_load_2addr_b64 v[32:35], v56 offset0:64 offset1:96
	s_wait_dscnt 0x2
	v_pk_fma_f16 v71, v24, v76, v71
	v_pk_fma_f16 v72, v25, v76, v72
	;; [unrolled: 1-line block ×8, first 2 shown]
	v_and_b32_e32 v4, 0xffff, v6
	v_lshrrev_b32_e32 v5, 16, v6
	ds_load_2addr_b64 v[24:27], v56 offset0:128 offset1:160
	v_mul_u32_u24_e32 v4, 0x10001, v4
	v_mul_u32_u24_e32 v77, 0x10001, v5
	s_wait_dscnt 0x2
	s_delay_alu instid0(VALU_DEP_2) | instskip(NEXT) | instid1(VALU_DEP_2)
	v_pk_fma_f16 v37, v28, v4, v37
	v_pk_fma_f16 v64, v28, v77, v64
	v_pk_fma_f16 v59, v29, v4, v59
	v_pk_fma_f16 v65, v29, v77, v65
	v_pk_fma_f16 v66, v30, v4, v66
	v_pk_fma_f16 v67, v30, v77, v67
	v_pk_fma_f16 v68, v31, v4, v68
	v_pk_fma_f16 v70, v31, v77, v70
	ds_load_2addr_b64 v[28:31], v56 offset0:192 offset1:224
	s_wait_dscnt 0x2
	v_pk_fma_f16 v71, v32, v4, v71
	v_pk_fma_f16 v72, v33, v4, v72
	;; [unrolled: 1-line block ×4, first 2 shown]
	ds_load_2addr_b64 v[4:7], v57 offset1:32
	v_pk_fma_f16 v73, v32, v77, v73
	v_pk_fma_f16 v74, v33, v77, v74
	;; [unrolled: 1-line block ×4, first 2 shown]
	ds_load_2addr_b64 v[32:35], v57 offset0:64 offset1:96
	v_mul_u32_u24_e32 v77, 0x10001, v78
	v_mul_u32_u24_e32 v78, 0x10001, v79
	v_and_b32_e32 v79, 0xffff, v63
	s_wait_dscnt 0x3
	s_delay_alu instid0(VALU_DEP_3) | instskip(NEXT) | instid1(VALU_DEP_3)
	v_pk_fma_f16 v37, v24, v77, v37
	v_pk_fma_f16 v64, v24, v78, v64
	;; [unrolled: 1-line block ×8, first 2 shown]
	ds_load_2addr_b64 v[24:27], v57 offset0:128 offset1:160
	s_wait_dscnt 0x3
	v_pk_fma_f16 v71, v28, v77, v71
	v_pk_fma_f16 v72, v29, v77, v72
	;; [unrolled: 1-line block ×8, first 2 shown]
	ds_load_2addr_b64 v[28:31], v57 offset0:192 offset1:224
	v_and_b32_e32 v77, 0xffff, v60
	v_lshrrev_b32_e32 v60, 16, v60
	s_delay_alu instid0(VALU_DEP_2) | instskip(NEXT) | instid1(VALU_DEP_2)
	v_mul_u32_u24_e32 v77, 0x10001, v77
	v_mul_u32_u24_e32 v60, 0x10001, v60
	s_wait_dscnt 0x3
	s_delay_alu instid0(VALU_DEP_2) | instskip(NEXT) | instid1(VALU_DEP_2)
	v_pk_fma_f16 v37, v4, v77, v37
	v_pk_fma_f16 v64, v4, v60, v64
	;; [unrolled: 1-line block ×8, first 2 shown]
	ds_load_2addr_b64 v[4:7], v58 offset1:32
	s_wait_dscnt 0x3
	v_pk_fma_f16 v73, v32, v60, v73
	v_pk_fma_f16 v74, v33, v60, v74
	;; [unrolled: 1-line block ×4, first 2 shown]
	v_and_b32_e32 v76, 0xffff, v61
	v_lshrrev_b32_e32 v61, 16, v61
	v_pk_fma_f16 v71, v32, v77, v71
	v_pk_fma_f16 v72, v33, v77, v72
	;; [unrolled: 1-line block ×4, first 2 shown]
	v_mul_u32_u24_e32 v76, 0x10001, v76
	v_mul_u32_u24_e32 v61, 0x10001, v61
	ds_load_2addr_b64 v[32:35], v58 offset0:64 offset1:96
	s_wait_dscnt 0x3
	v_pk_fma_f16 v37, v24, v76, v37
	v_pk_fma_f16 v64, v24, v61, v64
	;; [unrolled: 1-line block ×8, first 2 shown]
	s_wait_dscnt 0x2
	v_pk_fma_f16 v71, v28, v76, v71
	v_pk_fma_f16 v72, v29, v76, v72
	;; [unrolled: 1-line block ×8, first 2 shown]
	v_and_b32_e32 v60, 0xffff, v62
	v_lshrrev_b32_e32 v61, 16, v62
	ds_load_2addr_b64 v[24:27], v58 offset0:128 offset1:160
	ds_load_2addr_b64 v[28:31], v58 offset0:192 offset1:224
	s_wait_dscnt 0x0
	v_mul_u32_u24_e32 v77, 0x10001, v60
	v_mul_u32_u24_e32 v78, 0x10001, v61
	s_barrier_signal -1
	s_barrier_wait -1
	s_delay_alu instid0(VALU_DEP_2) | instskip(NEXT) | instid1(VALU_DEP_2)
	v_pk_fma_f16 v37, v4, v77, v37
	v_pk_fma_f16 v64, v4, v78, v64
	;; [unrolled: 1-line block ×8, first 2 shown]
	s_clause 0x1
	global_load_b128 v[4:7], v[10:11], off
	global_load_b128 v[60:63], v[10:11], off offset:512
	s_wait_xcnt 0x0
	v_mul_u32_u24_e32 v10, 0x10001, v79
	v_mul_u32_u24_e32 v11, 0x10001, v80
	v_pk_fma_f16 v71, v32, v77, v71
	v_pk_fma_f16 v72, v33, v77, v72
	;; [unrolled: 1-line block ×24, first 2 shown]
	s_wait_loadcnt 0x1
	ds_store_b128 v52, v[4:7]
	s_wait_loadcnt 0x0
	ds_store_b128 v53, v[60:63]
	s_wait_dscnt 0x0
	s_barrier_signal -1
	s_barrier_wait -1
	ds_load_b128 v[4:7], v51 offset:160
	ds_load_2addr_b64 v[24:27], v54 offset1:32
	ds_load_2addr_b64 v[28:31], v54 offset0:64 offset1:96
	ds_load_2addr_b64 v[32:35], v54 offset0:128 offset1:160
	ds_load_b128 v[60:63], v51 offset:176
	s_wait_dscnt 0x4
	v_and_b32_e32 v75, 0xffff, v4
	v_lshrrev_b32_e32 v4, 16, v4
	s_delay_alu instid0(VALU_DEP_2) | instskip(NEXT) | instid1(VALU_DEP_2)
	v_mul_u32_u24_e32 v75, 0x10001, v75
	v_mul_u32_u24_e32 v4, 0x10001, v4
	s_wait_dscnt 0x3
	s_delay_alu instid0(VALU_DEP_2) | instskip(NEXT) | instid1(VALU_DEP_2)
	v_pk_fma_f16 v37, v24, v75, v37
	v_pk_fma_f16 v76, v24, v4, v64
	;; [unrolled: 1-line block ×8, first 2 shown]
	ds_load_2addr_b64 v[24:27], v54 offset0:192 offset1:224
	s_wait_dscnt 0x3
	v_pk_fma_f16 v71, v28, v75, v71
	v_pk_fma_f16 v72, v29, v75, v72
	;; [unrolled: 1-line block ×4, first 2 shown]
	ds_load_2addr_b64 v[64:67], v56 offset1:32
	v_pk_fma_f16 v36, v28, v4, v36
	v_pk_fma_f16 v73, v29, v4, v73
	;; [unrolled: 1-line block ×4, first 2 shown]
	v_and_b32_e32 v11, 0xffff, v5
	v_lshrrev_b32_e32 v5, 16, v5
	ds_load_2addr_b64 v[28:31], v56 offset0:64 offset1:96
	v_mul_u32_u24_e32 v11, 0x10001, v11
	v_mul_u32_u24_e32 v5, 0x10001, v5
	s_wait_dscnt 0x4
	s_delay_alu instid0(VALU_DEP_2) | instskip(NEXT) | instid1(VALU_DEP_2)
	v_pk_fma_f16 v37, v32, v11, v37
	v_pk_fma_f16 v75, v32, v5, v76
	;; [unrolled: 1-line block ×8, first 2 shown]
	s_wait_dscnt 0x2
	v_pk_fma_f16 v71, v24, v11, v71
	v_pk_fma_f16 v72, v25, v11, v72
	;; [unrolled: 1-line block ×4, first 2 shown]
	ds_load_2addr_b64 v[32:35], v56 offset0:128 offset1:160
	v_pk_fma_f16 v11, v24, v5, v36
	v_pk_fma_f16 v36, v25, v5, v73
	;; [unrolled: 1-line block ×4, first 2 shown]
	v_and_b32_e32 v5, 0xffff, v6
	v_lshrrev_b32_e32 v6, 16, v6
	ds_load_2addr_b64 v[24:27], v56 offset0:192 offset1:224
	v_mul_u32_u24_e32 v5, 0x10001, v5
	v_mul_u32_u24_e32 v6, 0x10001, v6
	s_wait_dscnt 0x3
	s_delay_alu instid0(VALU_DEP_2) | instskip(NEXT) | instid1(VALU_DEP_2)
	v_pk_fma_f16 v37, v64, v5, v37
	v_pk_fma_f16 v74, v64, v6, v75
	;; [unrolled: 1-line block ×7, first 2 shown]
	s_wait_dscnt 0x2
	v_pk_fma_f16 v71, v28, v5, v71
	v_pk_fma_f16 v72, v29, v5, v72
	;; [unrolled: 1-line block ×8, first 2 shown]
	ds_load_2addr_b64 v[28:31], v57 offset0:64 offset1:96
	v_and_b32_e32 v4, 0xffff, v7
	v_lshrrev_b32_e32 v5, 16, v7
	v_pk_fma_f16 v70, v67, v6, v70
	ds_load_2addr_b64 v[64:67], v57 offset1:32
	v_mul_u32_u24_e32 v79, 0x10001, v4
	v_mul_u32_u24_e32 v80, 0x10001, v5
	ds_load_2addr_b64 v[4:7], v57 offset0:128 offset1:160
	s_wait_dscnt 0x4
	v_pk_fma_f16 v37, v32, v79, v37
	v_pk_fma_f16 v74, v32, v80, v74
	;; [unrolled: 1-line block ×8, first 2 shown]
	s_wait_dscnt 0x3
	v_pk_fma_f16 v71, v24, v79, v71
	v_pk_fma_f16 v72, v25, v79, v72
	ds_load_2addr_b64 v[32:35], v57 offset0:192 offset1:224
	v_pk_fma_f16 v11, v24, v80, v11
	v_pk_fma_f16 v36, v25, v80, v36
	v_and_b32_e32 v24, 0xffff, v60
	v_lshrrev_b32_e32 v25, 16, v60
	v_pk_fma_f16 v69, v26, v79, v69
	v_pk_fma_f16 v10, v27, v79, v10
	;; [unrolled: 1-line block ×3, first 2 shown]
	v_mul_u32_u24_e32 v60, 0x10001, v24
	v_mul_u32_u24_e32 v79, 0x10001, v25
	v_pk_fma_f16 v78, v27, v80, v78
	ds_load_2addr_b64 v[24:27], v58 offset1:32
	s_wait_dscnt 0x4
	v_pk_fma_f16 v71, v28, v60, v71
	v_pk_fma_f16 v72, v29, v60, v72
	;; [unrolled: 1-line block ×4, first 2 shown]
	v_and_b32_e32 v28, 0xffff, v61
	v_lshrrev_b32_e32 v29, 16, v61
	s_wait_dscnt 0x3
	v_pk_fma_f16 v37, v64, v60, v37
	v_pk_fma_f16 v74, v64, v79, v74
	v_pk_fma_f16 v59, v65, v60, v59
	v_mul_u32_u24_e32 v28, 0x10001, v28
	v_mul_u32_u24_e32 v61, 0x10001, v29
	v_pk_fma_f16 v75, v65, v79, v75
	v_pk_fma_f16 v76, v66, v60, v76
	;; [unrolled: 1-line block ×9, first 2 shown]
	s_wait_dscnt 0x1
	v_pk_fma_f16 v71, v32, v28, v71
	v_pk_fma_f16 v72, v33, v28, v72
	;; [unrolled: 1-line block ×4, first 2 shown]
	v_and_b32_e32 v32, 0xffff, v62
	v_lshrrev_b32_e32 v33, 16, v62
	v_pk_fma_f16 v37, v4, v28, v37
	v_pk_fma_f16 v74, v4, v61, v74
	;; [unrolled: 1-line block ×10, first 2 shown]
	v_mul_u32_u24_e32 v62, 0x10001, v32
	v_mul_u32_u24_e32 v73, 0x10001, v33
	ds_load_2addr_b64 v[64:67], v58 offset0:64 offset1:96
	ds_load_2addr_b64 v[4:7], v58 offset0:128 offset1:160
	v_pk_fma_f16 v69, v34, v28, v69
	v_pk_fma_f16 v10, v35, v28, v10
	ds_load_2addr_b64 v[28:31], v58 offset0:192 offset1:224
	s_wait_dscnt 0x0
	s_barrier_signal -1
	s_barrier_wait -1
	v_pk_fma_f16 v37, v24, v62, v37
	v_pk_fma_f16 v74, v24, v73, v74
	;; [unrolled: 1-line block ×8, first 2 shown]
	s_clause 0x1
	global_load_b128 v[24:27], v[2:3], off
	global_load_b128 v[32:35], v[2:3], off offset:512
	s_wait_xcnt 0x0
	v_and_b32_e32 v2, 0xffff, v63
	v_lshrrev_b32_e32 v3, 16, v63
	v_pk_fma_f16 v63, v64, v62, v71
	v_pk_fma_f16 v71, v65, v62, v72
	;; [unrolled: 1-line block ×3, first 2 shown]
	v_mul_u32_u24_e32 v2, 0x10001, v2
	v_mul_u32_u24_e32 v3, 0x10001, v3
	v_pk_fma_f16 v10, v67, v62, v10
	v_pk_fma_f16 v11, v64, v73, v11
	v_pk_fma_f16 v36, v65, v73, v36
	v_pk_fma_f16 v60, v66, v73, v60
	v_pk_fma_f16 v61, v67, v73, v61
	v_pk_fma_f16 v37, v4, v2, v37
	v_pk_fma_f16 v72, v4, v3, v74
	v_pk_fma_f16 v59, v5, v2, v59
	v_pk_fma_f16 v73, v5, v3, v75
	v_pk_fma_f16 v74, v6, v2, v76
	v_pk_fma_f16 v6, v6, v3, v77
	v_pk_fma_f16 v68, v7, v2, v68
	v_pk_fma_f16 v7, v7, v3, v70
	v_pk_fma_f16 v70, v28, v2, v63
	v_pk_fma_f16 v71, v29, v2, v71
	v_pk_fma_f16 v69, v30, v2, v69
	v_pk_fma_f16 v10, v31, v2, v10
	v_pk_fma_f16 v11, v28, v3, v11
	v_pk_fma_f16 v36, v29, v3, v36
	v_pk_fma_f16 v75, v30, v3, v60
	v_pk_fma_f16 v76, v31, v3, v61
	s_wait_loadcnt 0x1
	ds_store_b128 v52, v[24:27]
	s_wait_loadcnt 0x0
	ds_store_b128 v53, v[32:35]
	s_wait_dscnt 0x0
	s_barrier_signal -1
	s_barrier_wait -1
	ds_load_b128 v[2:5], v51 offset:192
	ds_load_2addr_b64 v[24:27], v54 offset1:32
	ds_load_2addr_b64 v[28:31], v54 offset0:64 offset1:96
	ds_load_2addr_b64 v[32:35], v54 offset0:128 offset1:160
	;; [unrolled: 1-line block ×3, first 2 shown]
	ds_load_b128 v[64:67], v51 offset:208
	s_wait_dscnt 0x5
	v_and_b32_e32 v77, 0xffff, v2
	v_dual_lshrrev_b32 v2, 16, v2 :: v_dual_lshrrev_b32 v79, 16, v5
	v_and_b32_e32 v78, 0xffff, v5
	s_delay_alu instid0(VALU_DEP_3) | instskip(NEXT) | instid1(VALU_DEP_3)
	v_mul_u32_u24_e32 v77, 0x10001, v77
	v_mul_u32_u24_e32 v2, 0x10001, v2
	s_wait_dscnt 0x0
	v_lshrrev_b32_e32 v80, 16, v67
	s_delay_alu instid0(VALU_DEP_3) | instskip(NEXT) | instid1(VALU_DEP_3)
	v_pk_fma_f16 v37, v24, v77, v37
	v_pk_fma_f16 v72, v24, v2, v72
	;; [unrolled: 1-line block ×8, first 2 shown]
	ds_load_2addr_b64 v[24:27], v56 offset1:32
	v_pk_fma_f16 v70, v28, v77, v70
	v_pk_fma_f16 v71, v29, v77, v71
	;; [unrolled: 1-line block ×8, first 2 shown]
	ds_load_2addr_b64 v[28:31], v56 offset0:64 offset1:96
	v_and_b32_e32 v76, 0xffff, v3
	v_lshrrev_b32_e32 v3, 16, v3
	s_delay_alu instid0(VALU_DEP_2) | instskip(NEXT) | instid1(VALU_DEP_2)
	v_mul_u32_u24_e32 v76, 0x10001, v76
	v_mul_u32_u24_e32 v3, 0x10001, v3
	s_delay_alu instid0(VALU_DEP_2) | instskip(NEXT) | instid1(VALU_DEP_2)
	v_pk_fma_f16 v37, v32, v76, v37
	v_pk_fma_f16 v72, v32, v3, v72
	;; [unrolled: 1-line block ×8, first 2 shown]
	ds_load_2addr_b64 v[32:35], v56 offset0:128 offset1:160
	v_pk_fma_f16 v70, v60, v76, v70
	v_pk_fma_f16 v71, v61, v76, v71
	;; [unrolled: 1-line block ×8, first 2 shown]
	ds_load_2addr_b64 v[60:63], v56 offset0:192 offset1:224
	v_and_b32_e32 v2, 0xffff, v4
	v_lshrrev_b32_e32 v3, 16, v4
	s_delay_alu instid0(VALU_DEP_2) | instskip(NEXT) | instid1(VALU_DEP_2)
	v_mul_u32_u24_e32 v2, 0x10001, v2
	v_mul_u32_u24_e32 v77, 0x10001, v3
	s_wait_dscnt 0x3
	s_delay_alu instid0(VALU_DEP_2) | instskip(NEXT) | instid1(VALU_DEP_2)
	v_pk_fma_f16 v37, v24, v2, v37
	v_pk_fma_f16 v72, v24, v77, v72
	;; [unrolled: 1-line block ×8, first 2 shown]
	ds_load_2addr_b64 v[24:27], v57 offset1:32
	s_wait_dscnt 0x3
	v_pk_fma_f16 v70, v28, v2, v70
	v_pk_fma_f16 v71, v29, v2, v71
	v_pk_fma_f16 v69, v30, v2, v69
	v_pk_fma_f16 v10, v31, v2, v10
	ds_load_2addr_b64 v[2:5], v57 offset0:64 offset1:96
	v_pk_fma_f16 v11, v28, v77, v11
	v_pk_fma_f16 v36, v29, v77, v36
	;; [unrolled: 1-line block ×4, first 2 shown]
	v_mul_u32_u24_e32 v77, 0x10001, v78
	v_mul_u32_u24_e32 v78, 0x10001, v79
	ds_load_2addr_b64 v[28:31], v57 offset0:128 offset1:160
	v_and_b32_e32 v79, 0xffff, v67
	s_wait_dscnt 0x4
	v_pk_fma_f16 v37, v32, v77, v37
	v_pk_fma_f16 v72, v32, v78, v72
	;; [unrolled: 1-line block ×8, first 2 shown]
	ds_load_2addr_b64 v[32:35], v57 offset0:192 offset1:224
	s_wait_dscnt 0x4
	v_pk_fma_f16 v70, v60, v77, v70
	v_pk_fma_f16 v71, v61, v77, v71
	;; [unrolled: 1-line block ×4, first 2 shown]
	v_and_b32_e32 v77, 0xffff, v64
	v_lshrrev_b32_e32 v64, 16, v64
	v_pk_fma_f16 v11, v60, v78, v11
	v_pk_fma_f16 v36, v61, v78, v36
	;; [unrolled: 1-line block ×4, first 2 shown]
	v_mul_u32_u24_e32 v64, 0x10001, v64
	v_mul_u32_u24_e32 v77, 0x10001, v77
	ds_load_2addr_b64 v[60:63], v58 offset1:32
	v_lshrrev_b32_e32 v78, 16, v66
	s_wait_dscnt 0x4
	v_pk_fma_f16 v72, v24, v64, v72
	v_pk_fma_f16 v73, v25, v64, v73
	;; [unrolled: 1-line block ×4, first 2 shown]
	s_wait_dscnt 0x3
	v_pk_fma_f16 v11, v2, v64, v11
	v_pk_fma_f16 v36, v3, v64, v36
	;; [unrolled: 1-line block ×4, first 2 shown]
	v_and_b32_e32 v76, 0xffff, v65
	v_lshrrev_b32_e32 v65, 16, v65
	v_pk_fma_f16 v37, v24, v77, v37
	v_pk_fma_f16 v59, v25, v77, v59
	;; [unrolled: 1-line block ×8, first 2 shown]
	v_mul_u32_u24_e32 v76, 0x10001, v76
	v_mul_u32_u24_e32 v65, 0x10001, v65
	ds_load_2addr_b64 v[24:27], v58 offset0:64 offset1:96
	ds_load_2addr_b64 v[2:5], v58 offset0:128 offset1:160
	v_and_b32_e32 v77, 0xffff, v66
	s_wait_dscnt 0x4
	v_pk_fma_f16 v37, v28, v76, v37
	v_pk_fma_f16 v72, v28, v65, v72
	;; [unrolled: 1-line block ×8, first 2 shown]
	ds_load_2addr_b64 v[28:31], v58 offset0:192 offset1:224
	s_wait_dscnt 0x0
	s_barrier_signal -1
	s_barrier_wait -1
	v_pk_fma_f16 v70, v32, v76, v70
	v_pk_fma_f16 v71, v33, v76, v71
	;; [unrolled: 1-line block ×8, first 2 shown]
	s_clause 0x1
	global_load_b128 v[32:35], v[0:1], off
	global_load_b128 v[64:67], v[0:1], off offset:512
	s_wait_xcnt 0x0
	v_mul_u32_u24_e32 v0, 0x10001, v77
	v_mul_u32_u24_e32 v1, 0x10001, v78
	;; [unrolled: 1-line block ×4, first 2 shown]
	s_wait_loadcnt 0x1
	ds_store_b128 v52, v[32:35]
	s_wait_loadcnt 0x0
	ds_store_b128 v53, v[64:67]
	v_pk_fma_f16 v37, v60, v0, v37
	v_pk_fma_f16 v60, v60, v1, v72
	;; [unrolled: 1-line block ×32, first 2 shown]
	s_wait_dscnt 0x0
	s_barrier_signal -1
	s_barrier_wait -1
	ds_load_b128 v[0:3], v51 offset:224
	ds_load_2addr_b64 v[4:7], v54 offset1:32
	ds_load_2addr_b64 v[24:27], v54 offset0:64 offset1:96
	ds_load_2addr_b64 v[28:31], v54 offset0:128 offset1:160
	;; [unrolled: 1-line block ×3, first 2 shown]
	ds_load_b128 v[60:63], v51 offset:240
	s_wait_dscnt 0x5
	v_and_b32_e32 v64, 0xffff, v0
	v_lshrrev_b32_e32 v0, 16, v0
	s_delay_alu instid0(VALU_DEP_2) | instskip(NEXT) | instid1(VALU_DEP_2)
	v_mul_u32_u24_e32 v64, 0x10001, v64
	v_mul_u32_u24_e32 v0, 0x10001, v0
	s_wait_dscnt 0x4
	s_delay_alu instid0(VALU_DEP_2) | instskip(NEXT) | instid1(VALU_DEP_2)
	v_pk_fma_f16 v36, v4, v64, v36
	v_pk_fma_f16 v37, v4, v0, v37
	v_pk_fma_f16 v59, v5, v64, v59
	v_pk_fma_f16 v70, v5, v0, v70
	v_pk_fma_f16 v71, v6, v64, v71
	v_pk_fma_f16 v72, v6, v0, v72
	v_pk_fma_f16 v73, v7, v64, v73
	v_pk_fma_f16 v74, v7, v0, v74
	ds_load_2addr_b64 v[4:7], v56 offset1:32
	s_wait_dscnt 0x4
	v_pk_fma_f16 v75, v24, v64, v75
	v_pk_fma_f16 v68, v25, v64, v68
	;; [unrolled: 1-line block ×4, first 2 shown]
	ds_load_2addr_b64 v[64:67], v56 offset0:64 offset1:96
	v_pk_fma_f16 v10, v24, v0, v10
	v_and_b32_e32 v24, 0xffff, v1
	v_lshrrev_b32_e32 v1, 16, v1
	v_pk_fma_f16 v11, v25, v0, v11
	v_pk_fma_f16 v77, v26, v0, v77
	;; [unrolled: 1-line block ×3, first 2 shown]
	v_mul_u32_u24_e32 v78, 0x10001, v24
	v_mul_u32_u24_e32 v1, 0x10001, v1
	ds_load_2addr_b64 v[24:27], v56 offset0:128 offset1:160
	s_wait_dscnt 0x5
	v_pk_fma_f16 v36, v28, v78, v36
	v_pk_fma_f16 v37, v28, v1, v37
	;; [unrolled: 1-line block ×5, first 2 shown]
	s_wait_dscnt 0x4
	v_pk_fma_f16 v10, v32, v1, v10
	v_pk_fma_f16 v11, v33, v1, v11
	;; [unrolled: 1-line block ×4, first 2 shown]
	v_and_b32_e32 v1, 0xffff, v2
	v_pk_fma_f16 v59, v29, v78, v59
	v_pk_fma_f16 v71, v30, v78, v71
	;; [unrolled: 1-line block ×7, first 2 shown]
	ds_load_2addr_b64 v[28:31], v56 offset0:192 offset1:224
	v_lshrrev_b32_e32 v2, 16, v2
	v_mul_u32_u24_e32 v1, 0x10001, v1
	ds_load_2addr_b64 v[32:35], v57 offset0:64 offset1:96
	s_wait_dscnt 0x4
	v_pk_fma_f16 v36, v4, v1, v36
	v_pk_fma_f16 v59, v5, v1, v59
	;; [unrolled: 1-line block ×4, first 2 shown]
	s_wait_dscnt 0x3
	v_pk_fma_f16 v75, v64, v1, v75
	v_pk_fma_f16 v68, v65, v1, v68
	;; [unrolled: 1-line block ×4, first 2 shown]
	v_lshrrev_b32_e32 v1, 16, v3
	v_mul_u32_u24_e32 v2, 0x10001, v2
	s_delay_alu instid0(VALU_DEP_2) | instskip(NEXT) | instid1(VALU_DEP_2)
	v_mul_u32_u24_e32 v80, 0x10001, v1
	v_pk_fma_f16 v78, v67, v2, v0
	v_and_b32_e32 v0, 0xffff, v3
	v_pk_fma_f16 v37, v4, v2, v37
	v_pk_fma_f16 v70, v5, v2, v70
	;; [unrolled: 1-line block ×4, first 2 shown]
	ds_load_2addr_b64 v[4:7], v57 offset1:32
	v_pk_fma_f16 v10, v64, v2, v10
	v_pk_fma_f16 v11, v65, v2, v11
	v_mul_u32_u24_e32 v79, 0x10001, v0
	v_pk_fma_f16 v77, v66, v2, v77
	ds_load_2addr_b64 v[64:67], v57 offset0:128 offset1:160
	s_wait_dscnt 0x3
	v_pk_fma_f16 v10, v28, v80, v10
	v_pk_fma_f16 v11, v29, v80, v11
	v_pk_fma_f16 v75, v28, v79, v75
	v_pk_fma_f16 v68, v29, v79, v68
	v_and_b32_e32 v28, 0xffff, v60
	v_lshrrev_b32_e32 v29, 16, v60
	v_pk_fma_f16 v36, v24, v79, v36
	v_pk_fma_f16 v37, v24, v80, v37
	;; [unrolled: 1-line block ×3, first 2 shown]
	v_mul_u32_u24_e32 v28, 0x10001, v28
	v_mul_u32_u24_e32 v60, 0x10001, v29
	v_pk_fma_f16 v70, v25, v80, v70
	v_pk_fma_f16 v71, v26, v79, v71
	;; [unrolled: 1-line block ×5, first 2 shown]
	ds_load_2addr_b64 v[0:3], v57 offset0:192 offset1:224
	v_pk_fma_f16 v69, v30, v79, v69
	v_pk_fma_f16 v76, v31, v79, v76
	v_pk_fma_f16 v77, v30, v80, v77
	v_pk_fma_f16 v78, v31, v80, v78
	s_wait_dscnt 0x3
	v_pk_fma_f16 v75, v32, v28, v75
	v_pk_fma_f16 v68, v33, v28, v68
	;; [unrolled: 1-line block ×4, first 2 shown]
	v_and_b32_e32 v32, 0xffff, v61
	v_lshrrev_b32_e32 v33, 16, v61
	ds_load_2addr_b64 v[24:27], v58 offset1:32
	s_wait_dscnt 0x3
	v_pk_fma_f16 v36, v4, v28, v36
	v_pk_fma_f16 v37, v4, v60, v37
	v_pk_fma_f16 v59, v5, v28, v59
	v_pk_fma_f16 v70, v5, v60, v70
	v_pk_fma_f16 v71, v6, v28, v71
	v_pk_fma_f16 v72, v6, v60, v72
	v_pk_fma_f16 v73, v7, v28, v73
	v_pk_fma_f16 v74, v7, v60, v74
	ds_load_2addr_b64 v[4:7], v58 offset0:64 offset1:96
	v_pk_fma_f16 v69, v34, v28, v69
	v_pk_fma_f16 v76, v35, v28, v76
	ds_load_2addr_b64 v[28:31], v58 offset0:128 offset1:160
	v_pk_fma_f16 v77, v34, v60, v77
	v_pk_fma_f16 v60, v35, v60, v78
	v_mul_u32_u24_e32 v61, 0x10001, v32
	v_mul_u32_u24_e32 v78, 0x10001, v33
	ds_load_2addr_b64 v[32:35], v58 offset0:192 offset1:224
	s_wait_dscnt 0x0
	s_barrier_signal -1
	s_barrier_wait -1
	s_load_b32 s2, s[24:25], 0x4
	v_pk_fma_f16 v36, v64, v61, v36
	v_pk_fma_f16 v37, v64, v78, v37
	;; [unrolled: 1-line block ×6, first 2 shown]
	v_and_b32_e32 v71, 0xffff, v62
	v_lshrrev_b32_e32 v62, 16, v62
	v_and_b32_e32 v72, 0xffff, v63
	v_lshrrev_b32_e32 v63, 16, v63
	v_pk_fma_f16 v70, v67, v61, v73
	v_pk_fma_f16 v67, v67, v78, v74
	v_mul_u32_u24_e32 v71, 0x10001, v71
	v_mul_u32_u24_e32 v62, 0x10001, v62
	;; [unrolled: 1-line block ×3, first 2 shown]
	v_pk_fma_f16 v63, v0, v61, v75
	v_pk_fma_f16 v68, v1, v61, v68
	;; [unrolled: 1-line block ×8, first 2 shown]
	v_mul_u32_u24_e32 v79, 0x10001, v72
	v_pk_fma_f16 v10, v24, v71, v36
	v_pk_fma_f16 v11, v24, v62, v37
	;; [unrolled: 1-line block ×16, first 2 shown]
	s_wait_kmcnt 0x0
	s_lshl_b32 s2, s2, 6
	v_pk_fma_f16 v68, v28, v79, v10
	v_pk_fma_f16 v62, v28, v80, v11
	;; [unrolled: 1-line block ×16, first 2 shown]
	s_add_co_i32 s10, s2, s10
	s_delay_alu instid0(SALU_CYCLE_1)
	s_cmp_ge_i32 s10, s30
	s_cbranch_scc0 .LBB13_13
; %bb.14:
	v_dual_mov_b32 v0, 32 :: v_dual_mov_b32 v1, v41
.LBB13_15:
	s_delay_alu instid0(VALU_DEP_1)
	v_cmp_lt_i32_e32 vcc_lo, v46, v0
	s_cmp_lg_u64 s[12:13], 0
	s_cselect_b32 s2, -1, 0
	s_cmp_eq_u32 s31, 0
	v_cndmask_b32_e32 v2, v1, v46, vcc_lo
	v_cmp_lt_i32_e32 vcc_lo, v45, v0
	s_cselect_b32 s3, -1, 0
	s_delay_alu instid0(SALU_CYCLE_1) | instskip(NEXT) | instid1(VALU_DEP_2)
	s_and_b32 s2, s3, s2
	v_dual_cndmask_b32 v4, v1, v45 :: v_dual_lshlrev_b32 v3, 2, v2
	v_cmp_lt_i32_e32 vcc_lo, v44, v0
	s_delay_alu instid0(VALU_DEP_2) | instskip(SKIP_4) | instid1(VALU_DEP_2)
	v_lshlrev_b32_e32 v5, 2, v4
	ds_bpermute_b32 v2, v3, v14
	ds_bpermute_b32 v3, v3, v15
	v_cndmask_b32_e32 v6, v1, v44, vcc_lo
	v_cmp_lt_i32_e32 vcc_lo, v43, v0
	v_lshlrev_b32_e32 v6, 2, v6
	s_wait_dscnt 0x0
	v_pk_add_f32 v[2:3], v[14:15], v[2:3]
	ds_bpermute_b32 v4, v5, v2
	ds_bpermute_b32 v5, v5, v3
	s_wait_dscnt 0x0
	v_pk_add_f32 v[2:3], v[2:3], v[4:5]
	ds_bpermute_b32 v4, v6, v2
	ds_bpermute_b32 v5, v6, v3
	v_cndmask_b32_e32 v6, v1, v43, vcc_lo
	v_cmp_lt_i32_e32 vcc_lo, v42, v0
	s_delay_alu instid0(VALU_DEP_2)
	v_lshlrev_b32_e32 v6, 2, v6
	v_cndmask_b32_e32 v0, v1, v42, vcc_lo
	s_and_b32 vcc_lo, exec_lo, s2
	s_wait_dscnt 0x0
	v_pk_add_f32 v[2:3], v[2:3], v[4:5]
	ds_bpermute_b32 v4, v6, v2
	ds_bpermute_b32 v5, v6, v3
	v_lshlrev_b32_e32 v6, 2, v0
	s_wait_dscnt 0x0
	v_pk_add_f32 v[0:1], v[2:3], v[4:5]
	ds_bpermute_b32 v2, v6, v0
	ds_bpermute_b32 v3, v6, v1
	s_wait_dscnt 0x0
	v_pk_add_f32 v[0:1], v[0:1], v[2:3]
	v_add_nc_u32_e32 v2, s33, v12
	s_cbranch_vccz .LBB13_17
; %bb.16:
	s_delay_alu instid0(VALU_DEP_1) | instskip(NEXT) | instid1(VALU_DEP_1)
	v_dual_ashrrev_i32 v3, 31, v2 :: v_dual_max_num_f32 v7, v9, v9
	v_lshl_add_u64 v[4:5], v[2:3], 2, s[12:13]
	v_max_num_f32_e32 v3, v8, v8
	global_load_b64 v[4:5], v[4:5], off
	s_wait_loadcnt 0x0
	v_dual_max_num_f32 v6, v4, v4 :: v_dual_max_num_f32 v10, v5, v5
	s_delay_alu instid0(VALU_DEP_1) | instskip(NEXT) | instid1(VALU_DEP_1)
	v_max_num_f32_e32 v6, v3, v6
	v_sub_f32_e32 v3, v8, v6
	s_delay_alu instid0(VALU_DEP_3) | instskip(SKIP_1) | instid1(VALU_DEP_3)
	v_max_num_f32_e32 v7, v7, v10
	v_sub_f32_e32 v8, v4, v6
	v_mul_f32_e32 v4, 0x3fb8aa3b, v3
	s_delay_alu instid0(VALU_DEP_3) | instskip(NEXT) | instid1(VALU_DEP_3)
	v_sub_f32_e32 v9, v9, v7
	v_dual_sub_f32 v10, v5, v7 :: v_dual_mul_f32 v5, 0x3fb8aa3b, v8
	v_cmp_ngt_f32_e32 vcc_lo, 0xc2ce8ed0, v3
	s_delay_alu instid0(VALU_DEP_4) | instskip(NEXT) | instid1(VALU_DEP_4)
	v_rndne_f32_e32 v15, v4
	v_mul_f32_e32 v11, 0x3fb8aa3b, v9
	v_fma_f32 v14, 0x3fb8aa3b, v3, -v4
	v_mul_f32_e32 v12, 0x3fb8aa3b, v10
	v_fma_f32 v16, 0x3fb8aa3b, v8, -v5
	v_sub_f32_e32 v4, v4, v15
	v_fma_f32 v18, 0x3fb8aa3b, v9, -v11
	v_rndne_f32_e32 v19, v11
	v_rndne_f32_e32 v17, v5
	v_fmac_f32_e32 v14, 0x32a5705f, v3
	v_rndne_f32_e32 v21, v12
	s_delay_alu instid0(VALU_DEP_4) | instskip(NEXT) | instid1(VALU_DEP_4)
	v_dual_fmac_f32 v18, 0x32a5705f, v9 :: v_dual_sub_f32 v11, v11, v19
	v_dual_fmac_f32 v16, 0x32a5705f, v8 :: v_dual_sub_f32 v5, v5, v17
	v_fma_f32 v20, 0x3fb8aa3b, v10, -v12
	s_delay_alu instid0(VALU_DEP_3) | instskip(NEXT) | instid1(VALU_DEP_3)
	v_add_f32_e32 v11, v11, v18
	v_dual_add_f32 v4, v4, v14 :: v_dual_add_f32 v5, v5, v16
	v_cvt_i32_f32_e32 v14, v15
	v_cvt_i32_f32_e32 v15, v19
	s_delay_alu instid0(VALU_DEP_4) | instskip(NEXT) | instid1(VALU_DEP_3)
	v_exp_f32_e32 v11, v11
	v_exp_f32_e32 v4, v4
	;; [unrolled: 1-line block ×3, first 2 shown]
	v_cvt_i32_f32_e32 v16, v17
	s_delay_alu instid0(TRANS32_DEP_3) | instskip(NEXT) | instid1(TRANS32_DEP_2)
	v_ldexp_f32 v11, v11, v15
	v_ldexp_f32 v4, v4, v14
	v_sub_f32_e32 v12, v12, v21
	v_cvt_i32_f32_e32 v14, v21
	s_delay_alu instid0(VALU_DEP_3)
	v_cndmask_b32_e32 v4, 0, v4, vcc_lo
	v_cmp_ngt_f32_e32 vcc_lo, 0xc2ce8ed0, v9
	v_dual_fmac_f32 v20, 0x32a5705f, v10 :: v_dual_cndmask_b32 v11, 0, v11
	v_cmp_nlt_f32_e32 vcc_lo, 0x42b17218, v3
	v_ldexp_f32 v3, v5, v16
	v_cndmask_b32_e32 v4, 0x7f800000, v4, vcc_lo
	v_cmp_nlt_f32_e32 vcc_lo, 0x42b17218, v9
	v_add_f32_e32 v12, v12, v20
	s_delay_alu instid0(VALU_DEP_3) | instskip(SKIP_1) | instid1(VALU_DEP_3)
	v_cvt_f16_f32_e32 v9, v4
	v_cndmask_b32_e32 v5, 0x7f800000, v11, vcc_lo
	v_exp_f32_e32 v12, v12
	v_cmp_ngt_f32_e32 vcc_lo, 0xc2ce8ed0, v8
	s_delay_alu instid0(TRANS32_DEP_1) | instskip(SKIP_3) | instid1(VALU_DEP_4)
	v_ldexp_f32 v12, v12, v14
	v_cndmask_b32_e32 v3, 0, v3, vcc_lo
	v_cmp_ngt_f32_e32 vcc_lo, 0xc2ce8ed0, v10
	v_and_b32_e32 v14, 0xffff, v9
	v_cndmask_b32_e32 v11, 0, v12, vcc_lo
	v_cmp_nlt_f32_e32 vcc_lo, 0x42b17218, v8
	v_cvt_f16_f32_e32 v12, v5
	v_cndmask_b32_e32 v8, 0x7f800000, v3, vcc_lo
	v_cmp_nlt_f32_e32 vcc_lo, 0x42b17218, v10
	s_delay_alu instid0(VALU_DEP_3) | instskip(SKIP_2) | instid1(VALU_DEP_3)
	v_and_b32_e32 v3, 0xffff, v12
	v_mul_u32_u24_e32 v10, 0x10001, v14
	v_cndmask_b32_e32 v9, 0x7f800000, v11, vcc_lo
	v_mul_u32_u24_e32 v3, 0x10001, v3
	s_delay_alu instid0(VALU_DEP_3)
	v_pk_mul_f16 v68, v68, v10
	v_pk_mul_f16 v74, v74, v10
	;; [unrolled: 1-line block ×3, first 2 shown]
	v_pk_fma_f32 v[0:1], v[0:1], v[4:5], v[8:9]
	v_mov_b64_e32 v[8:9], v[6:7]
	v_pk_mul_f16 v70, v70, v10
	v_pk_mul_f16 v73, v73, v10
	;; [unrolled: 1-line block ×13, first 2 shown]
.LBB13_17:
	s_mov_b32 s2, exec_lo
	v_cmpx_gt_i32_e64 s22, v38
	s_cbranch_execz .LBB13_26
; %bb.18:
	s_load_b32 s0, s[0:1], 0xd4
	v_mov_b32_e32 v4, 1.0
	s_wait_kmcnt 0x0
	s_cmp_lg_u32 s0, 1
	s_cselect_b32 s2, -1, 0
	s_cmp_eq_u32 s0, 1
	s_cselect_b32 s1, -1, 0
	s_and_b32 vcc_lo, exec_lo, s2
	s_cbranch_vccnz .LBB13_20
; %bb.19:
	v_div_scale_f32 v3, null, v0, v0, 1.0
	s_delay_alu instid0(VALU_DEP_1) | instskip(SKIP_1) | instid1(TRANS32_DEP_1)
	v_rcp_f32_e32 v4, v3
	v_nop
	v_fma_f32 v5, -v3, v4, 1.0
	s_delay_alu instid0(VALU_DEP_1) | instskip(SKIP_1) | instid1(VALU_DEP_1)
	v_fmac_f32_e32 v4, v5, v4
	v_div_scale_f32 v5, vcc_lo, 1.0, v0, 1.0
	v_mul_f32_e32 v6, v5, v4
	s_delay_alu instid0(VALU_DEP_1) | instskip(NEXT) | instid1(VALU_DEP_1)
	v_fma_f32 v7, -v3, v6, v5
	v_fmac_f32_e32 v6, v7, v4
	s_delay_alu instid0(VALU_DEP_1) | instskip(NEXT) | instid1(VALU_DEP_1)
	v_fma_f32 v3, -v3, v6, v5
	v_div_fmas_f32 v3, v3, v4, v6
	s_delay_alu instid0(VALU_DEP_1)
	v_div_fixup_f32 v4, v3, v0, 1.0
.LBB13_20:
	v_mad_u32 v3, s28, s22, v38
	v_dual_lshrrev_b32 v6, 16, v74 :: v_dual_lshrrev_b32 v15, 16, v72
	v_dual_mov_b32 v7, 0 :: v_dual_lshrrev_b32 v5, 16, v68
	v_cmp_eq_u32_e32 vcc_lo, 0, v13
	s_delay_alu instid0(VALU_DEP_3) | instskip(SKIP_1) | instid1(VALU_DEP_4)
	v_cvt_f32_f16_e32 v13, v6
	v_dual_lshrrev_b32 v21, 16, v71 :: v_dual_lshrrev_b32 v23, 16, v69
	v_dual_lshrrev_b32 v25, 16, v67 :: v_dual_mov_b32 v27, v7
	v_mad_u32 v2, v3, s23, v2
	v_dual_lshrrev_b32 v3, 16, v70 :: v_dual_lshrrev_b32 v19, 16, v73
	v_cvt_f32_f16_e32 v10, v68
	v_cvt_f32_f16_e32 v12, v74
	;; [unrolled: 1-line block ×8, first 2 shown]
	v_mad_u32 v2, s0, v2, s31
	v_cvt_f32_f16_e32 v20, v71
	v_cvt_f32_f16_e32 v19, v19
	;; [unrolled: 1-line block ×7, first 2 shown]
	v_pk_mul_f32 v[10:11], v[4:5], v[10:11] op_sel_hi:[0,1]
	v_pk_mul_f32 v[12:13], v[4:5], v[12:13] op_sel_hi:[0,1]
	;; [unrolled: 1-line block ×3, first 2 shown]
	v_lshl_add_u32 v6, v2, 9, v39
	v_mov_b32_e32 v29, v7
	v_pk_mul_f32 v[16:17], v[4:5], v[16:17] op_sel_hi:[0,1]
	v_pk_mul_f32 v[18:19], v[4:5], v[18:19] op_sel_hi:[0,1]
	;; [unrolled: 1-line block ×3, first 2 shown]
	v_add_nc_u32_e32 v26, 0x80, v6
	v_add_nc_u32_e32 v28, 0x100, v6
	v_lshl_add_u64 v[30:31], v[6:7], 2, s[16:17]
	v_add_nc_u32_e32 v6, 0x180, v6
	v_pk_mul_f32 v[22:23], v[4:5], v[22:23] op_sel_hi:[0,1]
	v_lshl_add_u64 v[26:27], v[26:27], 2, s[16:17]
	v_lshl_add_u64 v[28:29], v[28:29], 2, s[16:17]
	v_pk_mul_f32 v[24:25], v[4:5], v[24:25] op_sel_hi:[0,1]
	v_lshl_add_u64 v[6:7], v[6:7], 2, s[16:17]
	s_and_b32 s2, vcc_lo, s2
	s_clause 0x3
	global_store_b128 v[30:31], v[10:13], off
	global_store_b128 v[26:27], v[14:17], off
	global_store_b128 v[28:29], v[18:21], off
	global_store_b128 v[6:7], v[22:25], off
	s_wait_xcnt 0x0
	s_and_saveexec_b32 s3, s2
	s_cbranch_execz .LBB13_22
; %bb.21:
	v_dual_mov_b32 v4, v8 :: v_dual_mov_b32 v5, v0
	global_store_b64 v2, v[4:5], s[18:19] scale_offset
.LBB13_22:
	s_wait_xcnt 0x0
	s_or_b32 exec_lo, exec_lo, s3
	v_mov_b32_e32 v0, 1.0
	s_and_not1_b32 vcc_lo, exec_lo, s1
	s_cbranch_vccnz .LBB13_24
; %bb.23:
	v_div_scale_f32 v0, null, v1, v1, 1.0
	s_delay_alu instid0(VALU_DEP_1) | instskip(SKIP_1) | instid1(TRANS32_DEP_1)
	v_rcp_f32_e32 v3, v0
	v_nop
	v_fma_f32 v4, -v0, v3, 1.0
	s_delay_alu instid0(VALU_DEP_1) | instskip(SKIP_1) | instid1(VALU_DEP_1)
	v_fmac_f32_e32 v3, v4, v3
	v_div_scale_f32 v4, vcc_lo, 1.0, v1, 1.0
	v_mul_f32_e32 v5, v4, v3
	s_delay_alu instid0(VALU_DEP_1) | instskip(NEXT) | instid1(VALU_DEP_1)
	v_fma_f32 v6, -v0, v5, v4
	v_fmac_f32_e32 v5, v6, v3
	s_delay_alu instid0(VALU_DEP_1) | instskip(NEXT) | instid1(VALU_DEP_1)
	v_fma_f32 v0, -v0, v5, v4
	v_div_fmas_f32 v0, v0, v3, v5
	s_delay_alu instid0(VALU_DEP_1)
	v_div_fixup_f32 v0, v0, v1, 1.0
.LBB13_24:
	v_dual_mov_b32 v19, 0 :: v_dual_add_nc_u32 v2, s0, v2
	v_lshrrev_b32_e32 v3, 16, v62
	v_dual_lshrrev_b32 v7, 16, v66 :: v_dual_lshrrev_b32 v8, 16, v63
	s_delay_alu instid0(VALU_DEP_3) | instskip(NEXT) | instid1(VALU_DEP_4)
	v_lshl_add_u32 v18, v2, 9, v39
	v_mov_b32_e32 v11, v19
	s_delay_alu instid0(VALU_DEP_4)
	v_cvt_f32_f16_e32 v5, v3
	v_lshrrev_b32_e32 v3, 16, v65
	v_cvt_f32_f16_e32 v4, v62
	v_dual_mov_b32 v15, v19 :: v_dual_add_nc_u32 v10, 0x80, v18
	v_add_nc_u32_e32 v14, 0x100, v18
	v_cvt_f32_f16_e32 v6, v66
	v_cvt_f32_f16_e32 v7, v7
	s_delay_alu instid0(VALU_DEP_4)
	v_lshl_add_u64 v[24:25], v[10:11], 2, s[16:17]
	v_cvt_f32_f16_e32 v11, v3
	v_lshrrev_b32_e32 v3, 16, v64
	v_cvt_f32_f16_e32 v13, v8
	v_lshrrev_b32_e32 v8, 16, v61
	v_lshl_add_u64 v[26:27], v[14:15], 2, s[16:17]
	v_cvt_f32_f16_e32 v10, v65
	v_cvt_f32_f16_e32 v15, v3
	v_lshrrev_b32_e32 v3, 16, v60
	v_cvt_f32_f16_e32 v17, v8
	v_lshrrev_b32_e32 v8, 16, v59
	v_cvt_f32_f16_e32 v12, v63
	v_cvt_f32_f16_e32 v14, v64
	;; [unrolled: 1-line block ×3, first 2 shown]
	v_lshl_add_u64 v[22:23], v[18:19], 2, s[16:17]
	v_add_nc_u32_e32 v18, 0x180, v18
	v_cvt_f32_f16_e32 v21, v3
	v_cvt_f32_f16_e32 v20, v60
	;; [unrolled: 1-line block ×4, first 2 shown]
	v_pk_mul_f32 v[4:5], v[0:1], v[4:5] op_sel_hi:[0,1]
	v_pk_mul_f32 v[6:7], v[0:1], v[6:7] op_sel_hi:[0,1]
	;; [unrolled: 1-line block ×6, first 2 shown]
	v_lshl_add_u64 v[30:31], v[18:19], 2, s[16:17]
	v_pk_mul_f32 v[18:19], v[0:1], v[20:21] op_sel_hi:[0,1]
	v_pk_mul_f32 v[20:21], v[0:1], v[28:29] op_sel_hi:[0,1]
	s_clause 0x3
	global_store_b128 v[22:23], v[4:7], off
	global_store_b128 v[24:25], v[10:13], off
	;; [unrolled: 1-line block ×4, first 2 shown]
	s_wait_xcnt 0x0
	s_and_b32 exec_lo, exec_lo, s2
	s_cbranch_execz .LBB13_26
; %bb.25:
	v_mov_b32_e32 v0, v9
	global_store_b64 v2, v[0:1], s[18:19] scale_offset
.LBB13_26:
	s_sendmsg sendmsg(MSG_DEALLOC_VGPRS)
	s_endpgm
	.section	.rodata,"a",@progbits
	.p2align	6, 0x0
	.amdhsa_kernel _ZL15flash_attn_tileILi576ELi512ELi4ELi4ELb0EEvPKcS1_S1_S1_S1_PKiPfP15HIP_vector_typeIfLj2EEffffjfiS5_IjLj3EEiiiiiiiiiiiliiliiiiil
		.amdhsa_group_segment_fixed_size 29696
		.amdhsa_private_segment_fixed_size 0
		.amdhsa_kernarg_size 464
		.amdhsa_user_sgpr_count 2
		.amdhsa_user_sgpr_dispatch_ptr 0
		.amdhsa_user_sgpr_queue_ptr 0
		.amdhsa_user_sgpr_kernarg_segment_ptr 1
		.amdhsa_user_sgpr_dispatch_id 0
		.amdhsa_user_sgpr_kernarg_preload_length 0
		.amdhsa_user_sgpr_kernarg_preload_offset 0
		.amdhsa_user_sgpr_private_segment_size 0
		.amdhsa_wavefront_size32 1
		.amdhsa_uses_dynamic_stack 0
		.amdhsa_enable_private_segment 0
		.amdhsa_system_sgpr_workgroup_id_x 1
		.amdhsa_system_sgpr_workgroup_id_y 1
		.amdhsa_system_sgpr_workgroup_id_z 1
		.amdhsa_system_sgpr_workgroup_info 0
		.amdhsa_system_vgpr_workitem_id 1
		.amdhsa_next_free_vgpr 87
		.amdhsa_next_free_sgpr 46
		.amdhsa_named_barrier_count 0
		.amdhsa_reserve_vcc 1
		.amdhsa_float_round_mode_32 0
		.amdhsa_float_round_mode_16_64 0
		.amdhsa_float_denorm_mode_32 3
		.amdhsa_float_denorm_mode_16_64 3
		.amdhsa_fp16_overflow 0
		.amdhsa_memory_ordered 1
		.amdhsa_forward_progress 1
		.amdhsa_inst_pref_size 176
		.amdhsa_round_robin_scheduling 0
		.amdhsa_exception_fp_ieee_invalid_op 0
		.amdhsa_exception_fp_denorm_src 0
		.amdhsa_exception_fp_ieee_div_zero 0
		.amdhsa_exception_fp_ieee_overflow 0
		.amdhsa_exception_fp_ieee_underflow 0
		.amdhsa_exception_fp_ieee_inexact 0
		.amdhsa_exception_int_div_zero 0
	.end_amdhsa_kernel
	.section	.text._ZL15flash_attn_tileILi576ELi512ELi4ELi4ELb0EEvPKcS1_S1_S1_S1_PKiPfP15HIP_vector_typeIfLj2EEffffjfiS5_IjLj3EEiiiiiiiiiiiliiliiiiil,"axG",@progbits,_ZL15flash_attn_tileILi576ELi512ELi4ELi4ELb0EEvPKcS1_S1_S1_S1_PKiPfP15HIP_vector_typeIfLj2EEffffjfiS5_IjLj3EEiiiiiiiiiiiliiliiiiil,comdat
.Lfunc_end13:
	.size	_ZL15flash_attn_tileILi576ELi512ELi4ELi4ELb0EEvPKcS1_S1_S1_S1_PKiPfP15HIP_vector_typeIfLj2EEffffjfiS5_IjLj3EEiiiiiiiiiiiliiliiiiil, .Lfunc_end13-_ZL15flash_attn_tileILi576ELi512ELi4ELi4ELb0EEvPKcS1_S1_S1_S1_PKiPfP15HIP_vector_typeIfLj2EEffffjfiS5_IjLj3EEiiiiiiiiiiiliiliiiiil
                                        ; -- End function
	.set _ZL15flash_attn_tileILi576ELi512ELi4ELi4ELb0EEvPKcS1_S1_S1_S1_PKiPfP15HIP_vector_typeIfLj2EEffffjfiS5_IjLj3EEiiiiiiiiiiiliiliiiiil.num_vgpr, 87
	.set _ZL15flash_attn_tileILi576ELi512ELi4ELi4ELb0EEvPKcS1_S1_S1_S1_PKiPfP15HIP_vector_typeIfLj2EEffffjfiS5_IjLj3EEiiiiiiiiiiiliiliiiiil.num_agpr, 0
	.set _ZL15flash_attn_tileILi576ELi512ELi4ELi4ELb0EEvPKcS1_S1_S1_S1_PKiPfP15HIP_vector_typeIfLj2EEffffjfiS5_IjLj3EEiiiiiiiiiiiliiliiiiil.numbered_sgpr, 46
	.set _ZL15flash_attn_tileILi576ELi512ELi4ELi4ELb0EEvPKcS1_S1_S1_S1_PKiPfP15HIP_vector_typeIfLj2EEffffjfiS5_IjLj3EEiiiiiiiiiiiliiliiiiil.num_named_barrier, 0
	.set _ZL15flash_attn_tileILi576ELi512ELi4ELi4ELb0EEvPKcS1_S1_S1_S1_PKiPfP15HIP_vector_typeIfLj2EEffffjfiS5_IjLj3EEiiiiiiiiiiiliiliiiiil.private_seg_size, 0
	.set _ZL15flash_attn_tileILi576ELi512ELi4ELi4ELb0EEvPKcS1_S1_S1_S1_PKiPfP15HIP_vector_typeIfLj2EEffffjfiS5_IjLj3EEiiiiiiiiiiiliiliiiiil.uses_vcc, 1
	.set _ZL15flash_attn_tileILi576ELi512ELi4ELi4ELb0EEvPKcS1_S1_S1_S1_PKiPfP15HIP_vector_typeIfLj2EEffffjfiS5_IjLj3EEiiiiiiiiiiiliiliiiiil.uses_flat_scratch, 0
	.set _ZL15flash_attn_tileILi576ELi512ELi4ELi4ELb0EEvPKcS1_S1_S1_S1_PKiPfP15HIP_vector_typeIfLj2EEffffjfiS5_IjLj3EEiiiiiiiiiiiliiliiiiil.has_dyn_sized_stack, 0
	.set _ZL15flash_attn_tileILi576ELi512ELi4ELi4ELb0EEvPKcS1_S1_S1_S1_PKiPfP15HIP_vector_typeIfLj2EEffffjfiS5_IjLj3EEiiiiiiiiiiiliiliiiiil.has_recursion, 0
	.set _ZL15flash_attn_tileILi576ELi512ELi4ELi4ELb0EEvPKcS1_S1_S1_S1_PKiPfP15HIP_vector_typeIfLj2EEffffjfiS5_IjLj3EEiiiiiiiiiiiliiliiiiil.has_indirect_call, 0
	.section	.AMDGPU.csdata,"",@progbits
; Kernel info:
; codeLenInByte = 22472
; TotalNumSgprs: 48
; NumVgprs: 87
; ScratchSize: 0
; MemoryBound: 0
; FloatMode: 240
; IeeeMode: 1
; LDSByteSize: 29696 bytes/workgroup (compile time only)
; SGPRBlocks: 0
; VGPRBlocks: 5
; NumSGPRsForWavesPerEU: 48
; NumVGPRsForWavesPerEU: 87
; NamedBarCnt: 0
; Occupancy: 10
; WaveLimiterHint : 1
; COMPUTE_PGM_RSRC2:SCRATCH_EN: 0
; COMPUTE_PGM_RSRC2:USER_SGPR: 2
; COMPUTE_PGM_RSRC2:TRAP_HANDLER: 0
; COMPUTE_PGM_RSRC2:TGID_X_EN: 1
; COMPUTE_PGM_RSRC2:TGID_Y_EN: 1
; COMPUTE_PGM_RSRC2:TGID_Z_EN: 1
; COMPUTE_PGM_RSRC2:TIDIG_COMP_CNT: 1
	.section	.text._ZL25flash_attn_mask_to_KV_maxILi4EEvPK7__half2Piiii,"axG",@progbits,_ZL25flash_attn_mask_to_KV_maxILi4EEvPK7__half2Piiii,comdat
	.globl	_ZL25flash_attn_mask_to_KV_maxILi4EEvPK7__half2Piiii ; -- Begin function _ZL25flash_attn_mask_to_KV_maxILi4EEvPK7__half2Piiii
	.p2align	8
	.type	_ZL25flash_attn_mask_to_KV_maxILi4EEvPK7__half2Piiii,@function
_ZL25flash_attn_mask_to_KV_maxILi4EEvPK7__half2Piiii: ; @_ZL25flash_attn_mask_to_KV_maxILi4EEvPK7__half2Piiii
; %bb.0:
	s_load_b128 s[4:7], s[0:1], 0x0
	s_mov_b32 s2, exec_lo
	v_cmpx_gt_u32_e32 32, v0
; %bb.1:
	v_dual_mov_b32 v2, 1 :: v_dual_lshlrev_b32 v1, 2, v0
	ds_store_b32 v1, v2
; %bb.2:
	s_or_b32 exec_lo, exec_lo, s2
	s_clause 0x1
	s_load_b96 s[8:10], s[0:1], 0x10
	s_load_b32 s11, s[0:1], 0x20
	s_wait_xcnt 0x0
	s_bfe_u32 s1, ttmp6, 0x4000c
	s_bfe_u32 s2, ttmp6, 0x40010
	s_add_co_i32 s1, s1, 1
	s_add_co_i32 s2, s2, 1
	s_and_b32 s0, ttmp6, 15
	s_bfe_u32 s3, ttmp6, 0x40004
	s_mul_i32 s1, ttmp9, s1
	s_mul_i32 s2, ttmp7, s2
	s_getreg_b32 s12, hwreg(HW_REG_IB_STS2, 6, 4)
	s_add_co_i32 s0, s0, s1
	s_add_co_i32 s3, s3, s2
	s_cmp_eq_u32 s12, 0
	v_dual_lshrrev_b32 v1, 3, v0 :: v_dual_bitop2_b32 v2, 31, v0 bitop3:0x40
	s_cselect_b32 s1, ttmp9, s0
	s_cselect_b32 s12, ttmp7, s3
	s_wait_dscnt 0x0
	s_barrier_signal -1
	s_wait_kmcnt 0x0
	s_mul_i32 s0, s1, s9
	s_mul_i32 s2, s10, s12
	s_lshl_b32 s0, s0, 2
	s_barrier_wait -1
	s_add_co_i32 s2, s2, s0
	v_cmp_eq_u32_e64 s0, 0, v2
	s_ashr_i32 s3, s2, 31
	v_lshlrev_b32_e32 v2, 2, v2
	s_lshl_b64 s[2:3], s[2:3], 2
	s_delay_alu instid0(SALU_CYCLE_1)
	s_add_nc_u64 s[2:3], s[4:5], s[2:3]
	s_lshl_b32 s5, s8, 8
	s_branch .LBB14_4
.LBB14_3:                               ;   in Loop: Header=BB14_4 Depth=1
	s_or_b32 exec_lo, exec_lo, s8
	s_wait_dscnt 0x0
	s_barrier_signal -1
	s_barrier_wait -1
	ds_load_b32 v3, v2
	s_wait_dscnt 0x0
	s_barrier_signal -1
	s_barrier_wait -1
	v_cmp_ne_u32_e32 vcc_lo, 0, v3
	s_cmp_lg_u32 vcc_lo, exec_lo
	s_cselect_b32 s8, -1, 0
	s_delay_alu instid0(SALU_CYCLE_1)
	s_and_b32 vcc_lo, exec_lo, s8
	s_cbranch_vccnz .LBB14_20
.LBB14_4:                               ; =>This Inner Loop Header: Depth=1
	s_mov_b32 s4, s5
	s_addk_co_i32 s5, 0xff00
	s_delay_alu instid0(SALU_CYCLE_1)
	s_cmp_lt_i32 s5, 0
	s_cbranch_scc1 .LBB14_19
; %bb.5:                                ;   in Loop: Header=BB14_4 Depth=1
	s_lshr_b32 s8, s5, 1
	s_delay_alu instid0(SALU_CYCLE_1) | instskip(SKIP_4) | instid1(VALU_DEP_2)
	v_add_nc_u32_e32 v3, s8, v0
	global_load_b32 v4, v3, s[2:3] scale_offset
	s_wait_loadcnt 0x0
	v_lshrrev_b32_e32 v5, 16, v4
	v_cmp_class_f16_e64 s8, v4, 0x204
	v_cmp_class_f16_e64 s10, v5, 0x204
	s_and_b32 s13, s8, s10
	s_mov_b32 s10, 0
	s_and_saveexec_b32 s8, s13
	s_cbranch_execz .LBB14_17
; %bb.6:                                ;   in Loop: Header=BB14_4 Depth=1
	v_add_nc_u32_e32 v3, s9, v3
	s_mov_b32 s13, 0
	global_load_b32 v4, v3, s[2:3] scale_offset
	s_wait_loadcnt 0x0
	v_cmp_class_f16_e64 s14, v4, 0x204
	s_and_saveexec_b32 s10, s14
	s_cbranch_execz .LBB14_16
; %bb.7:                                ;   in Loop: Header=BB14_4 Depth=1
	v_lshrrev_b32_e32 v4, 16, v4
	s_mov_b32 s14, 0
	s_delay_alu instid0(VALU_DEP_1)
	v_cmp_class_f16_e64 s15, v4, 0x204
	s_and_saveexec_b32 s13, s15
	s_cbranch_execz .LBB14_15
; %bb.8:                                ;   in Loop: Header=BB14_4 Depth=1
	v_add_nc_u32_e32 v3, s9, v3
	s_mov_b32 s15, 0
	global_load_b32 v4, v3, s[2:3] scale_offset
	s_wait_loadcnt 0x0
	v_cmp_class_f16_e64 s16, v4, 0x204
	s_and_saveexec_b32 s14, s16
	s_cbranch_execz .LBB14_14
; %bb.9:                                ;   in Loop: Header=BB14_4 Depth=1
	v_lshrrev_b32_e32 v4, 16, v4
	s_mov_b32 s16, 0
	s_delay_alu instid0(VALU_DEP_1)
	v_cmp_class_f16_e64 s17, v4, 0x204
	s_and_saveexec_b32 s15, s17
	s_cbranch_execz .LBB14_13
; %bb.10:                               ;   in Loop: Header=BB14_4 Depth=1
	v_add_nc_u32_e32 v3, s9, v3
	global_load_b32 v3, v3, s[2:3] scale_offset
	s_wait_loadcnt 0x0
	v_cmp_class_f16_e64 s18, v3, 0x204
	s_and_saveexec_b32 s17, s18
; %bb.11:                               ;   in Loop: Header=BB14_4 Depth=1
	v_lshrrev_b32_e32 v3, 16, v3
	s_delay_alu instid0(VALU_DEP_1)
	v_cmp_class_f16_e64 s16, v3, 0x204
	s_and_b32 s16, s16, exec_lo
; %bb.12:                               ;   in Loop: Header=BB14_4 Depth=1
	s_or_b32 exec_lo, exec_lo, s17
	s_delay_alu instid0(SALU_CYCLE_1)
	s_and_b32 s16, s16, exec_lo
.LBB14_13:                              ;   in Loop: Header=BB14_4 Depth=1
	s_or_b32 exec_lo, exec_lo, s15
	s_delay_alu instid0(SALU_CYCLE_1)
	s_and_b32 s15, s16, exec_lo
.LBB14_14:                              ;   in Loop: Header=BB14_4 Depth=1
	s_or_b32 exec_lo, exec_lo, s14
	s_delay_alu instid0(SALU_CYCLE_1)
	s_and_b32 s14, s15, exec_lo
.LBB14_15:                              ;   in Loop: Header=BB14_4 Depth=1
	s_or_b32 exec_lo, exec_lo, s13
	s_delay_alu instid0(SALU_CYCLE_1)
	s_and_b32 s13, s14, exec_lo
.LBB14_16:                              ;   in Loop: Header=BB14_4 Depth=1
	s_or_b32 exec_lo, exec_lo, s10
	s_delay_alu instid0(SALU_CYCLE_1)
	s_and_b32 s10, s13, exec_lo
.LBB14_17:                              ;   in Loop: Header=BB14_4 Depth=1
	s_or_b32 exec_lo, exec_lo, s8
	v_cndmask_b32_e64 v3, 0, 1, s10
	s_mov_b32 s13, exec_lo
	s_delay_alu instid0(VALU_DEP_1)
	v_cmp_ne_u32_e32 vcc_lo, 0, v3
	s_and_saveexec_b32 s8, s0
	s_cbranch_execz .LBB14_3
; %bb.18:                               ;   in Loop: Header=BB14_4 Depth=1
	s_cmp_eq_u32 vcc_lo, s13
	s_cselect_b32 s10, -1, 0
	s_delay_alu instid0(SALU_CYCLE_1)
	v_cndmask_b32_e64 v3, 0, 1, s10
	ds_store_b32 v1, v3
	s_branch .LBB14_3
.LBB14_19:                              ;   in Loop: Header=BB14_4 Depth=1
	s_cbranch_execz .LBB14_4
.LBB14_20:
	s_mov_b32 s0, exec_lo
	v_cmpx_eq_u32_e32 0, v0
	s_cbranch_execz .LBB14_22
; %bb.21:
	s_mul_i32 s0, s11, s12
	v_mov_b32_e32 v1, s4
	s_add_co_i32 s0, s0, s1
	s_delay_alu instid0(SALU_CYCLE_1)
	v_mov_b32_e32 v0, s0
	global_store_b32 v0, v1, s[6:7] scale_offset
.LBB14_22:
	s_endpgm
	.section	.rodata,"a",@progbits
	.p2align	6, 0x0
	.amdhsa_kernel _ZL25flash_attn_mask_to_KV_maxILi4EEvPK7__half2Piiii
		.amdhsa_group_segment_fixed_size 128
		.amdhsa_private_segment_fixed_size 0
		.amdhsa_kernarg_size 288
		.amdhsa_user_sgpr_count 2
		.amdhsa_user_sgpr_dispatch_ptr 0
		.amdhsa_user_sgpr_queue_ptr 0
		.amdhsa_user_sgpr_kernarg_segment_ptr 1
		.amdhsa_user_sgpr_dispatch_id 0
		.amdhsa_user_sgpr_kernarg_preload_length 0
		.amdhsa_user_sgpr_kernarg_preload_offset 0
		.amdhsa_user_sgpr_private_segment_size 0
		.amdhsa_wavefront_size32 1
		.amdhsa_uses_dynamic_stack 0
		.amdhsa_enable_private_segment 0
		.amdhsa_system_sgpr_workgroup_id_x 1
		.amdhsa_system_sgpr_workgroup_id_y 1
		.amdhsa_system_sgpr_workgroup_id_z 0
		.amdhsa_system_sgpr_workgroup_info 0
		.amdhsa_system_vgpr_workitem_id 0
		.amdhsa_next_free_vgpr 6
		.amdhsa_next_free_sgpr 19
		.amdhsa_named_barrier_count 0
		.amdhsa_reserve_vcc 1
		.amdhsa_float_round_mode_32 0
		.amdhsa_float_round_mode_16_64 0
		.amdhsa_float_denorm_mode_32 3
		.amdhsa_float_denorm_mode_16_64 3
		.amdhsa_fp16_overflow 0
		.amdhsa_memory_ordered 1
		.amdhsa_forward_progress 1
		.amdhsa_inst_pref_size 6
		.amdhsa_round_robin_scheduling 0
		.amdhsa_exception_fp_ieee_invalid_op 0
		.amdhsa_exception_fp_denorm_src 0
		.amdhsa_exception_fp_ieee_div_zero 0
		.amdhsa_exception_fp_ieee_overflow 0
		.amdhsa_exception_fp_ieee_underflow 0
		.amdhsa_exception_fp_ieee_inexact 0
		.amdhsa_exception_int_div_zero 0
	.end_amdhsa_kernel
	.section	.text._ZL25flash_attn_mask_to_KV_maxILi4EEvPK7__half2Piiii,"axG",@progbits,_ZL25flash_attn_mask_to_KV_maxILi4EEvPK7__half2Piiii,comdat
.Lfunc_end14:
	.size	_ZL25flash_attn_mask_to_KV_maxILi4EEvPK7__half2Piiii, .Lfunc_end14-_ZL25flash_attn_mask_to_KV_maxILi4EEvPK7__half2Piiii
                                        ; -- End function
	.set _ZL25flash_attn_mask_to_KV_maxILi4EEvPK7__half2Piiii.num_vgpr, 6
	.set _ZL25flash_attn_mask_to_KV_maxILi4EEvPK7__half2Piiii.num_agpr, 0
	.set _ZL25flash_attn_mask_to_KV_maxILi4EEvPK7__half2Piiii.numbered_sgpr, 19
	.set _ZL25flash_attn_mask_to_KV_maxILi4EEvPK7__half2Piiii.num_named_barrier, 0
	.set _ZL25flash_attn_mask_to_KV_maxILi4EEvPK7__half2Piiii.private_seg_size, 0
	.set _ZL25flash_attn_mask_to_KV_maxILi4EEvPK7__half2Piiii.uses_vcc, 1
	.set _ZL25flash_attn_mask_to_KV_maxILi4EEvPK7__half2Piiii.uses_flat_scratch, 0
	.set _ZL25flash_attn_mask_to_KV_maxILi4EEvPK7__half2Piiii.has_dyn_sized_stack, 0
	.set _ZL25flash_attn_mask_to_KV_maxILi4EEvPK7__half2Piiii.has_recursion, 0
	.set _ZL25flash_attn_mask_to_KV_maxILi4EEvPK7__half2Piiii.has_indirect_call, 0
	.section	.AMDGPU.csdata,"",@progbits
; Kernel info:
; codeLenInByte = 748
; TotalNumSgprs: 21
; NumVgprs: 6
; ScratchSize: 0
; MemoryBound: 0
; FloatMode: 240
; IeeeMode: 1
; LDSByteSize: 128 bytes/workgroup (compile time only)
; SGPRBlocks: 0
; VGPRBlocks: 0
; NumSGPRsForWavesPerEU: 21
; NumVGPRsForWavesPerEU: 6
; NamedBarCnt: 0
; Occupancy: 16
; WaveLimiterHint : 0
; COMPUTE_PGM_RSRC2:SCRATCH_EN: 0
; COMPUTE_PGM_RSRC2:USER_SGPR: 2
; COMPUTE_PGM_RSRC2:TRAP_HANDLER: 0
; COMPUTE_PGM_RSRC2:TGID_X_EN: 1
; COMPUTE_PGM_RSRC2:TGID_Y_EN: 1
; COMPUTE_PGM_RSRC2:TGID_Z_EN: 0
; COMPUTE_PGM_RSRC2:TIDIG_COMP_CNT: 0
	.section	.text._ZL33flash_attn_stream_k_fixup_uniformILi512ELi4ELi4EEvPfPK15HIP_vector_typeIfLj2EEiiiiiiS1_IjLj3EES5_S5_,"axG",@progbits,_ZL33flash_attn_stream_k_fixup_uniformILi512ELi4ELi4EEvPfPK15HIP_vector_typeIfLj2EEiiiiiiS1_IjLj3EES5_S5_,comdat
	.globl	_ZL33flash_attn_stream_k_fixup_uniformILi512ELi4ELi4EEvPfPK15HIP_vector_typeIfLj2EEiiiiiiS1_IjLj3EES5_S5_ ; -- Begin function _ZL33flash_attn_stream_k_fixup_uniformILi512ELi4ELi4EEvPfPK15HIP_vector_typeIfLj2EEiiiiiiS1_IjLj3EES5_S5_
	.p2align	8
	.type	_ZL33flash_attn_stream_k_fixup_uniformILi512ELi4ELi4EEvPfPK15HIP_vector_typeIfLj2EEiiiiiiS1_IjLj3EES5_S5_,@function
_ZL33flash_attn_stream_k_fixup_uniformILi512ELi4ELi4EEvPfPK15HIP_vector_typeIfLj2EEiiiiiiS1_IjLj3EES5_S5_: ; @_ZL33flash_attn_stream_k_fixup_uniformILi512ELi4ELi4EEvPfPK15HIP_vector_typeIfLj2EEiiiiiiS1_IjLj3EES5_S5_
; %bb.0:
	s_load_b256 s[4:11], s[0:1], 0x1c
	s_bfe_u32 s2, ttmp6, 0x40014
	s_lshr_b32 s3, ttmp7, 16
	s_add_co_i32 s2, s2, 1
	s_bfe_u32 s13, ttmp6, 0x40010
	s_mul_i32 s2, s3, s2
	s_bfe_u32 s12, ttmp6, 0x40008
	s_and_b32 s15, ttmp7, 0xffff
	s_add_co_i32 s13, s13, 1
	s_bfe_u32 s14, ttmp6, 0x4000c
	s_add_co_i32 s12, s12, s2
	s_mul_i32 s2, s15, s13
	s_bfe_u32 s13, ttmp6, 0x40004
	s_add_co_i32 s14, s14, 1
	s_add_co_i32 s13, s13, s2
	s_and_b32 s2, ttmp6, 15
	s_mul_i32 s14, ttmp9, s14
	s_getreg_b32 s20, hwreg(HW_REG_IB_STS2, 6, 4)
	s_add_co_i32 s2, s2, s14
	s_load_b128 s[16:19], s[0:1], 0x3c
	s_cmp_eq_u32 s20, 0
	s_cselect_b32 s14, ttmp9, s2
	s_cselect_b32 s13, s15, s13
	s_wait_kmcnt 0x0
	s_mul_hi_u32 s2, s7, s14
	s_cselect_b32 s12, s3, s12
	s_add_co_i32 s2, s14, s2
	s_delay_alu instid0(SALU_CYCLE_1) | instskip(NEXT) | instid1(SALU_CYCLE_1)
	s_lshr_b32 s7, s2, s8
	s_mul_i32 s2, s7, s9
	s_delay_alu instid0(SALU_CYCLE_1) | instskip(NEXT) | instid1(SALU_CYCLE_1)
	s_sub_co_i32 s8, s14, s2
	s_mul_hi_u32 s2, s8, s10
	s_delay_alu instid0(SALU_CYCLE_1) | instskip(SKIP_2) | instid1(SALU_CYCLE_1)
	s_add_co_i32 s9, s8, s2
	s_load_b64 s[2:3], s[0:1], 0x10
	s_lshr_b32 s15, s9, s11
	s_mul_i32 s9, s15, s16
	s_delay_alu instid0(SALU_CYCLE_1) | instskip(NEXT) | instid1(SALU_CYCLE_1)
	s_sub_co_i32 s8, s8, s9
	s_mul_hi_u32 s9, s8, s17
	s_delay_alu instid0(SALU_CYCLE_1) | instskip(NEXT) | instid1(SALU_CYCLE_1)
	s_add_co_i32 s9, s8, s9
	s_lshr_b32 s9, s9, s18
	s_delay_alu instid0(SALU_CYCLE_1) | instskip(SKIP_2) | instid1(SALU_CYCLE_1)
	s_mul_i32 s10, s9, s19
	s_lshl_b32 s17, s9, 2
	s_sub_co_i32 s16, s8, s10
	s_lshl_b32 s8, s16, 2
	s_delay_alu instid0(SALU_CYCLE_1) | instskip(SKIP_4) | instid1(SALU_CYCLE_1)
	s_add_co_i32 s8, s8, s13
	s_wait_kmcnt 0x0
	s_cmp_lt_i32 s8, s2
	s_cselect_b32 s8, -1, 0
	s_add_co_i32 s9, s17, s12
	s_cmp_lt_i32 s9, s5
	s_cselect_b32 s9, -1, 0
	s_delay_alu instid0(SALU_CYCLE_1) | instskip(NEXT) | instid1(SALU_CYCLE_1)
	s_and_b32 s8, s8, s9
	s_and_not1_b32 vcc_lo, exec_lo, s8
	s_cbranch_vccnz .LBB15_6
; %bb.1:
	s_mul_i32 s2, s7, s2
	s_load_b128 s[8:11], s[0:1], 0x0
	s_wait_xcnt 0x0
	s_add_co_i32 s0, s2, s13
	s_mul_i32 s15, s15, s5
	s_mul_i32 s0, s0, s3
	;; [unrolled: 1-line block ×3, first 2 shown]
	s_add_co_i32 s0, s0, s12
	s_lshl_b32 s1, s1, 11
	s_add_co_i32 s0, s0, s15
	s_mul_i32 s7, s6, s14
	s_add_co_i32 s0, s0, s17
	s_lshl_b32 s5, s13, 2
	s_lshl_b32 s0, s0, 9
	s_add_co_i32 s15, s7, s6
	s_add_co_i32 s1, s1, s0
	;; [unrolled: 1-line block ×3, first 2 shown]
	v_or_b32_e32 v4, s1, v0
	s_lshl_b32 s1, s15, 4
	s_add_co_i32 s2, s15, -2
	s_add_co_i32 s0, s0, s1
	s_delay_alu instid0(SALU_CYCLE_1)
	s_add_co_i32 s0, s0, -16
	s_wait_kmcnt 0x0
	global_load_b32 v3, v4, s[8:9] scale_offset
	s_ashr_i32 s1, s0, 31
	v_ashrrev_i32_e32 v5, 31, v4
	s_lshl_b64 s[0:1], s[0:1], 3
	s_cmp_lt_i32 s2, s7
	s_add_nc_u64 s[0:1], s[10:11], s[0:1]
	s_load_b32 s16, s[0:1], 0x4
	s_cbranch_scc1 .LBB15_4
; %bb.2:
	s_wait_xcnt 0x0
	s_load_b32 s0, s[0:1], 0x0
	s_add_co_i32 s14, s14, 1
	s_lshl_b32 s3, s13, 11
	s_wait_xcnt 0x0
	s_mul_i32 s1, s6, s14
	s_lshl_b32 s6, s12, 9
	s_lshl_b32 s13, s1, 13
	s_add_co_i32 s6, s6, s3
	s_lshl_b32 s1, s1, 4
	s_add_co_i32 s6, s6, s13
	s_lshl_b32 s2, s4, 6
	s_wait_kmcnt 0x0
	v_dual_mov_b32 v2, s16 :: v_dual_bitop2_b32 v0, s6, v0 bitop3:0x54
	s_add_co_i32 s1, s12, s1
	s_lshl_b32 s4, s4, 4
	s_ashr_i32 s3, s2, 31
	s_add_co_i32 s1, s1, s4
	v_add_nc_u32_e32 v0, 0xffffc000, v0
	s_lshl_b64 s[2:3], s[2:3], 2
	s_add_co_i32 s4, s1, s5
	s_add_nc_u64 s[2:3], s[10:11], s[2:3]
	s_add_co_i32 s1, s15, -1
	s_sub_co_i32 s4, s4, 32
.LBB15_3:                               ; =>This Inner Loop Header: Depth=1
	global_load_b32 v7, v0, s[2:3] scale_offset
	s_ashr_i32 s5, s4, 31
	v_max_num_f32_e64 v1, s0, s0
	s_lshl_b64 s[12:13], s[4:5], 3
	s_delay_alu instid0(SALU_CYCLE_1) | instskip(SKIP_1) | instid1(VALU_DEP_1)
	s_add_nc_u64 s[12:13], s[10:11], s[12:13]
	s_load_b64 s[12:13], s[12:13], 0x0
	v_readfirstlane_b32 s5, v1
	v_add_nc_u32_e32 v0, 0xffffe000, v0
	s_wait_kmcnt 0x0
	v_max_num_f32_e64 v1, s12, s12
	s_delay_alu instid0(VALU_DEP_1) | instskip(SKIP_1) | instid1(SALU_CYCLE_3)
	v_readfirstlane_b32 s6, v1
	s_max_num_f32 s5, s5, s6
	s_sub_f32 s0, s0, s5
	s_sub_f32 s6, s12, s5
	s_delay_alu instid0(SALU_CYCLE_2) | instskip(NEXT) | instid1(SALU_CYCLE_2)
	s_mul_f32 s12, s0, 0x3fb8aa3b
	s_mul_f32 s14, s6, 0x3fb8aa3b
	s_delay_alu instid0(SALU_CYCLE_2)
	s_xor_b32 s15, s12, 0x80000000
	s_rndne_f32 s16, s12
	s_fmamk_f32 s15, s0, 0x3fb8aa3b, s15
	s_cmp_nlt_f32 s0, 0xc2ce8ed0
	s_rndne_f32 s17, s14
	s_sub_f32 s12, s12, s16
	s_fmamk_f32 s15, s0, 0x32a5705f, s15
	s_cselect_b32 vcc_lo, -1, 0
	s_cmp_ngt_f32 s0, 0x42b17218
	s_delay_alu instid0(SALU_CYCLE_1) | instskip(SKIP_2) | instid1(SALU_CYCLE_1)
	s_add_f32 s12, s12, s15
	s_cvt_i32_f32 s15, s16
	s_sub_f32 s16, s14, s17
	v_s_exp_f32 s12, s12
	v_nop
	s_delay_alu instid0(TRANS32_DEP_1) | instskip(SKIP_1) | instid1(VALU_DEP_1)
	v_ldexp_f32 v1, s12, s15
	s_cvt_i32_f32 s12, s17
	v_cndmask_b32_e32 v1, 0, v1, vcc_lo
	s_cselect_b32 vcc_lo, -1, 0
	s_cmp_ge_f32 s0, 0xc1a00000
	s_delay_alu instid0(VALU_DEP_1)
	v_cndmask_b32_e32 v1, 0x7f800000, v1, vcc_lo
	s_cselect_b32 vcc_lo, -1, 0
	s_xor_b32 s0, s14, 0x80000000
	s_cmp_nlt_f32 s6, 0xc2ce8ed0
	s_fmamk_f32 s0, s6, 0x3fb8aa3b, s0
	v_cndmask_b32_e32 v10, 0, v1, vcc_lo
	s_delay_alu instid0(SALU_CYCLE_2) | instskip(NEXT) | instid1(SALU_CYCLE_3)
	s_fmamk_f32 s0, s6, 0x32a5705f, s0
	s_add_f32 s0, s16, s0
	s_delay_alu instid0(SALU_CYCLE_3) | instskip(SKIP_1) | instid1(TRANS32_DEP_1)
	v_s_exp_f32 s0, s0
	v_nop
	v_ldexp_f32 v6, s0, s12
	s_cselect_b32 s0, -1, 0
	s_cmp_ngt_f32 s6, 0x42b17218
	s_delay_alu instid0(VALU_DEP_1) | instskip(SKIP_2) | instid1(VALU_DEP_1)
	v_cndmask_b32_e64 v6, 0, v6, s0
	s_cselect_b32 s0, -1, 0
	s_cmp_ge_f32 s6, 0xc1a00000
	v_cndmask_b32_e64 v8, 0x7f800000, v6, s0
	s_cselect_b32 s0, -1, 0
	v_mov_b32_e32 v6, s13
	s_add_co_i32 s1, s1, -1
	s_add_co_i32 s4, s4, -16
	v_cndmask_b32_e64 v8, 0, v8, s0
	s_cmp_le_i32 s1, s7
	s_mov_b32 s0, s5
	s_wait_loadcnt 0x0
	s_delay_alu instid0(VALU_DEP_1) | instskip(NEXT) | instid1(VALU_DEP_1)
	v_pk_mul_f32 v[6:7], v[6:7], v[8:9] op_sel_hi:[1,0]
	v_pk_fma_f32 v[2:3], v[2:3], v[10:11], v[6:7] op_sel_hi:[1,0,1]
	s_cbranch_scc0 .LBB15_3
	s_branch .LBB15_5
.LBB15_4:
	s_wait_kmcnt 0x0
	v_mov_b32_e32 v2, s16
.LBB15_5:
	v_lshl_add_u64 v[0:1], v[4:5], 2, s[8:9]
	s_wait_loadcnt 0x0
	s_delay_alu instid0(VALU_DEP_2) | instskip(NEXT) | instid1(VALU_DEP_1)
	v_div_scale_f32 v4, null, v2, v2, v3
	v_rcp_f32_e32 v5, v4
	v_nop
	s_delay_alu instid0(TRANS32_DEP_1) | instskip(NEXT) | instid1(VALU_DEP_1)
	v_fma_f32 v6, -v4, v5, 1.0
	v_fmac_f32_e32 v5, v6, v5
	v_div_scale_f32 v6, vcc_lo, v3, v2, v3
	s_delay_alu instid0(VALU_DEP_1) | instskip(NEXT) | instid1(VALU_DEP_1)
	v_mul_f32_e32 v7, v6, v5
	v_fma_f32 v8, -v4, v7, v6
	s_delay_alu instid0(VALU_DEP_1) | instskip(NEXT) | instid1(VALU_DEP_1)
	v_fmac_f32_e32 v7, v8, v5
	v_fma_f32 v4, -v4, v7, v6
	s_delay_alu instid0(VALU_DEP_1) | instskip(NEXT) | instid1(VALU_DEP_1)
	v_div_fmas_f32 v4, v4, v5, v7
	v_div_fixup_f32 v2, v4, v2, v3
	global_store_b32 v[0:1], v2, off
.LBB15_6:
	s_endpgm
	.section	.rodata,"a",@progbits
	.p2align	6, 0x0
	.amdhsa_kernel _ZL33flash_attn_stream_k_fixup_uniformILi512ELi4ELi4EEvPfPK15HIP_vector_typeIfLj2EEiiiiiiS1_IjLj3EES5_S5_
		.amdhsa_group_segment_fixed_size 0
		.amdhsa_private_segment_fixed_size 0
		.amdhsa_kernarg_size 76
		.amdhsa_user_sgpr_count 2
		.amdhsa_user_sgpr_dispatch_ptr 0
		.amdhsa_user_sgpr_queue_ptr 0
		.amdhsa_user_sgpr_kernarg_segment_ptr 1
		.amdhsa_user_sgpr_dispatch_id 0
		.amdhsa_user_sgpr_kernarg_preload_length 0
		.amdhsa_user_sgpr_kernarg_preload_offset 0
		.amdhsa_user_sgpr_private_segment_size 0
		.amdhsa_wavefront_size32 1
		.amdhsa_uses_dynamic_stack 0
		.amdhsa_enable_private_segment 0
		.amdhsa_system_sgpr_workgroup_id_x 1
		.amdhsa_system_sgpr_workgroup_id_y 1
		.amdhsa_system_sgpr_workgroup_id_z 1
		.amdhsa_system_sgpr_workgroup_info 0
		.amdhsa_system_vgpr_workitem_id 0
		.amdhsa_next_free_vgpr 12
		.amdhsa_next_free_sgpr 21
		.amdhsa_named_barrier_count 0
		.amdhsa_reserve_vcc 1
		.amdhsa_float_round_mode_32 0
		.amdhsa_float_round_mode_16_64 0
		.amdhsa_float_denorm_mode_32 3
		.amdhsa_float_denorm_mode_16_64 3
		.amdhsa_fp16_overflow 0
		.amdhsa_memory_ordered 1
		.amdhsa_forward_progress 1
		.amdhsa_inst_pref_size 9
		.amdhsa_round_robin_scheduling 0
		.amdhsa_exception_fp_ieee_invalid_op 0
		.amdhsa_exception_fp_denorm_src 0
		.amdhsa_exception_fp_ieee_div_zero 0
		.amdhsa_exception_fp_ieee_overflow 0
		.amdhsa_exception_fp_ieee_underflow 0
		.amdhsa_exception_fp_ieee_inexact 0
		.amdhsa_exception_int_div_zero 0
	.end_amdhsa_kernel
	.section	.text._ZL33flash_attn_stream_k_fixup_uniformILi512ELi4ELi4EEvPfPK15HIP_vector_typeIfLj2EEiiiiiiS1_IjLj3EES5_S5_,"axG",@progbits,_ZL33flash_attn_stream_k_fixup_uniformILi512ELi4ELi4EEvPfPK15HIP_vector_typeIfLj2EEiiiiiiS1_IjLj3EES5_S5_,comdat
.Lfunc_end15:
	.size	_ZL33flash_attn_stream_k_fixup_uniformILi512ELi4ELi4EEvPfPK15HIP_vector_typeIfLj2EEiiiiiiS1_IjLj3EES5_S5_, .Lfunc_end15-_ZL33flash_attn_stream_k_fixup_uniformILi512ELi4ELi4EEvPfPK15HIP_vector_typeIfLj2EEiiiiiiS1_IjLj3EES5_S5_
                                        ; -- End function
	.set _ZL33flash_attn_stream_k_fixup_uniformILi512ELi4ELi4EEvPfPK15HIP_vector_typeIfLj2EEiiiiiiS1_IjLj3EES5_S5_.num_vgpr, 12
	.set _ZL33flash_attn_stream_k_fixup_uniformILi512ELi4ELi4EEvPfPK15HIP_vector_typeIfLj2EEiiiiiiS1_IjLj3EES5_S5_.num_agpr, 0
	.set _ZL33flash_attn_stream_k_fixup_uniformILi512ELi4ELi4EEvPfPK15HIP_vector_typeIfLj2EEiiiiiiS1_IjLj3EES5_S5_.numbered_sgpr, 21
	.set _ZL33flash_attn_stream_k_fixup_uniformILi512ELi4ELi4EEvPfPK15HIP_vector_typeIfLj2EEiiiiiiS1_IjLj3EES5_S5_.num_named_barrier, 0
	.set _ZL33flash_attn_stream_k_fixup_uniformILi512ELi4ELi4EEvPfPK15HIP_vector_typeIfLj2EEiiiiiiS1_IjLj3EES5_S5_.private_seg_size, 0
	.set _ZL33flash_attn_stream_k_fixup_uniformILi512ELi4ELi4EEvPfPK15HIP_vector_typeIfLj2EEiiiiiiS1_IjLj3EES5_S5_.uses_vcc, 1
	.set _ZL33flash_attn_stream_k_fixup_uniformILi512ELi4ELi4EEvPfPK15HIP_vector_typeIfLj2EEiiiiiiS1_IjLj3EES5_S5_.uses_flat_scratch, 0
	.set _ZL33flash_attn_stream_k_fixup_uniformILi512ELi4ELi4EEvPfPK15HIP_vector_typeIfLj2EEiiiiiiS1_IjLj3EES5_S5_.has_dyn_sized_stack, 0
	.set _ZL33flash_attn_stream_k_fixup_uniformILi512ELi4ELi4EEvPfPK15HIP_vector_typeIfLj2EEiiiiiiS1_IjLj3EES5_S5_.has_recursion, 0
	.set _ZL33flash_attn_stream_k_fixup_uniformILi512ELi4ELi4EEvPfPK15HIP_vector_typeIfLj2EEiiiiiiS1_IjLj3EES5_S5_.has_indirect_call, 0
	.section	.AMDGPU.csdata,"",@progbits
; Kernel info:
; codeLenInByte = 1092
; TotalNumSgprs: 23
; NumVgprs: 12
; ScratchSize: 0
; MemoryBound: 0
; FloatMode: 240
; IeeeMode: 1
; LDSByteSize: 0 bytes/workgroup (compile time only)
; SGPRBlocks: 0
; VGPRBlocks: 0
; NumSGPRsForWavesPerEU: 23
; NumVGPRsForWavesPerEU: 12
; NamedBarCnt: 0
; Occupancy: 16
; WaveLimiterHint : 0
; COMPUTE_PGM_RSRC2:SCRATCH_EN: 0
; COMPUTE_PGM_RSRC2:USER_SGPR: 2
; COMPUTE_PGM_RSRC2:TRAP_HANDLER: 0
; COMPUTE_PGM_RSRC2:TGID_X_EN: 1
; COMPUTE_PGM_RSRC2:TGID_Y_EN: 1
; COMPUTE_PGM_RSRC2:TGID_Z_EN: 1
; COMPUTE_PGM_RSRC2:TIDIG_COMP_CNT: 0
	.section	.text._ZL33flash_attn_stream_k_fixup_generalILi512ELi4ELi4EEvPfPK15HIP_vector_typeIfLj2EEiiiiS1_IjLj3EES5_S5_S5_,"axG",@progbits,_ZL33flash_attn_stream_k_fixup_generalILi512ELi4ELi4EEvPfPK15HIP_vector_typeIfLj2EEiiiiS1_IjLj3EES5_S5_S5_,comdat
	.globl	_ZL33flash_attn_stream_k_fixup_generalILi512ELi4ELi4EEvPfPK15HIP_vector_typeIfLj2EEiiiiS1_IjLj3EES5_S5_S5_ ; -- Begin function _ZL33flash_attn_stream_k_fixup_generalILi512ELi4ELi4EEvPfPK15HIP_vector_typeIfLj2EEiiiiS1_IjLj3EES5_S5_S5_
	.p2align	8
	.type	_ZL33flash_attn_stream_k_fixup_generalILi512ELi4ELi4EEvPfPK15HIP_vector_typeIfLj2EEiiiiS1_IjLj3EES5_S5_S5_,@function
_ZL33flash_attn_stream_k_fixup_generalILi512ELi4ELi4EEvPfPK15HIP_vector_typeIfLj2EEiiiiS1_IjLj3EES5_S5_S5_: ; @_ZL33flash_attn_stream_k_fixup_generalILi512ELi4ELi4EEvPfPK15HIP_vector_typeIfLj2EEiiiiS1_IjLj3EES5_S5_S5_
; %bb.0:
	s_clause 0x1
	s_load_b128 s[4:7], s[0:1], 0x10
	s_load_b32 s16, s[0:1], 0x50
	s_bfe_u32 s2, ttmp6, 0x4000c
	s_and_b32 s3, ttmp6, 15
	s_add_co_i32 s2, s2, 1
	s_getreg_b32 s15, hwreg(HW_REG_IB_STS2, 6, 4)
	s_mul_i32 s2, ttmp9, s2
	s_mov_b32 s17, 0
	s_add_co_i32 s3, s3, s2
	s_cmp_eq_u32 s15, 0
	s_cselect_b32 s2, ttmp9, s3
	s_delay_alu instid0(SALU_CYCLE_1) | instskip(SKIP_3) | instid1(SALU_CYCLE_1)
	s_ashr_i32 s3, s2, 31
	s_wait_kmcnt 0x0
	s_ashr_i32 s19, s7, 31
	s_mov_b32 s18, s7
	s_mul_u64 s[8:9], s[18:19], s[2:3]
	s_delay_alu instid0(SALU_CYCLE_1) | instskip(NEXT) | instid1(SALU_CYCLE_1)
	s_and_b64 s[10:11], s[8:9], 0xffffffff00000000
	s_cmp_lg_u64 s[10:11], 0
	s_cbranch_scc0 .LBB16_21
; %bb.1:
	s_add_nc_u64 s[10:11], s[16:17], 0
	s_mov_b32 s23, s17
	s_xor_b64 s[10:11], s[10:11], 0
	s_mov_b32 s27, s17
	s_cvt_f32_u32 s3, s10
	s_cvt_f32_u32 s7, s11
	s_sub_nc_u64 s[20:21], 0, s[10:11]
	s_delay_alu instid0(SALU_CYCLE_2) | instskip(NEXT) | instid1(SALU_CYCLE_3)
	s_fmamk_f32 s3, s7, 0x4f800000, s3
	v_s_rcp_f32 s3, s3
	s_delay_alu instid0(TRANS32_DEP_1) | instskip(NEXT) | instid1(SALU_CYCLE_3)
	s_mul_f32 s3, s3, 0x5f7ffffc
	s_mul_f32 s7, s3, 0x2f800000
	s_delay_alu instid0(SALU_CYCLE_3) | instskip(NEXT) | instid1(SALU_CYCLE_3)
	s_trunc_f32 s7, s7
	s_fmamk_f32 s3, s7, 0xcf800000, s3
	s_cvt_u32_f32 s13, s7
	s_delay_alu instid0(SALU_CYCLE_2) | instskip(NEXT) | instid1(SALU_CYCLE_3)
	s_cvt_u32_f32 s12, s3
	s_mul_u64 s[24:25], s[20:21], s[12:13]
	s_delay_alu instid0(SALU_CYCLE_1)
	s_mul_hi_u32 s29, s12, s25
	s_mul_i32 s28, s12, s25
	s_mul_hi_u32 s22, s12, s24
	s_mul_i32 s7, s13, s24
	s_add_nc_u64 s[22:23], s[22:23], s[28:29]
	s_mul_hi_u32 s3, s13, s24
	s_mul_hi_u32 s14, s13, s25
	s_add_co_u32 s7, s22, s7
	s_add_co_ci_u32 s26, s23, s3
	s_mul_i32 s24, s13, s25
	s_add_co_ci_u32 s25, s14, 0
	s_delay_alu instid0(SALU_CYCLE_1) | instskip(SKIP_3) | instid1(SALU_CYCLE_1)
	s_add_nc_u64 s[22:23], s[26:27], s[24:25]
	s_mov_b32 s25, s17
	s_add_co_u32 s12, s12, s22
	s_cselect_b32 s3, -1, 0
	s_cmp_lg_u32 s3, 0
	s_add_co_ci_u32 s13, s13, s23
	s_mov_b32 s23, s17
	s_mul_u64 s[20:21], s[20:21], s[12:13]
	s_delay_alu instid0(SALU_CYCLE_1)
	s_mul_hi_u32 s27, s12, s21
	s_mul_i32 s26, s12, s21
	s_mul_hi_u32 s22, s12, s20
	s_mul_i32 s7, s13, s20
	s_add_nc_u64 s[22:23], s[22:23], s[26:27]
	s_mul_hi_u32 s3, s13, s20
	s_mul_hi_u32 s14, s13, s21
	s_add_co_u32 s7, s22, s7
	s_add_co_ci_u32 s24, s23, s3
	s_mul_i32 s20, s13, s21
	s_add_co_ci_u32 s21, s14, 0
	s_mov_b32 s23, s17
	s_add_nc_u64 s[20:21], s[24:25], s[20:21]
	s_delay_alu instid0(SALU_CYCLE_1) | instskip(SKIP_1) | instid1(SALU_CYCLE_1)
	s_add_co_u32 s3, s12, s20
	s_cselect_b32 s7, -1, 0
	s_cmp_lg_u32 s7, 0
	s_add_co_ci_u32 s7, s13, s21
	s_ashr_i32 s12, s9, 31
	s_delay_alu instid0(SALU_CYCLE_1) | instskip(NEXT) | instid1(SALU_CYCLE_1)
	s_mov_b32 s13, s12
	s_add_nc_u64 s[20:21], s[8:9], s[12:13]
	s_delay_alu instid0(SALU_CYCLE_1) | instskip(NEXT) | instid1(SALU_CYCLE_1)
	s_xor_b64 s[20:21], s[20:21], s[12:13]
	s_mul_hi_u32 s27, s20, s7
	s_mul_i32 s26, s20, s7
	s_mul_hi_u32 s22, s20, s3
	s_mul_hi_u32 s14, s21, s3
	s_mul_i32 s3, s21, s3
	s_add_nc_u64 s[22:23], s[22:23], s[26:27]
	s_mul_hi_u32 s9, s21, s7
	s_add_co_u32 s3, s22, s3
	s_add_co_ci_u32 s24, s23, s14
	s_mul_i32 s26, s21, s7
	s_add_co_ci_u32 s27, s9, 0
	s_delay_alu instid0(SALU_CYCLE_1) | instskip(NEXT) | instid1(SALU_CYCLE_1)
	s_add_nc_u64 s[22:23], s[24:25], s[26:27]
	s_and_b64 s[24:25], s[22:23], 0xffffffff00000000
	s_delay_alu instid0(SALU_CYCLE_1) | instskip(NEXT) | instid1(SALU_CYCLE_1)
	s_or_b32 s24, s24, s22
	s_mul_u64 s[22:23], s[10:11], s[24:25]
	s_add_nc_u64 s[26:27], s[24:25], 1
	s_sub_co_u32 s3, s20, s22
	s_cselect_b32 s7, -1, 0
	s_sub_co_i32 s9, s21, s23
	s_cmp_lg_u32 s7, 0
	s_add_nc_u64 s[28:29], s[24:25], 2
	s_sub_co_ci_u32 s9, s9, s11
	s_sub_co_u32 s14, s3, s10
	s_cselect_b32 s20, -1, 0
	s_delay_alu instid0(SALU_CYCLE_1) | instskip(SKIP_1) | instid1(SALU_CYCLE_1)
	s_cmp_lg_u32 s20, 0
	s_sub_co_ci_u32 s9, s9, 0
	s_cmp_ge_u32 s9, s11
	s_cselect_b32 s20, -1, 0
	s_cmp_ge_u32 s14, s10
	s_cselect_b32 s14, -1, 0
	s_cmp_eq_u32 s9, s11
	s_cselect_b32 s9, s14, s20
	s_delay_alu instid0(SALU_CYCLE_1) | instskip(SKIP_4) | instid1(SALU_CYCLE_1)
	s_cmp_lg_u32 s9, 0
	s_cselect_b32 s9, s28, s26
	s_cselect_b32 s14, s29, s27
	s_cmp_lg_u32 s7, 0
	s_sub_co_ci_u32 s7, s21, s23
	s_cmp_ge_u32 s7, s11
	s_cselect_b32 s20, -1, 0
	s_cmp_ge_u32 s3, s10
	s_cselect_b32 s3, -1, 0
	s_cmp_eq_u32 s7, s11
	s_cselect_b32 s3, s3, s20
	s_delay_alu instid0(SALU_CYCLE_1) | instskip(SKIP_4) | instid1(SALU_CYCLE_1)
	s_cmp_lg_u32 s3, 0
	s_mov_b32 s3, s17
	s_cselect_b32 s11, s14, s25
	s_cselect_b32 s10, s9, s24
	s_xor_b64 s[12:13], s[12:13], 0
	s_xor_b64 s[10:11], s[10:11], s[12:13]
	s_delay_alu instid0(SALU_CYCLE_1)
	s_sub_nc_u64 s[20:21], s[10:11], s[12:13]
	s_and_not1_b32 vcc_lo, exec_lo, s3
	s_cbranch_vccnz .LBB16_3
.LBB16_2:
	v_cvt_f32_u32_e32 v1, s16
	s_sub_co_i32 s7, 0, s16
	s_mov_b32 s21, 0
	s_delay_alu instid0(VALU_DEP_1) | instskip(SKIP_1) | instid1(TRANS32_DEP_1)
	v_rcp_iflag_f32_e32 v1, v1
	v_nop
	v_mul_f32_e32 v1, 0x4f7ffffe, v1
	s_delay_alu instid0(VALU_DEP_1) | instskip(NEXT) | instid1(VALU_DEP_1)
	v_cvt_u32_f32_e32 v1, v1
	v_readfirstlane_b32 s3, v1
	s_mul_i32 s7, s7, s3
	s_delay_alu instid0(SALU_CYCLE_1) | instskip(NEXT) | instid1(SALU_CYCLE_1)
	s_mul_hi_u32 s7, s3, s7
	s_add_co_i32 s3, s3, s7
	s_delay_alu instid0(SALU_CYCLE_1) | instskip(NEXT) | instid1(SALU_CYCLE_1)
	s_mul_hi_u32 s3, s8, s3
	s_mul_i32 s7, s3, s16
	s_delay_alu instid0(SALU_CYCLE_1)
	s_sub_co_i32 s7, s8, s7
	s_add_co_i32 s8, s3, 1
	s_sub_co_i32 s9, s7, s16
	s_cmp_ge_u32 s7, s16
	s_cselect_b32 s3, s8, s3
	s_cselect_b32 s7, s9, s7
	s_add_co_i32 s8, s3, 1
	s_cmp_ge_u32 s7, s16
	s_cselect_b32 s20, s8, s3
.LBB16_3:
	s_add_co_i32 s8, s2, 1
	s_delay_alu instid0(SALU_CYCLE_1) | instskip(NEXT) | instid1(SALU_CYCLE_1)
	s_ashr_i32 s9, s8, 31
	s_mul_u64 s[8:9], s[18:19], s[8:9]
	s_delay_alu instid0(SALU_CYCLE_1) | instskip(NEXT) | instid1(SALU_CYCLE_1)
	s_and_b64 s[10:11], s[8:9], 0xffffffff00000000
	s_cmp_lg_u64 s[10:11], 0
	s_cbranch_scc0 .LBB16_22
; %bb.4:
	s_add_nc_u64 s[10:11], s[16:17], 0
	s_delay_alu instid0(SALU_CYCLE_1) | instskip(SKIP_4) | instid1(SALU_CYCLE_2)
	s_xor_b64 s[12:13], s[10:11], 0
	s_mov_b32 s11, 0
	s_cvt_f32_u32 s3, s12
	s_cvt_f32_u32 s7, s13
	s_sub_nc_u64 s[24:25], 0, s[12:13]
	s_fmamk_f32 s3, s7, 0x4f800000, s3
	s_delay_alu instid0(SALU_CYCLE_3) | instskip(NEXT) | instid1(TRANS32_DEP_1)
	v_s_rcp_f32 s3, s3
	s_mul_f32 s3, s3, 0x5f7ffffc
	s_delay_alu instid0(SALU_CYCLE_3) | instskip(NEXT) | instid1(SALU_CYCLE_3)
	s_mul_f32 s7, s3, 0x2f800000
	s_trunc_f32 s7, s7
	s_delay_alu instid0(SALU_CYCLE_3) | instskip(SKIP_1) | instid1(SALU_CYCLE_2)
	s_fmamk_f32 s3, s7, 0xcf800000, s3
	s_cvt_u32_f32 s23, s7
	s_cvt_u32_f32 s22, s3
	s_delay_alu instid0(SALU_CYCLE_3) | instskip(NEXT) | instid1(SALU_CYCLE_1)
	s_mul_u64 s[26:27], s[24:25], s[22:23]
	s_mul_hi_u32 s29, s22, s27
	s_mul_i32 s28, s22, s27
	s_mul_hi_u32 s10, s22, s26
	s_mul_i32 s7, s23, s26
	s_add_nc_u64 s[28:29], s[10:11], s[28:29]
	s_mul_hi_u32 s3, s23, s26
	s_mul_hi_u32 s14, s23, s27
	s_add_co_u32 s7, s28, s7
	s_add_co_ci_u32 s10, s29, s3
	s_mul_i32 s26, s23, s27
	s_add_co_ci_u32 s27, s14, 0
	s_delay_alu instid0(SALU_CYCLE_1) | instskip(NEXT) | instid1(SALU_CYCLE_1)
	s_add_nc_u64 s[26:27], s[10:11], s[26:27]
	s_add_co_u32 s22, s22, s26
	s_cselect_b32 s3, -1, 0
	s_delay_alu instid0(SALU_CYCLE_1) | instskip(SKIP_1) | instid1(SALU_CYCLE_1)
	s_cmp_lg_u32 s3, 0
	s_add_co_ci_u32 s23, s23, s27
	s_mul_u64 s[24:25], s[24:25], s[22:23]
	s_delay_alu instid0(SALU_CYCLE_1)
	s_mul_hi_u32 s27, s22, s25
	s_mul_i32 s26, s22, s25
	s_mul_hi_u32 s10, s22, s24
	s_mul_i32 s7, s23, s24
	s_add_nc_u64 s[26:27], s[10:11], s[26:27]
	s_mul_hi_u32 s3, s23, s24
	s_mul_hi_u32 s14, s23, s25
	s_add_co_u32 s7, s26, s7
	s_add_co_ci_u32 s10, s27, s3
	s_mul_i32 s24, s23, s25
	s_add_co_ci_u32 s25, s14, 0
	s_delay_alu instid0(SALU_CYCLE_1) | instskip(NEXT) | instid1(SALU_CYCLE_1)
	s_add_nc_u64 s[24:25], s[10:11], s[24:25]
	s_add_co_u32 s3, s22, s24
	s_cselect_b32 s7, -1, 0
	s_delay_alu instid0(SALU_CYCLE_1) | instskip(SKIP_2) | instid1(SALU_CYCLE_1)
	s_cmp_lg_u32 s7, 0
	s_add_co_ci_u32 s7, s23, s25
	s_ashr_i32 s22, s9, 31
	s_mov_b32 s23, s22
	s_delay_alu instid0(SALU_CYCLE_1) | instskip(NEXT) | instid1(SALU_CYCLE_1)
	s_add_nc_u64 s[24:25], s[8:9], s[22:23]
	s_xor_b64 s[24:25], s[24:25], s[22:23]
	s_delay_alu instid0(SALU_CYCLE_1)
	s_mul_hi_u32 s27, s24, s7
	s_mul_i32 s26, s24, s7
	s_mul_hi_u32 s10, s24, s3
	s_mul_hi_u32 s14, s25, s3
	s_mul_i32 s3, s25, s3
	s_add_nc_u64 s[26:27], s[10:11], s[26:27]
	s_mul_hi_u32 s9, s25, s7
	s_add_co_u32 s3, s26, s3
	s_add_co_ci_u32 s10, s27, s14
	s_mul_i32 s28, s25, s7
	s_add_co_ci_u32 s29, s9, 0
	s_delay_alu instid0(SALU_CYCLE_1) | instskip(NEXT) | instid1(SALU_CYCLE_1)
	s_add_nc_u64 s[26:27], s[10:11], s[28:29]
	s_and_b64 s[28:29], s[26:27], 0xffffffff00000000
	s_delay_alu instid0(SALU_CYCLE_1) | instskip(NEXT) | instid1(SALU_CYCLE_1)
	s_or_b32 s28, s28, s26
	s_mul_u64 s[26:27], s[12:13], s[28:29]
	s_add_nc_u64 s[30:31], s[28:29], 1
	s_sub_co_u32 s3, s24, s26
	s_cselect_b32 s7, -1, 0
	s_sub_co_i32 s9, s25, s27
	s_cmp_lg_u32 s7, 0
	s_add_nc_u64 s[34:35], s[28:29], 2
	s_sub_co_ci_u32 s9, s9, s13
	s_sub_co_u32 s10, s3, s12
	s_cselect_b32 s14, -1, 0
	s_delay_alu instid0(SALU_CYCLE_1) | instskip(SKIP_1) | instid1(SALU_CYCLE_1)
	s_cmp_lg_u32 s14, 0
	s_sub_co_ci_u32 s9, s9, 0
	s_cmp_ge_u32 s9, s13
	s_cselect_b32 s14, -1, 0
	s_cmp_ge_u32 s10, s12
	s_cselect_b32 s10, -1, 0
	s_cmp_eq_u32 s9, s13
	s_cselect_b32 s9, s10, s14
	s_delay_alu instid0(SALU_CYCLE_1) | instskip(SKIP_4) | instid1(SALU_CYCLE_1)
	s_cmp_lg_u32 s9, 0
	s_cselect_b32 s9, s34, s30
	s_cselect_b32 s10, s35, s31
	s_cmp_lg_u32 s7, 0
	s_sub_co_ci_u32 s7, s25, s27
	s_cmp_ge_u32 s7, s13
	s_cselect_b32 s14, -1, 0
	s_cmp_ge_u32 s3, s12
	s_cselect_b32 s3, -1, 0
	s_cmp_eq_u32 s7, s13
	s_cselect_b32 s3, s3, s14
	s_delay_alu instid0(SALU_CYCLE_1) | instskip(SKIP_3) | instid1(SALU_CYCLE_1)
	s_cmp_lg_u32 s3, 0
	s_cselect_b32 s13, s10, s29
	s_cselect_b32 s12, s9, s28
	s_xor_b64 s[22:23], s[22:23], 0
	s_xor_b64 s[12:13], s[12:13], s[22:23]
	s_delay_alu instid0(SALU_CYCLE_1)
	s_sub_nc_u64 s[24:25], s[12:13], s[22:23]
	s_load_b96 s[12:14], s[0:1], 0x44
	s_cbranch_execnz .LBB16_6
.LBB16_5:
	v_cvt_f32_u32_e32 v1, s16
	s_sub_co_i32 s7, 0, s16
	s_delay_alu instid0(VALU_DEP_1) | instskip(SKIP_1) | instid1(TRANS32_DEP_1)
	v_rcp_iflag_f32_e32 v1, v1
	v_nop
	v_mul_f32_e32 v1, 0x4f7ffffe, v1
	s_delay_alu instid0(VALU_DEP_1) | instskip(NEXT) | instid1(VALU_DEP_1)
	v_cvt_u32_f32_e32 v1, v1
	v_readfirstlane_b32 s3, v1
	s_mul_i32 s7, s7, s3
	s_delay_alu instid0(SALU_CYCLE_1) | instskip(NEXT) | instid1(SALU_CYCLE_1)
	s_mul_hi_u32 s7, s3, s7
	s_add_co_i32 s3, s3, s7
	s_delay_alu instid0(SALU_CYCLE_1) | instskip(NEXT) | instid1(SALU_CYCLE_1)
	s_mul_hi_u32 s3, s8, s3
	s_mul_i32 s7, s3, s16
	s_delay_alu instid0(SALU_CYCLE_1)
	s_sub_co_i32 s7, s8, s7
	s_add_co_i32 s8, s3, 1
	s_sub_co_i32 s9, s7, s16
	s_cmp_ge_u32 s7, s16
	s_cselect_b32 s3, s8, s3
	s_cselect_b32 s7, s9, s7
	s_add_co_i32 s8, s3, 1
	s_cmp_ge_u32 s7, s16
	s_cselect_b32 s24, s8, s3
.LBB16_6:
	s_delay_alu instid0(SALU_CYCLE_1)
	s_cmp_eq_u32 s20, s24
	s_mov_b64 s[8:9], 0xffffffff
	s_cselect_b32 s3, -1, 0
	s_and_b64 s[8:9], s[20:21], s[8:9]
	s_mov_b32 s23, 0
	s_wait_kmcnt 0x0
	s_mov_b32 s22, s12
	s_mov_b32 s25, s23
	s_mul_u64 s[10:11], s[8:9], s[22:23]
	s_delay_alu instid0(SALU_CYCLE_1) | instskip(SKIP_2) | instid1(SALU_CYCLE_1)
	s_add_co_i32 s7, s11, s20
	s_mul_u64 s[10:11], s[24:25], s[22:23]
	s_lshr_b32 s12, s7, s13
	s_mul_i32 s7, s12, s14
	s_delay_alu instid0(SALU_CYCLE_1) | instskip(SKIP_2) | instid1(SALU_CYCLE_1)
	s_cmp_eq_u32 s7, s20
	s_cselect_b32 s7, -1, 0
	s_add_co_i32 s10, s11, s24
	s_lshr_b32 s10, s10, s13
	s_delay_alu instid0(SALU_CYCLE_1)
	s_cmp_eq_u32 s12, s10
	s_mul_i32 s10, s10, s14
	s_cselect_b32 s11, -1, 0
	s_cmp_lg_u32 s10, s24
	s_cselect_b32 s10, -1, 0
	s_or_b32 s3, s3, s7
	s_and_b32 s10, s11, s10
	s_delay_alu instid0(SALU_CYCLE_1) | instskip(NEXT) | instid1(SALU_CYCLE_1)
	s_or_b32 s3, s3, s10
	s_and_b32 vcc_lo, exec_lo, s3
	s_cbranch_vccnz .LBB16_24
; %bb.7:
	s_load_b256 s[24:31], s[0:1], 0x20
	s_bfe_u32 s7, ttmp6, 0x40014
	s_bfe_u32 s33, ttmp6, 0x40010
	s_lshr_b32 s3, ttmp7, 16
	s_add_co_i32 s7, s7, 1
	s_and_b32 s21, ttmp7, 0xffff
	s_add_co_i32 s33, s33, 1
	s_bfe_u32 s10, ttmp6, 0x40008
	s_mul_i32 s7, s3, s7
	s_bfe_u32 s34, ttmp6, 0x40004
	s_mul_i32 s33, s21, s33
	s_mov_b32 s11, s23
	s_add_co_i32 s35, s10, s7
	s_add_co_i32 s34, s34, s33
	s_cmp_eq_u32 s15, 0
	s_cselect_b32 s7, s21, s34
	s_cselect_b32 s3, s3, s35
	s_wait_kmcnt 0x0
	s_mov_b32 s10, s24
	s_delay_alu instid0(SALU_CYCLE_1) | instskip(NEXT) | instid1(SALU_CYCLE_1)
	s_mul_u64 s[8:9], s[8:9], s[10:11]
	s_add_co_i32 s8, s9, s20
	s_load_b32 s9, s[0:1], 0x40
	s_lshr_b32 s8, s8, s25
	s_delay_alu instid0(SALU_CYCLE_1) | instskip(NEXT) | instid1(SALU_CYCLE_1)
	s_mul_i32 s10, s8, s26
	s_sub_co_i32 s10, s20, s10
	s_delay_alu instid0(SALU_CYCLE_1) | instskip(NEXT) | instid1(SALU_CYCLE_1)
	s_mul_hi_u32 s11, s10, s27
	s_add_co_i32 s11, s10, s11
	s_delay_alu instid0(SALU_CYCLE_1) | instskip(NEXT) | instid1(SALU_CYCLE_1)
	s_lshr_b32 s15, s11, s28
	s_mul_i32 s11, s15, s29
	s_delay_alu instid0(SALU_CYCLE_1) | instskip(NEXT) | instid1(SALU_CYCLE_1)
	s_sub_co_i32 s10, s10, s11
	s_mul_hi_u32 s11, s10, s30
	s_delay_alu instid0(SALU_CYCLE_1) | instskip(NEXT) | instid1(SALU_CYCLE_1)
	s_add_co_i32 s11, s10, s11
	s_lshr_b32 s26, s11, s31
	s_mov_b32 s11, s23
	s_wait_kmcnt 0x0
	s_mul_i32 s9, s26, s9
	s_delay_alu instid0(SALU_CYCLE_1) | instskip(NEXT) | instid1(SALU_CYCLE_1)
	s_sub_co_i32 s10, s10, s9
	s_mul_u64 s[24:25], s[10:11], s[22:23]
	s_lshl_b32 s24, s26, 2
	s_add_co_i32 s9, s10, s25
	s_delay_alu instid0(SALU_CYCLE_1) | instskip(NEXT) | instid1(SALU_CYCLE_1)
	s_lshr_b32 s21, s9, s13
	s_lshl_b32 s9, s21, 2
	s_delay_alu instid0(SALU_CYCLE_1) | instskip(NEXT) | instid1(SALU_CYCLE_1)
	s_add_co_i32 s9, s9, s7
	s_cmp_lt_i32 s9, s4
	s_cselect_b32 s9, -1, 0
	s_add_co_i32 s10, s24, s3
	s_delay_alu instid0(SALU_CYCLE_1) | instskip(SKIP_1) | instid1(SALU_CYCLE_1)
	s_cmp_lt_i32 s10, s6
	s_cselect_b32 s10, -1, 0
	s_and_b32 s9, s9, s10
	s_delay_alu instid0(SALU_CYCLE_1)
	s_and_not1_b32 vcc_lo, exec_lo, s9
	s_cbranch_vccnz .LBB16_24
; %bb.8:
	s_mul_i32 s4, s8, s4
	s_load_b128 s[8:11], s[0:1], 0x0
	s_wait_xcnt 0x0
	s_add_co_i32 s0, s4, s7
	s_mul_i32 s15, s15, s6
	s_mul_i32 s0, s0, s5
	;; [unrolled: 1-line block ×3, first 2 shown]
	s_add_co_i32 s0, s0, s3
	s_lshl_b32 s1, s1, 11
	s_add_co_i32 s0, s0, s15
	s_lshl_b32 s15, s7, 2
	s_add_co_i32 s0, s0, s24
	s_add_co_i32 s15, s15, s3
	s_lshl_b32 s0, s0, 9
	v_lshl_or_b32 v6, s15, 9, v0
	s_add_co_i32 s1, s1, s0
	v_cvt_f32_u32_e32 v4, s16
	v_or_b32_e32 v2, s1, v0
	s_add_nc_u64 s[0:1], s[16:17], 0
	s_lshl_b32 s24, s16, 6
	s_xor_b64 s[6:7], s[0:1], 0
	s_lshl_b32 s0, s2, 4
	s_cvt_f32_u32 s3, s6
	s_add_co_i32 s0, s15, s0
	s_cvt_f32_u32 s4, s7
	s_ashr_i32 s1, s0, 31
	v_rcp_iflag_f32_e32 v4, v4
	s_lshl_b64 s[0:1], s[0:1], 3
	s_fmamk_f32 s3, s4, 0x4f800000, s3
	s_wait_kmcnt 0x0
	s_add_nc_u64 s[0:1], s[10:11], s[0:1]
	s_mov_b32 s25, 0
	s_load_b64 s[28:29], s[0:1], 0x0
	v_s_rcp_f32 s3, s3
	s_wait_xcnt 0x0
	s_lshl_b64 s[0:1], s[24:25], 2
	s_add_co_i32 s36, s2, -1
	s_add_nc_u64 s[26:27], s[10:11], s[0:1]
	s_sub_nc_u64 s[34:35], 0, s[6:7]
	v_mul_f32_e32 v4, 0x4f7ffffe, v4
	s_delay_alu instid0(TRANS32_DEP_1) | instskip(NEXT) | instid1(VALU_DEP_1)
	s_mul_f32 s3, s3, 0x5f7ffffc
	v_cvt_u32_f32_e32 v7, v4
	s_delay_alu instid0(SALU_CYCLE_2) | instskip(NEXT) | instid1(SALU_CYCLE_3)
	s_mul_f32 s4, s3, 0x2f800000
	s_trunc_f32 s4, s4
	s_wait_kmcnt 0x0
	v_mov_b32_e32 v0, s29
	global_load_b32 v1, v2, s[8:9] scale_offset
	v_ashrrev_i32_e32 v3, 31, v2
	s_fmamk_f32 s0, s4, 0xcf800000, s3
	s_cvt_u32_f32 s31, s4
	s_wait_xcnt 0x0
	s_delay_alu instid0(VALU_DEP_1)
	v_lshl_add_u64 v[2:3], v[2:3], 2, s[8:9]
	s_cvt_u32_f32 s30, s0
	s_mov_b64 s[8:9], 0xffffffff
.LBB16_9:                               ; =>This Inner Loop Header: Depth=1
	s_ashr_i32 s37, s36, 31
                                        ; implicit-def: $sgpr40_sgpr41
	s_delay_alu instid0(SALU_CYCLE_1) | instskip(NEXT) | instid1(SALU_CYCLE_1)
	s_mul_u64 s[0:1], s[36:37], s[18:19]
	s_and_b64 s[2:3], s[0:1], 0xffffffff00000000
	s_delay_alu instid0(SALU_CYCLE_1)
	s_cmp_lg_u64 s[2:3], 0
	s_mov_b32 s2, -1
	s_cbranch_scc0 .LBB16_11
; %bb.10:                               ;   in Loop: Header=BB16_9 Depth=1
	s_mul_u64 s[2:3], s[34:35], s[30:31]
	s_delay_alu instid0(SALU_CYCLE_1)
	s_mul_hi_u32 s5, s30, s3
	s_mul_i32 s4, s30, s3
	s_mul_hi_u32 s24, s30, s2
	s_mul_hi_u32 s17, s31, s2
	s_add_nc_u64 s[4:5], s[24:25], s[4:5]
	s_mul_i32 s2, s31, s2
	s_mul_hi_u32 s21, s31, s3
	s_add_co_u32 s2, s4, s2
	s_add_co_ci_u32 s24, s5, s17
	s_add_co_ci_u32 s5, s21, 0
	s_mul_i32 s4, s31, s3
	s_delay_alu instid0(SALU_CYCLE_1) | instskip(NEXT) | instid1(SALU_CYCLE_1)
	s_add_nc_u64 s[2:3], s[24:25], s[4:5]
	s_add_co_u32 s2, s30, s2
	s_cselect_b32 s4, -1, 0
	s_delay_alu instid0(SALU_CYCLE_1) | instskip(SKIP_1) | instid1(SALU_CYCLE_1)
	s_cmp_lg_u32 s4, 0
	s_add_co_ci_u32 s3, s31, s3
	s_mul_u64 s[4:5], s[34:35], s[2:3]
	s_delay_alu instid0(SALU_CYCLE_1)
	s_mul_hi_u32 s39, s2, s5
	s_mul_i32 s38, s2, s5
	s_mul_hi_u32 s24, s2, s4
	s_mul_hi_u32 s17, s3, s4
	s_mul_i32 s4, s3, s4
	s_add_nc_u64 s[38:39], s[24:25], s[38:39]
	s_mul_hi_u32 s21, s3, s5
	s_add_co_u32 s4, s38, s4
	s_add_co_ci_u32 s24, s39, s17
	s_mul_i32 s4, s3, s5
	s_add_co_ci_u32 s5, s21, 0
	s_delay_alu instid0(SALU_CYCLE_1) | instskip(NEXT) | instid1(SALU_CYCLE_1)
	s_add_nc_u64 s[4:5], s[24:25], s[4:5]
	s_add_co_u32 s17, s2, s4
	s_cselect_b32 s2, -1, 0
	s_delay_alu instid0(SALU_CYCLE_1) | instskip(SKIP_2) | instid1(SALU_CYCLE_1)
	s_cmp_lg_u32 s2, 0
	s_add_co_ci_u32 s21, s3, s5
	s_ashr_i32 s2, s1, 31
	s_mov_b32 s3, s2
	s_delay_alu instid0(SALU_CYCLE_1) | instskip(NEXT) | instid1(SALU_CYCLE_1)
	s_add_nc_u64 s[4:5], s[0:1], s[2:3]
	s_xor_b64 s[4:5], s[4:5], s[2:3]
	s_delay_alu instid0(SALU_CYCLE_1)
	s_mul_hi_u32 s39, s4, s21
	s_mul_i32 s38, s4, s21
	s_mul_hi_u32 s24, s4, s17
	s_mul_hi_u32 s29, s5, s17
	s_mul_i32 s17, s5, s17
	s_add_nc_u64 s[38:39], s[24:25], s[38:39]
	s_mul_hi_u32 s1, s5, s21
	s_add_co_u32 s17, s38, s17
	s_add_co_ci_u32 s24, s39, s29
	s_mul_i32 s40, s5, s21
	s_add_co_ci_u32 s41, s1, 0
	s_delay_alu instid0(SALU_CYCLE_1) | instskip(NEXT) | instid1(SALU_CYCLE_1)
	s_add_nc_u64 s[38:39], s[24:25], s[40:41]
	s_and_b64 s[40:41], s[38:39], 0xffffffff00000000
	s_delay_alu instid0(SALU_CYCLE_1) | instskip(NEXT) | instid1(SALU_CYCLE_1)
	s_or_b32 s40, s40, s38
	s_mul_u64 s[38:39], s[6:7], s[40:41]
	s_add_nc_u64 s[42:43], s[40:41], 1
	s_sub_co_u32 s1, s4, s38
	s_cselect_b32 s4, -1, 0
	s_sub_co_i32 s17, s5, s39
	s_cmp_lg_u32 s4, 0
	s_add_nc_u64 s[44:45], s[40:41], 2
	s_sub_co_ci_u32 s17, s17, s7
	s_sub_co_u32 s21, s1, s6
	s_cselect_b32 s24, -1, 0
	s_delay_alu instid0(SALU_CYCLE_1) | instskip(SKIP_1) | instid1(SALU_CYCLE_1)
	s_cmp_lg_u32 s24, 0
	s_sub_co_ci_u32 s17, s17, 0
	s_cmp_ge_u32 s17, s7
	s_cselect_b32 s24, -1, 0
	s_cmp_ge_u32 s21, s6
	s_cselect_b32 s21, -1, 0
	s_cmp_eq_u32 s17, s7
	s_cselect_b32 s17, s21, s24
	s_delay_alu instid0(SALU_CYCLE_1) | instskip(SKIP_4) | instid1(SALU_CYCLE_1)
	s_cmp_lg_u32 s17, 0
	s_cselect_b32 s17, s44, s42
	s_cselect_b32 s21, s45, s43
	s_cmp_lg_u32 s4, 0
	s_sub_co_ci_u32 s4, s5, s39
	s_cmp_ge_u32 s4, s7
	s_cselect_b32 s5, -1, 0
	s_cmp_ge_u32 s1, s6
	s_cselect_b32 s1, -1, 0
	s_cmp_eq_u32 s4, s7
	s_cselect_b32 s1, s1, s5
	s_delay_alu instid0(SALU_CYCLE_1) | instskip(SKIP_3) | instid1(SALU_CYCLE_1)
	s_cmp_lg_u32 s1, 0
	s_cselect_b32 s5, s21, s41
	s_cselect_b32 s4, s17, s40
	s_xor_b64 s[2:3], s[2:3], 0
	s_xor_b64 s[4:5], s[4:5], s[2:3]
	s_delay_alu instid0(SALU_CYCLE_1)
	s_sub_nc_u64 s[40:41], s[4:5], s[2:3]
	s_mov_b32 s2, 0
.LBB16_11:                              ;   in Loop: Header=BB16_9 Depth=1
	s_delay_alu instid0(SALU_CYCLE_1)
	s_and_not1_b32 vcc_lo, exec_lo, s2
	s_cbranch_vccnz .LBB16_13
; %bb.12:                               ;   in Loop: Header=BB16_9 Depth=1
	v_readfirstlane_b32 s1, v7
	s_sub_co_i32 s2, 0, s16
	s_delay_alu instid0(SALU_CYCLE_1) | instskip(NEXT) | instid1(SALU_CYCLE_1)
	s_mul_i32 s2, s2, s1
	s_mul_hi_u32 s2, s1, s2
	s_delay_alu instid0(SALU_CYCLE_1) | instskip(NEXT) | instid1(SALU_CYCLE_1)
	s_add_co_i32 s1, s1, s2
	s_mul_hi_u32 s1, s0, s1
	s_delay_alu instid0(SALU_CYCLE_1) | instskip(NEXT) | instid1(SALU_CYCLE_1)
	s_mul_i32 s2, s1, s16
	s_sub_co_i32 s0, s0, s2
	s_add_co_i32 s2, s1, 1
	s_sub_co_i32 s3, s0, s16
	s_cmp_ge_u32 s0, s16
	s_cselect_b32 s1, s2, s1
	s_cselect_b32 s0, s3, s0
	s_add_co_i32 s2, s1, 1
	s_cmp_ge_u32 s0, s16
	s_cselect_b32 s24, s2, s1
	s_delay_alu instid0(SALU_CYCLE_1)
	s_mov_b64 s[40:41], s[24:25]
.LBB16_13:                              ;   in Loop: Header=BB16_9 Depth=1
	s_delay_alu instid0(SALU_CYCLE_1)
	s_cmp_lg_u32 s20, s40
	s_mov_b32 s0, -1
                                        ; implicit-def: $vgpr4_vgpr5
                                        ; implicit-def: $sgpr24
                                        ; implicit-def: $sgpr17
                                        ; implicit-def: $sgpr21
                                        ; implicit-def: $sgpr29
	s_cbranch_scc0 .LBB16_18
; %bb.14:                               ;   in Loop: Header=BB16_9 Depth=1
	s_add_co_i32 s0, s36, s16
	v_max_num_f32_e64 v4, s28, s28
	s_lshl_b32 s0, s0, 4
	s_mov_b32 s29, s20
	s_add_co_i32 s0, s0, s15
	s_load_b64 s[38:39], s[10:11], s0 offset:0x0 scale_offset
	s_wait_xcnt 0x0
	v_readfirstlane_b32 s0, v4
	s_wait_kmcnt 0x0
	v_max_num_f32_e64 v5, s38, s38
	s_delay_alu instid0(VALU_DEP_1) | instskip(SKIP_1) | instid1(SALU_CYCLE_3)
	v_readfirstlane_b32 s1, v5
	s_max_num_f32 s17, s0, s1
	s_sub_f32 s33, s28, s17
	s_sub_f32 s37, s38, s17
	s_delay_alu instid0(SALU_CYCLE_2)
	s_cmp_nlt_f32 s33, 0xc2ce8ed0
	s_cselect_b32 s1, -1, 0
	s_cmp_ngt_f32 s33, 0x42b17218
	s_cselect_b32 s2, -1, 0
	s_cmp_ge_f32 s33, 0xc1a00000
	s_cselect_b32 s0, -1, 0
	s_cmp_nlt_f32 s37, 0xc2ce8ed0
	s_cselect_b32 s3, -1, 0
	s_cmp_ngt_f32 s37, 0x42b17218
	s_cselect_b32 s4, -1, 0
	s_cmp_ge_f32 s37, 0xc1a00000
	s_cselect_b32 s5, -1, 0
	s_and_b64 s[42:43], s[40:41], s[8:9]
	s_delay_alu instid0(SALU_CYCLE_1) | instskip(NEXT) | instid1(SALU_CYCLE_1)
	s_mul_u64 s[42:43], s[42:43], s[22:23]
	s_add_co_i32 s21, s43, s40
	s_delay_alu instid0(SALU_CYCLE_1) | instskip(NEXT) | instid1(SALU_CYCLE_1)
	s_lshr_b32 s21, s21, s13
	s_mul_i32 s24, s21, s14
	s_delay_alu instid0(SALU_CYCLE_1) | instskip(SKIP_3) | instid1(SALU_CYCLE_1)
	s_cmp_eq_u32 s24, s40
	s_cselect_b32 s24, -1, 0
	s_cmp_lt_u32 s21, s12
	s_cselect_b32 s21, -1, 0
	s_or_b32 s21, s21, s24
	s_mov_b32 s24, -1
	s_and_b32 vcc_lo, exec_lo, s21
	s_mov_b32 s21, s36
	s_cbranch_vccnz .LBB16_16
; %bb.15:                               ;   in Loop: Header=BB16_9 Depth=1
	s_add_co_i32 s21, s36, -1
	s_mov_b32 s24, 0
	s_mov_b32 s29, s40
.LBB16_16:                              ;   in Loop: Header=BB16_9 Depth=1
	v_lshl_add_u32 v4, s36, 13, v6
	s_mul_f32 s40, s33, 0x3fb8aa3b
	s_mul_f32 s38, s37, 0x3fb8aa3b
	s_delay_alu instid0(SALU_CYCLE_2)
	s_xor_b32 s42, s40, 0x80000000
	global_load_b32 v5, v4, s[26:27] scale_offset
	s_fmamk_f32 s42, s33, 0x3fb8aa3b, s42
	s_rndne_f32 s44, s40
	s_xor_b32 s41, s38, 0x80000000
	s_rndne_f32 s43, s38
	s_fmamk_f32 s33, s33, 0x32a5705f, s42
	s_sub_f32 s40, s40, s44
	s_fmamk_f32 s41, s37, 0x3fb8aa3b, s41
	s_sub_f32 s38, s38, s43
	s_delay_alu instid0(SALU_CYCLE_1) | instskip(NEXT) | instid1(SALU_CYCLE_1)
	s_add_f32 s33, s40, s33
	s_fmamk_f32 s37, s37, 0x32a5705f, s41
	s_cvt_i32_f32 s40, s44
	s_delay_alu instid0(SALU_CYCLE_1) | instskip(NEXT) | instid1(SALU_CYCLE_1)
	v_s_exp_f32 s33, s33
	s_add_f32 s37, s38, s37
	s_cvt_i32_f32 s38, s43
	s_delay_alu instid0(SALU_CYCLE_2) | instskip(NEXT) | instid1(TRANS32_DEP_2)
	v_s_exp_f32 s37, s37
	v_ldexp_f32 v8, s33, s40
	s_wait_xcnt 0x0
	s_delay_alu instid0(TRANS32_DEP_1) | instskip(NEXT) | instid1(VALU_DEP_2)
	v_ldexp_f32 v4, s37, s38
	v_cndmask_b32_e64 v8, 0, v8, s1
	s_delay_alu instid0(VALU_DEP_1) | instskip(NEXT) | instid1(VALU_DEP_1)
	v_cndmask_b32_e64 v9, 0x7f800000, v8, s2
	v_dual_cndmask_b32 v4, 0, v4, s3 :: v_dual_cndmask_b32 v10, 0, v9, s0
	s_delay_alu instid0(VALU_DEP_1) | instskip(NEXT) | instid1(VALU_DEP_1)
	v_cndmask_b32_e64 v4, 0x7f800000, v4, s4
	v_dual_cndmask_b32 v8, 0, v4, s5 :: v_dual_mov_b32 v4, s39
	s_wait_loadcnt 0x0
	s_delay_alu instid0(VALU_DEP_1) | instskip(NEXT) | instid1(VALU_DEP_1)
	v_pk_mul_f32 v[4:5], v[4:5], v[8:9] op_sel_hi:[1,0]
	v_pk_fma_f32 v[4:5], v[0:1], v[10:11], v[4:5] op_sel_hi:[1,0,1]
	s_cbranch_execz .LBB16_19
.LBB16_17:                              ;   in Loop: Header=BB16_9 Depth=1
	s_and_not1_b32 vcc_lo, exec_lo, s24
	s_cbranch_vccnz .LBB16_20
	s_branch .LBB16_23
.LBB16_18:                              ;   in Loop: Header=BB16_9 Depth=1
	s_and_not1_b32 vcc_lo, exec_lo, s0
	s_cbranch_vccnz .LBB16_17
.LBB16_19:                              ;   in Loop: Header=BB16_9 Depth=1
	s_wait_loadcnt 0x0
	v_mov_b64_e32 v[4:5], v[0:1]
	s_add_co_i32 s21, s36, -1
	s_mov_b32 s29, s20
	s_mov_b32 s17, s28
	s_cbranch_execz .LBB16_23
.LBB16_20:                              ;   in Loop: Header=BB16_9 Depth=1
	s_wait_loadcnt 0x0
	s_delay_alu instid0(VALU_DEP_1)
	v_mov_b64_e32 v[0:1], v[4:5]
	s_mov_b32 s20, s29
	s_mov_b32 s36, s21
	;; [unrolled: 1-line block ×3, first 2 shown]
	s_branch .LBB16_9
.LBB16_21:
                                        ; implicit-def: $sgpr20_sgpr21
	s_branch .LBB16_2
.LBB16_22:
                                        ; implicit-def: $sgpr24_sgpr25
	s_load_b96 s[12:14], s[0:1], 0x44
	s_branch .LBB16_5
.LBB16_23:
	s_delay_alu instid0(VALU_DEP_1) | instskip(SKIP_1) | instid1(VALU_DEP_1)
	v_div_scale_f32 v0, null, v4, v4, v5
	s_wait_loadcnt 0x0
	v_rcp_f32_e32 v1, v0
	v_nop
	s_delay_alu instid0(TRANS32_DEP_1) | instskip(NEXT) | instid1(VALU_DEP_1)
	v_fma_f32 v6, -v0, v1, 1.0
	v_fmac_f32_e32 v1, v6, v1
	v_div_scale_f32 v6, vcc_lo, v5, v4, v5
	s_delay_alu instid0(VALU_DEP_1) | instskip(NEXT) | instid1(VALU_DEP_1)
	v_mul_f32_e32 v7, v6, v1
	v_fma_f32 v8, -v0, v7, v6
	s_delay_alu instid0(VALU_DEP_1) | instskip(NEXT) | instid1(VALU_DEP_1)
	v_fmac_f32_e32 v7, v8, v1
	v_fma_f32 v0, -v0, v7, v6
	s_delay_alu instid0(VALU_DEP_1) | instskip(NEXT) | instid1(VALU_DEP_1)
	v_div_fmas_f32 v0, v0, v1, v7
	v_div_fixup_f32 v0, v0, v4, v5
	global_store_b32 v[2:3], v0, off
.LBB16_24:
	s_endpgm
	.section	.rodata,"a",@progbits
	.p2align	6, 0x0
	.amdhsa_kernel _ZL33flash_attn_stream_k_fixup_generalILi512ELi4ELi4EEvPfPK15HIP_vector_typeIfLj2EEiiiiS1_IjLj3EES5_S5_S5_
		.amdhsa_group_segment_fixed_size 0
		.amdhsa_private_segment_fixed_size 0
		.amdhsa_kernarg_size 336
		.amdhsa_user_sgpr_count 2
		.amdhsa_user_sgpr_dispatch_ptr 0
		.amdhsa_user_sgpr_queue_ptr 0
		.amdhsa_user_sgpr_kernarg_segment_ptr 1
		.amdhsa_user_sgpr_dispatch_id 0
		.amdhsa_user_sgpr_kernarg_preload_length 0
		.amdhsa_user_sgpr_kernarg_preload_offset 0
		.amdhsa_user_sgpr_private_segment_size 0
		.amdhsa_wavefront_size32 1
		.amdhsa_uses_dynamic_stack 0
		.amdhsa_enable_private_segment 0
		.amdhsa_system_sgpr_workgroup_id_x 1
		.amdhsa_system_sgpr_workgroup_id_y 1
		.amdhsa_system_sgpr_workgroup_id_z 1
		.amdhsa_system_sgpr_workgroup_info 0
		.amdhsa_system_vgpr_workitem_id 0
		.amdhsa_next_free_vgpr 12
		.amdhsa_next_free_sgpr 46
		.amdhsa_named_barrier_count 0
		.amdhsa_reserve_vcc 1
		.amdhsa_float_round_mode_32 0
		.amdhsa_float_round_mode_16_64 0
		.amdhsa_float_denorm_mode_32 3
		.amdhsa_float_denorm_mode_16_64 3
		.amdhsa_fp16_overflow 0
		.amdhsa_memory_ordered 1
		.amdhsa_forward_progress 1
		.amdhsa_inst_pref_size 27
		.amdhsa_round_robin_scheduling 0
		.amdhsa_exception_fp_ieee_invalid_op 0
		.amdhsa_exception_fp_denorm_src 0
		.amdhsa_exception_fp_ieee_div_zero 0
		.amdhsa_exception_fp_ieee_overflow 0
		.amdhsa_exception_fp_ieee_underflow 0
		.amdhsa_exception_fp_ieee_inexact 0
		.amdhsa_exception_int_div_zero 0
	.end_amdhsa_kernel
	.section	.text._ZL33flash_attn_stream_k_fixup_generalILi512ELi4ELi4EEvPfPK15HIP_vector_typeIfLj2EEiiiiS1_IjLj3EES5_S5_S5_,"axG",@progbits,_ZL33flash_attn_stream_k_fixup_generalILi512ELi4ELi4EEvPfPK15HIP_vector_typeIfLj2EEiiiiS1_IjLj3EES5_S5_S5_,comdat
.Lfunc_end16:
	.size	_ZL33flash_attn_stream_k_fixup_generalILi512ELi4ELi4EEvPfPK15HIP_vector_typeIfLj2EEiiiiS1_IjLj3EES5_S5_S5_, .Lfunc_end16-_ZL33flash_attn_stream_k_fixup_generalILi512ELi4ELi4EEvPfPK15HIP_vector_typeIfLj2EEiiiiS1_IjLj3EES5_S5_S5_
                                        ; -- End function
	.set _ZL33flash_attn_stream_k_fixup_generalILi512ELi4ELi4EEvPfPK15HIP_vector_typeIfLj2EEiiiiS1_IjLj3EES5_S5_S5_.num_vgpr, 12
	.set _ZL33flash_attn_stream_k_fixup_generalILi512ELi4ELi4EEvPfPK15HIP_vector_typeIfLj2EEiiiiS1_IjLj3EES5_S5_S5_.num_agpr, 0
	.set _ZL33flash_attn_stream_k_fixup_generalILi512ELi4ELi4EEvPfPK15HIP_vector_typeIfLj2EEiiiiS1_IjLj3EES5_S5_S5_.numbered_sgpr, 46
	.set _ZL33flash_attn_stream_k_fixup_generalILi512ELi4ELi4EEvPfPK15HIP_vector_typeIfLj2EEiiiiS1_IjLj3EES5_S5_S5_.num_named_barrier, 0
	.set _ZL33flash_attn_stream_k_fixup_generalILi512ELi4ELi4EEvPfPK15HIP_vector_typeIfLj2EEiiiiS1_IjLj3EES5_S5_S5_.private_seg_size, 0
	.set _ZL33flash_attn_stream_k_fixup_generalILi512ELi4ELi4EEvPfPK15HIP_vector_typeIfLj2EEiiiiS1_IjLj3EES5_S5_S5_.uses_vcc, 1
	.set _ZL33flash_attn_stream_k_fixup_generalILi512ELi4ELi4EEvPfPK15HIP_vector_typeIfLj2EEiiiiS1_IjLj3EES5_S5_S5_.uses_flat_scratch, 0
	.set _ZL33flash_attn_stream_k_fixup_generalILi512ELi4ELi4EEvPfPK15HIP_vector_typeIfLj2EEiiiiS1_IjLj3EES5_S5_S5_.has_dyn_sized_stack, 0
	.set _ZL33flash_attn_stream_k_fixup_generalILi512ELi4ELi4EEvPfPK15HIP_vector_typeIfLj2EEiiiiS1_IjLj3EES5_S5_S5_.has_recursion, 0
	.set _ZL33flash_attn_stream_k_fixup_generalILi512ELi4ELi4EEvPfPK15HIP_vector_typeIfLj2EEiiiiS1_IjLj3EES5_S5_S5_.has_indirect_call, 0
	.section	.AMDGPU.csdata,"",@progbits
; Kernel info:
; codeLenInByte = 3360
; TotalNumSgprs: 48
; NumVgprs: 12
; ScratchSize: 0
; MemoryBound: 0
; FloatMode: 240
; IeeeMode: 1
; LDSByteSize: 0 bytes/workgroup (compile time only)
; SGPRBlocks: 0
; VGPRBlocks: 0
; NumSGPRsForWavesPerEU: 48
; NumVGPRsForWavesPerEU: 12
; NamedBarCnt: 0
; Occupancy: 16
; WaveLimiterHint : 0
; COMPUTE_PGM_RSRC2:SCRATCH_EN: 0
; COMPUTE_PGM_RSRC2:USER_SGPR: 2
; COMPUTE_PGM_RSRC2:TRAP_HANDLER: 0
; COMPUTE_PGM_RSRC2:TGID_X_EN: 1
; COMPUTE_PGM_RSRC2:TGID_Y_EN: 1
; COMPUTE_PGM_RSRC2:TGID_Z_EN: 1
; COMPUTE_PGM_RSRC2:TIDIG_COMP_CNT: 0
	.section	.text._ZL15flash_attn_tileILi576ELi512ELi2ELi4ELb0EEvPKcS1_S1_S1_S1_PKiPfP15HIP_vector_typeIfLj2EEffffjfiS5_IjLj3EEiiiiiiiiiiiliiliiiiil,"axG",@progbits,_ZL15flash_attn_tileILi576ELi512ELi2ELi4ELb0EEvPKcS1_S1_S1_S1_PKiPfP15HIP_vector_typeIfLj2EEffffjfiS5_IjLj3EEiiiiiiiiiiiliiliiiiil,comdat
	.globl	_ZL15flash_attn_tileILi576ELi512ELi2ELi4ELb0EEvPKcS1_S1_S1_S1_PKiPfP15HIP_vector_typeIfLj2EEffffjfiS5_IjLj3EEiiiiiiiiiiiliiliiiiil ; -- Begin function _ZL15flash_attn_tileILi576ELi512ELi2ELi4ELb0EEvPKcS1_S1_S1_S1_PKiPfP15HIP_vector_typeIfLj2EEffffjfiS5_IjLj3EEiiiiiiiiiiiliiliiiiil
	.p2align	8
	.type	_ZL15flash_attn_tileILi576ELi512ELi2ELi4ELb0EEvPKcS1_S1_S1_S1_PKiPfP15HIP_vector_typeIfLj2EEffffjfiS5_IjLj3EEiiiiiiiiiiiliiliiiiil,@function
_ZL15flash_attn_tileILi576ELi512ELi2ELi4ELb0EEvPKcS1_S1_S1_S1_PKiPfP15HIP_vector_typeIfLj2EEffffjfiS5_IjLj3EEiiiiiiiiiiiliiliiiiil: ; @_ZL15flash_attn_tileILi576ELi512ELi2ELi4ELb0EEvPKcS1_S1_S1_S1_PKiPfP15HIP_vector_typeIfLj2EEffffjfiS5_IjLj3EEiiiiiiiiiiiliiliiiiil
; %bb.0:
	s_clause 0x1
	s_load_b128 s[20:23], s[0:1], 0x5c
	s_load_b64 s[30:31], s[0:1], 0x80
	s_bfe_u32 s5, ttmp6, 0x40014
	s_lshr_b32 s4, ttmp7, 16
	s_add_co_i32 s5, s5, 1
	s_bfe_u32 s6, ttmp6, 0x40008
	s_mul_i32 s5, s4, s5
	s_getreg_b32 s24, hwreg(HW_REG_IB_STS2, 6, 4)
	s_add_co_i32 s6, s6, s5
	s_load_b64 s[36:37], s[0:1], 0xb8
	s_mov_b64 s[34:35], 0
	s_wait_kmcnt 0x0
	s_ashr_i32 s2, s23, 31
	s_delay_alu instid0(SALU_CYCLE_1) | instskip(NEXT) | instid1(SALU_CYCLE_1)
	s_lshr_b32 s2, s2, 30
	s_add_co_i32 s2, s23, s2
	s_delay_alu instid0(SALU_CYCLE_1) | instskip(NEXT) | instid1(SALU_CYCLE_1)
	s_ashr_i32 s2, s2, 2
	s_cvt_f32_u32 s3, s2
	s_sub_co_i32 s7, 0, s2
	s_delay_alu instid0(SALU_CYCLE_2) | instskip(SKIP_1) | instid1(TRANS32_DEP_1)
	v_rcp_iflag_f32_e32 v1, s3
	v_nop
	v_readfirstlane_b32 s3, v1
	s_mul_f32 s3, s3, 0x4f7ffffe
	s_delay_alu instid0(SALU_CYCLE_3) | instskip(NEXT) | instid1(SALU_CYCLE_3)
	s_cvt_u32_f32 s3, s3
	s_mul_i32 s7, s7, s3
	s_delay_alu instid0(SALU_CYCLE_1) | instskip(NEXT) | instid1(SALU_CYCLE_1)
	s_mul_hi_u32 s7, s3, s7
	s_add_co_i32 s3, s3, s7
	s_cmp_eq_u32 s24, 0
	s_cselect_b32 s4, s4, s6
	s_delay_alu instid0(SALU_CYCLE_1) | instskip(NEXT) | instid1(SALU_CYCLE_1)
	s_mul_hi_u32 s3, s4, s3
	s_mul_i32 s5, s3, s2
	s_add_co_i32 s6, s3, 1
	s_sub_co_i32 s5, s4, s5
	s_delay_alu instid0(SALU_CYCLE_1)
	s_sub_co_i32 s7, s5, s2
	s_cmp_ge_u32 s5, s2
	s_cselect_b32 s3, s6, s3
	s_cselect_b32 s5, s7, s5
	s_add_co_i32 s6, s3, 1
	s_cmp_ge_u32 s5, s2
	s_cselect_b32 s28, s6, s3
	s_abs_i32 s2, s31
	s_abs_i32 s7, s23
	s_cvt_f32_u32 s3, s2
	s_sub_co_i32 s5, 0, s2
	s_lshl_b32 s4, s4, 2
	s_mul_i32 s6, s28, s23
	v_rcp_iflag_f32_e32 v1, s3
	s_sub_co_i32 s33, s4, s6
	s_xor_b32 s4, s23, s31
	s_delay_alu instid0(SALU_CYCLE_1) | instskip(SKIP_1) | instid1(TRANS32_DEP_1)
	s_ashr_i32 s25, s4, 31
	v_nop
	v_readfirstlane_b32 s3, v1
	s_mul_f32 s3, s3, 0x4f7ffffe
	s_delay_alu instid0(SALU_CYCLE_3) | instskip(NEXT) | instid1(SALU_CYCLE_3)
	s_cvt_u32_f32 s3, s3
	s_mul_i32 s5, s5, s3
	s_delay_alu instid0(SALU_CYCLE_1) | instskip(NEXT) | instid1(SALU_CYCLE_1)
	s_mul_hi_u32 s5, s3, s5
	s_add_co_i32 s3, s3, s5
	s_delay_alu instid0(SALU_CYCLE_1) | instskip(NEXT) | instid1(SALU_CYCLE_1)
	s_mul_hi_u32 s3, s7, s3
	s_mul_i32 s5, s3, s2
	s_delay_alu instid0(SALU_CYCLE_1)
	s_sub_co_i32 s4, s7, s5
	s_add_co_i32 s5, s3, 1
	s_sub_co_i32 s6, s4, s2
	s_cmp_ge_u32 s4, s2
	s_cselect_b32 s3, s5, s3
	s_cselect_b32 s4, s6, s4
	s_add_co_i32 s5, s3, 1
	s_cmp_ge_u32 s4, s2
	s_cselect_b32 s2, s5, s3
	s_load_b512 s[4:19], s[0:1], 0x0
	s_xor_b32 s2, s2, s25
	s_mov_b32 s3, 0
	s_sub_co_i32 s29, s2, s25
	s_delay_alu instid0(SALU_CYCLE_1) | instskip(NEXT) | instid1(SALU_CYCLE_1)
	s_abs_i32 s38, s29
	s_cvt_f32_u32 s2, s38
	s_delay_alu instid0(SALU_CYCLE_3) | instskip(SKIP_1) | instid1(TRANS32_DEP_1)
	v_rcp_iflag_f32_e32 v1, s2
	v_nop
	v_readfirstlane_b32 s39, v1
	s_wait_kmcnt 0x0
	s_cmp_eq_u64 s[10:11], 0
	s_cbranch_scc1 .LBB17_2
; %bb.1:
	s_abs_i32 s2, s36
	s_abs_i32 s31, s28
	s_cvt_f32_u32 s25, s2
	s_sub_co_i32 s26, 0, s2
	s_delay_alu instid0(SALU_CYCLE_2) | instskip(SKIP_1) | instid1(TRANS32_DEP_1)
	v_rcp_iflag_f32_e32 v1, s25
	v_nop
	v_readfirstlane_b32 s25, v1
	s_mul_f32 s25, s25, 0x4f7ffffe
	s_delay_alu instid0(SALU_CYCLE_3) | instskip(NEXT) | instid1(SALU_CYCLE_3)
	s_cvt_u32_f32 s25, s25
	s_mul_i32 s26, s26, s25
	s_delay_alu instid0(SALU_CYCLE_1) | instskip(NEXT) | instid1(SALU_CYCLE_1)
	s_mul_hi_u32 s26, s25, s26
	s_add_co_i32 s25, s25, s26
	s_load_b64 s[26:27], s[0:1], 0xc8
	s_mul_hi_u32 s25, s31, s25
	s_delay_alu instid0(SALU_CYCLE_1) | instskip(NEXT) | instid1(SALU_CYCLE_1)
	s_mul_i32 s25, s25, s2
	s_sub_co_i32 s25, s31, s25
	s_ashr_i32 s31, s28, 31
	s_sub_co_i32 s34, s25, s2
	s_cmp_ge_u32 s25, s2
	s_cselect_b32 s25, s34, s25
	s_delay_alu instid0(SALU_CYCLE_1) | instskip(SKIP_2) | instid1(SALU_CYCLE_1)
	s_sub_co_i32 s34, s25, s2
	s_cmp_ge_u32 s25, s2
	s_cselect_b32 s2, s34, s25
	s_xor_b32 s2, s2, s31
	s_delay_alu instid0(SALU_CYCLE_1) | instskip(NEXT) | instid1(SALU_CYCLE_1)
	s_sub_co_i32 s34, s2, s31
	s_ashr_i32 s35, s34, 31
	s_wait_kmcnt 0x0
	s_mul_u64 s[26:27], s[26:27], s[34:35]
	s_delay_alu instid0(SALU_CYCLE_1)
	s_add_nc_u64 s[34:35], s[10:11], s[26:27]
.LBB17_2:
	s_bfe_u32 s2, ttmp6, 0x4000c
	v_dual_lshrrev_b32 v1, 10, v0 :: v_dual_mov_b32 v3, 0
	s_add_co_i32 s2, s2, 1
	s_and_b32 s10, ttmp6, 15
	s_mul_i32 s2, ttmp9, s2
	s_delay_alu instid0(VALU_DEP_1)
	v_bfe_u32 v1, v1, 2, 8
	s_add_co_i32 s10, s10, s2
	s_cmp_eq_u32 s24, 0
	s_clause 0x1
	s_load_b96 s[40:42], s[0:1], 0x70
	s_load_b32 s2, s[0:1], 0x40
	s_cselect_b32 s10, ttmp9, s10
	v_bfe_u32 v2, v0, 10, 2
	v_lshl_add_u32 v24, s10, 1, v1
	v_and_b32_e32 v25, 0x3ff, v0
	v_dual_mov_b32 v9, v3 :: v_dual_mov_b32 v11, v3
	s_delay_alu instid0(VALU_DEP_3) | instskip(NEXT) | instid1(VALU_DEP_3)
	v_mul_hi_u32 v1, s20, v24
	v_lshlrev_b32_e32 v10, 4, v25
	s_delay_alu instid0(VALU_DEP_2) | instskip(SKIP_3) | instid1(SALU_CYCLE_1)
	v_add_nc_u32_e32 v1, v24, v1
	s_wait_kmcnt 0x0
	s_mov_b32 s20, s41
	s_mul_i32 s26, s33, s41
	s_ashr_i32 s27, s26, 31
	v_lshrrev_b32_e32 v1, s21, v1
	s_ashr_i32 s21, s41, 31
	s_ashr_i32 s41, s40, 31
	s_lshr_b64 s[20:21], s[20:21], 2
	s_delay_alu instid0(VALU_DEP_1) | instskip(SKIP_2) | instid1(VALU_DEP_2)
	v_mul_lo_u32 v1, v1, s22
	v_mul_u64_e32 v[4:5], s[20:21], v[2:3]
	s_lshr_b64 s[20:21], s[40:41], 2
	v_sub_nc_u32_e32 v8, v24, v1
	s_delay_alu instid0(VALU_DEP_1) | instskip(SKIP_3) | instid1(SALU_CYCLE_1)
	v_mul_u64_e32 v[6:7], s[20:21], v[8:9]
	s_mul_i32 s20, s28, s42
	v_lshlrev_b32_e32 v9, 3, v25
	s_ashr_i32 s21, s20, 31
	s_add_nc_u64 s[4:5], s[4:5], s[20:21]
	s_delay_alu instid0(SALU_CYCLE_1)
	s_add_nc_u64 s[4:5], s[4:5], s[26:27]
	s_delay_alu instid0(VALU_DEP_4) | instid1(SALU_CYCLE_1)
	v_lshl_add_u64 v[4:5], v[4:5], 2, s[4:5]
	s_mov_b32 s4, exec_lo
	s_delay_alu instid0(VALU_DEP_1) | instskip(NEXT) | instid1(VALU_DEP_1)
	v_lshl_add_u64 v[4:5], v[6:7], 2, v[4:5]
	v_add_nc_u64_e32 v[4:5], v[4:5], v[10:11]
	v_bfe_u32 v10, v0, 10, 10
	s_clause 0x3
	global_load_b128 v[12:15], v[4:5], off
	global_load_b128 v[16:19], v[4:5], off offset:512
	global_load_b128 v[20:23], v[4:5], off offset:1024
	;; [unrolled: 1-line block ×3, first 2 shown]
	v_mul_u32_u24_e32 v26, 0x480, v10
	v_mad_u32_u24 v3, 0x480, v10, v9
	s_wait_loadcnt 0x3
	v_fma_mixlo_f16 v0, s2, v12, 0
	v_fma_mixlo_f16 v1, s2, v13, 0
	v_fma_mixlo_f16 v6, s2, v14, 0
	v_fma_mixlo_f16 v7, s2, v15, 0
	s_wait_loadcnt 0x2
	v_fma_mixlo_f16 v11, s2, v16, 0
	v_fma_mixlo_f16 v12, s2, v17, 0
	;; [unrolled: 1-line block ×4, first 2 shown]
	s_wait_loadcnt 0x1
	v_fma_mixlo_f16 v15, s2, v20, 0
	v_fma_mixlo_f16 v16, s2, v21, 0
	;; [unrolled: 1-line block ×3, first 2 shown]
	s_wait_loadcnt 0x0
	v_fma_mixlo_f16 v19, s2, v28, 0
	v_fma_mixlo_f16 v20, s2, v29, 0
	v_fma_mixlo_f16 v17, s2, v22, 0
	v_fma_mixlo_f16 v22, s2, v31, 0
	v_lshlrev_b32_e32 v1, 16, v1
	v_and_b32_e32 v0, 0xffff, v0
	v_dual_lshlrev_b32 v7, 16, v7 :: v_dual_lshlrev_b32 v12, 16, v12
	v_and_b32_e32 v6, 0xffff, v6
	v_and_b32_e32 v11, 0xffff, v11
	v_fma_mixlo_f16 v21, s2, v30, 0
	v_dual_lshlrev_b32 v14, 16, v14 :: v_dual_lshlrev_b32 v16, 16, v16
	v_and_b32_e32 v13, 0xffff, v13
	v_and_b32_e32 v15, 0xffff, v15
	v_dual_lshlrev_b32 v18, 16, v18 :: v_dual_lshlrev_b32 v20, 16, v20
	v_and_b32_e32 v19, 0xffff, v19
	v_dual_lshlrev_b32 v22, 16, v22 :: v_dual_bitop2_b32 v0, v1, v0 bitop3:0x54
	v_or3_b32 v1, v7, v6, 0
	v_or_b32_e32 v6, v12, v11
	v_and_b32_e32 v17, 0xffff, v17
	v_and_b32_e32 v21, 0xffff, v21
	v_or3_b32 v7, v14, v13, 0
	v_or_b32_e32 v11, v16, v15
	v_or_b32_e32 v14, v20, v19
	v_or3_b32 v0, 0, 0, v0
	v_or3_b32 v6, 0, 0, v6
	;; [unrolled: 1-line block ×6, first 2 shown]
	ds_store_2addr_b64 v3, v[0:1], v[6:7] offset1:32
	ds_store_2addr_b64 v3, v[12:13], v[14:15] offset0:64 offset1:96
	v_cmpx_gt_u32_e32 16, v25
	s_cbranch_execz .LBB17_4
; %bb.3:
	global_load_b128 v[4:7], v[4:5], off offset:2048
	s_wait_loadcnt 0x0
	v_fma_mixlo_f16 v3, s2, v4, 0
	v_mov_b32_e32 v4, v7
	s_delay_alu instid0(VALU_DEP_2) | instskip(NEXT) | instid1(VALU_DEP_2)
	v_and_b32_e32 v3, 0xffff, v3
	v_pk_mul_f32 v[0:1], s[2:3], v[4:5] op_sel_hi:[0,1]
	s_delay_alu instid0(VALU_DEP_1) | instskip(SKIP_1) | instid1(VALU_DEP_2)
	v_cvt_pk_f16_f32 v0, v0, v1
	v_fma_mixlo_f16 v1, s2, v6, 0
	v_and_b32_e32 v4, 0xffff0000, v0
	s_delay_alu instid0(VALU_DEP_2) | instskip(NEXT) | instid1(VALU_DEP_2)
	v_and_b32_e32 v1, 0xffff, v1
	v_dual_lshlrev_b32 v0, 16, v0 :: v_dual_bitop2_b32 v3, v4, v3 bitop3:0x54
	s_delay_alu instid0(VALU_DEP_1) | instskip(NEXT) | instid1(VALU_DEP_2)
	v_or3_b32 v1, v0, v1, 0
	v_or3_b32 v0, 0, 0, v3
	v_add_nc_u32_e32 v3, v26, v9
	ds_store_b64 v3, v[0:1] offset:1024
.LBB17_4:
	s_or_b32 exec_lo, exec_lo, s4
	s_cmp_eq_u64 s[14:15], 0
	s_wait_dscnt 0x0
	s_barrier_signal -1
	s_barrier_wait -1
	s_cbranch_scc1 .LBB17_6
; %bb.5:
	s_load_b32 s2, s[0:1], 0xd0
	s_wait_kmcnt 0x0
	s_mul_i32 s2, s2, s28
	s_delay_alu instid0(SALU_CYCLE_1)
	s_add_co_i32 s2, s2, s10
	s_load_b32 s30, s[14:15], s2 offset:0x0 scale_offset
.LBB17_6:
	s_wait_xcnt 0x0
	s_bfe_u32 s2, ttmp6, 0x40010
	s_and_b32 s4, ttmp7, 0xffff
	s_add_co_i32 s2, s2, 1
	s_bfe_u32 s5, ttmp6, 0x40004
	s_mul_i32 s2, s4, s2
	v_lshlrev_b32_e32 v3, 2, v25
	s_add_co_i32 s5, s5, s2
	s_cmp_eq_u32 s24, 0
	v_mbcnt_lo_u32_b32 v27, -1, 0
	s_cselect_b32 s31, s4, s5
	s_mov_b32 s2, 0
	s_lshl_b32 s4, s31, 6
	s_wait_kmcnt 0x0
	s_cmp_lt_i32 s4, s30
	s_cbranch_scc1 .LBB17_9
; %bb.7:
	v_mbcnt_lo_u32_b32 v1, -1, 0
	s_delay_alu instid0(VALU_DEP_1)
	v_dual_mov_b32 v0, 32 :: v_dual_bitop2_b32 v32, 16, v1 bitop3:0x14
	v_xor_b32_e32 v31, 8, v1
	v_xor_b32_e32 v30, 4, v1
	v_xor_b32_e32 v29, 2, v1
	v_xor_b32_e32 v28, 1, v1
	s_and_not1_b32 vcc_lo, exec_lo, s2
	s_cbranch_vccz .LBB17_10
; %bb.8:
	v_dual_mov_b32 v47, 0 :: v_dual_mov_b32 v33, 0
	v_dual_mov_b32 v10, 0xfeffffff :: v_dual_mov_b32 v51, 0
	v_dual_mov_b32 v46, 0 :: v_dual_mov_b32 v50, 0
	v_dual_mov_b32 v49, 0 :: v_dual_mov_b32 v48, 0
	v_dual_mov_b32 v23, 0 :: v_dual_mov_b32 v22, 0
	s_branch .LBB17_13
.LBB17_9:
                                        ; implicit-def: $vgpr1
                                        ; implicit-def: $vgpr0
                                        ; implicit-def: $vgpr32
                                        ; implicit-def: $vgpr31
                                        ; implicit-def: $vgpr30
                                        ; implicit-def: $vgpr29
                                        ; implicit-def: $vgpr28
.LBB17_10:
	s_clause 0x1
	s_load_b64 s[14:15], s[0:1], 0x8c
	s_load_b128 s[24:27], s[0:1], 0x98
	s_mul_f32 s2, s39, 0x4f7ffffe
	s_sub_co_i32 s5, 0, s38
	s_mov_b32 s11, s3
	s_ashr_i32 s36, s33, 31
	s_cvt_u32_f32 s10, s2
	s_abs_i32 s2, s33
	s_ashr_i32 s39, s29, 31
	s_load_b64 s[20:21], s[0:1], 0xa8
	s_mul_i32 s5, s5, s10
	v_dual_lshrrev_b32 v0, 3, v25 :: v_dual_bitop2_b32 v12, 28, v3 bitop3:0x40
	s_mul_hi_u32 s5, s10, s5
	s_ashr_i32 s29, s28, 31
	s_add_co_i32 s10, s10, s5
	s_ashr_i32 s5, s37, 1
	s_mul_u64 s[10:11], s[2:3], s[10:11]
	s_xor_b32 s36, s36, s39
	s_mul_i32 s3, s11, s38
	s_wait_kmcnt 0x0
	s_ashr_i32 s14, s14, 2
	s_sub_co_i32 s2, s2, s3
	s_ashr_i32 s10, s26, 2
	s_add_co_i32 s3, s11, 1
	s_sub_co_i32 s26, s2, s38
	s_cmp_ge_u32 s2, s38
	v_lshl_add_u32 v1, v10, 2, v0
	s_cselect_b32 s3, s3, s11
	s_cselect_b32 s2, s26, s2
	s_add_co_i32 s11, s3, 1
	s_cmp_ge_u32 s2, s38
	v_mul_lo_u32 v0, s14, v1
	s_cselect_b32 s2, s11, s3
	v_mul_lo_u32 v14, s10, v10
	s_xor_b32 s11, s2, s36
	s_mul_u64 s[2:3], s[24:25], s[28:29]
	s_sub_co_i32 s11, s11, s36
	s_add_nc_u64 s[2:3], s[6:7], s[2:3]
	s_mul_i32 s6, s11, s15
	v_dual_mov_b32 v5, 0 :: v_dual_lshlrev_b32 v4, 2, v12
	s_ashr_i32 s7, s6, 31
	v_lshl_add_u32 v36, v10, 7, 0x4800
	s_add_nc_u64 s[6:7], s[2:3], s[6:7]
	s_mul_u64 s[2:3], s[20:21], s[28:29]
	s_mul_i32 s20, s11, s27
	v_mad_u32_u24 v7, 0x90, v1, v4
	v_dual_ashrrev_i32 v1, 31, v0 :: v_dual_lshlrev_b32 v4, 2, v3
	v_ashrrev_i32_e32 v15, 31, v14
	s_add_nc_u64 s[2:3], s[8:9], s[2:3]
	s_ashr_i32 s21, s20, 31
	v_mad_u32 v38, v8, s5, v25
	s_add_nc_u64 s[2:3], s[2:3], s[20:21]
	v_lshl_add_u32 v13, v10, 10, v4
	v_lshl_add_u64 v[10:11], v[14:15], 2, s[2:3]
	v_lshl_add_u32 v6, s14, 5, v0
	v_dual_mov_b32 v51, v5 :: v_dual_add_nc_u32 v42, 0x2400, v9
	s_movk_i32 s8, 0x2400
	s_delay_alu instid0(VALU_DEP_3)
	v_add_nc_u64_e32 v[8:9], v[10:11], v[4:5]
	v_dual_mov_b32 v23, v5 :: v_dual_add_nc_u32 v34, 0x2400, v7
	v_dual_mov_b32 v22, v5 :: v_dual_add_nc_u32 v35, 0x3600, v7
	v_dual_mov_b32 v10, 0xfeffffff :: v_dual_ashrrev_i32 v7, 31, v6
	v_mad_u32_u24 v37, 0x90, v25, s8
	v_lshl_add_u32 v39, v25, 1, v36
	v_dual_mov_b32 v49, v5 :: v_dual_add_nc_u32 v40, 0x2400, v13
	v_dual_mov_b32 v48, v5 :: v_dual_add_nc_u32 v41, 0x2600, v13
	v_dual_lshlrev_b32 v4, 2, v12 :: v_dual_bitop2_b32 v32, 16, v27 bitop3:0x14
	v_dual_mov_b32 v50, v5 :: v_dual_bitop2_b32 v31, 8, v27 bitop3:0x14
	v_dual_mov_b32 v46, v5 :: v_dual_bitop2_b32 v30, 4, v27 bitop3:0x14
	;; [unrolled: 1-line block ×4, first 2 shown]
	v_add_nc_u32_e32 v43, 0x800, v42
	v_add_nc_u32_e32 v44, 0x1000, v42
	;; [unrolled: 1-line block ×3, first 2 shown]
	s_ashr_i32 s15, s14, 31
	s_ashr_i32 s11, s10, 31
	s_add_nc_u64 s[8:9], s[0:1], 0xd0
.LBB17_11:                              ; =>This Inner Loop Header: Depth=1
	v_cmp_gt_i32_e64 s2, 32, v32
	s_ashr_i32 s5, s4, 31
	v_dual_mov_b32 v52, v10 :: v_dual_add_nc_u32 v53, s4, v38
	v_dual_mov_b32 v54, 0 :: v_dual_mov_b32 v55, 0
	v_cndmask_b32_e64 v64, v27, v32, s2
	v_cmp_gt_i32_e64 s2, 32, v31
	v_cmp_gt_i32_e32 vcc_lo, 32, v28
	s_or_b32 s36, s4, 32
	s_or_b32 s20, s4, 8
	s_ashr_i32 s37, s36, 31
	v_cndmask_b32_e64 v65, v27, v31, s2
	v_cmp_gt_i32_e64 s2, 32, v30
	s_ashr_i32 s21, s20, 31
	s_or_b32 s24, s4, 16
	s_mul_u64 s[44:45], s[20:21], s[10:11]
	s_ashr_i32 s25, s24, 31
	v_cndmask_b32_e64 v66, v27, v30, s2
	v_cmp_gt_i32_e64 s2, 32, v29
	s_mul_u64 s[42:43], s[24:25], s[10:11]
	s_or_b32 s26, s4, 24
	s_or_b32 s38, s4, 40
	s_ashr_i32 s27, s26, 31
	v_cndmask_b32_e64 v67, v27, v29, s2
	s_mul_u64 s[2:3], s[4:5], s[14:15]
	v_dual_lshlrev_b32 v64, 2, v64 :: v_dual_lshlrev_b32 v66, 2, v66
	s_lshl_b64 s[2:3], s[2:3], 2
	s_mul_u64 s[26:27], s[26:27], s[10:11]
	s_add_nc_u64 s[2:3], s[6:7], s[2:3]
	s_ashr_i32 s39, s38, 31
	v_lshl_add_u64 v[10:11], v[0:1], 2, s[2:3]
	v_lshl_add_u64 v[12:13], v[6:7], 2, s[2:3]
	s_mul_u64 s[2:3], s[4:5], s[10:11]
	s_mul_u64 s[24:25], s[38:39], s[10:11]
	s_or_b32 s40, s4, 48
	v_add_nc_u64_e32 v[10:11], v[10:11], v[4:5]
	v_add_nc_u64_e32 v[12:13], v[12:13], v[4:5]
	s_clause 0x1
	global_load_b128 v[14:17], v[10:11], off
	global_load_b128 v[18:21], v[12:13], off
	s_ashr_i32 s41, s40, 31
	s_wait_loadcnt 0x1
	ds_store_b128 v34, v[14:17]
	s_wait_loadcnt 0x0
	ds_store_b128 v35, v[18:21]
	s_wait_dscnt 0x0
	s_barrier_signal -1
	s_barrier_wait -1
	ds_load_b128 v[14:17], v37
	ds_load_b128 v[18:21], v26
	ds_load_b128 v[56:59], v37 offset:4608
	s_mul_u64 s[20:21], s[40:41], s[10:11]
	s_wait_dscnt 0x1
	;;#ASMSTART
	v_dot2_f32_f16 v54, v14, v18, v54
	;;#ASMEND
	;;#ASMSTART
	v_dot2_f32_f16 v54, v15, v19, v54
	;;#ASMEND
	;;#ASMSTART
	v_dot2_f32_f16 v54, v16, v20, v54
	;;#ASMEND
	;;#ASMSTART
	v_dot2_f32_f16 v54, v17, v21, v54
	;;#ASMEND
	s_wait_dscnt 0x0
	;;#ASMSTART
	v_dot2_f32_f16 v55, v56, v18, v55
	;;#ASMEND
	;;#ASMSTART
	v_dot2_f32_f16 v55, v57, v19, v55
	;;#ASMEND
	;;#ASMSTART
	v_dot2_f32_f16 v55, v58, v20, v55
	;;#ASMEND
	;;#ASMSTART
	v_dot2_f32_f16 v55, v59, v21, v55
	;;#ASMEND
	ds_load_b128 v[14:17], v37 offset:16
	ds_load_b128 v[18:21], v26 offset:16
	ds_load_b128 v[56:59], v37 offset:4624
	s_wait_dscnt 0x1
	;;#ASMSTART
	v_dot2_f32_f16 v54, v14, v18, v54
	;;#ASMEND
	;;#ASMSTART
	v_dot2_f32_f16 v54, v15, v19, v54
	;;#ASMEND
	;;#ASMSTART
	v_dot2_f32_f16 v54, v16, v20, v54
	;;#ASMEND
	;;#ASMSTART
	v_dot2_f32_f16 v54, v17, v21, v54
	;;#ASMEND
	s_wait_dscnt 0x0
	;;#ASMSTART
	v_dot2_f32_f16 v55, v56, v18, v55
	;;#ASMEND
	;;#ASMSTART
	v_dot2_f32_f16 v55, v57, v19, v55
	;;#ASMEND
	;;#ASMSTART
	v_dot2_f32_f16 v55, v58, v20, v55
	;;#ASMEND
	;;#ASMSTART
	v_dot2_f32_f16 v55, v59, v21, v55
	;;#ASMEND
	ds_load_b128 v[14:17], v37 offset:32
	ds_load_b128 v[18:21], v26 offset:32
	ds_load_b128 v[56:59], v37 offset:4640
	;; [unrolled: 29-line block ×7, first 2 shown]
	s_wait_dscnt 0x1
	;;#ASMSTART
	v_dot2_f32_f16 v54, v14, v18, v54
	;;#ASMEND
	;;#ASMSTART
	v_dot2_f32_f16 v54, v15, v19, v54
	;;#ASMEND
	;; [unrolled: 3-line block ×4, first 2 shown]
	s_wait_dscnt 0x0
	;;#ASMSTART
	v_dot2_f32_f16 v55, v56, v18, v55
	;;#ASMEND
	;;#ASMSTART
	v_dot2_f32_f16 v55, v57, v19, v55
	;;#ASMEND
	;; [unrolled: 3-line block ×4, first 2 shown]
	s_barrier_signal -1
	s_barrier_wait -1
	s_clause 0x1
	global_load_b128 v[14:17], v[10:11], off offset:128
	global_load_b128 v[18:21], v[12:13], off offset:128
	s_wait_loadcnt 0x1
	ds_store_b128 v34, v[14:17]
	s_wait_loadcnt 0x0
	ds_store_b128 v35, v[18:21]
	s_wait_dscnt 0x0
	s_barrier_signal -1
	s_barrier_wait -1
	ds_load_b128 v[14:17], v37
	ds_load_b128 v[18:21], v26 offset:128
	ds_load_b128 v[56:59], v37 offset:4608
	s_wait_dscnt 0x1
	;;#ASMSTART
	v_dot2_f32_f16 v54, v14, v18, v54
	;;#ASMEND
	;;#ASMSTART
	v_dot2_f32_f16 v54, v15, v19, v54
	;;#ASMEND
	;;#ASMSTART
	v_dot2_f32_f16 v54, v16, v20, v54
	;;#ASMEND
	;;#ASMSTART
	v_dot2_f32_f16 v54, v17, v21, v54
	;;#ASMEND
	s_wait_dscnt 0x0
	;;#ASMSTART
	v_dot2_f32_f16 v55, v56, v18, v55
	;;#ASMEND
	;;#ASMSTART
	v_dot2_f32_f16 v55, v57, v19, v55
	;;#ASMEND
	;;#ASMSTART
	v_dot2_f32_f16 v55, v58, v20, v55
	;;#ASMEND
	;;#ASMSTART
	v_dot2_f32_f16 v55, v59, v21, v55
	;;#ASMEND
	ds_load_b128 v[14:17], v37 offset:16
	ds_load_b128 v[18:21], v26 offset:144
	ds_load_b128 v[56:59], v37 offset:4624
	s_wait_dscnt 0x1
	;;#ASMSTART
	v_dot2_f32_f16 v54, v14, v18, v54
	;;#ASMEND
	;;#ASMSTART
	v_dot2_f32_f16 v54, v15, v19, v54
	;;#ASMEND
	;;#ASMSTART
	v_dot2_f32_f16 v54, v16, v20, v54
	;;#ASMEND
	;;#ASMSTART
	v_dot2_f32_f16 v54, v17, v21, v54
	;;#ASMEND
	s_wait_dscnt 0x0
	;;#ASMSTART
	v_dot2_f32_f16 v55, v56, v18, v55
	;;#ASMEND
	;;#ASMSTART
	v_dot2_f32_f16 v55, v57, v19, v55
	;;#ASMEND
	;;#ASMSTART
	v_dot2_f32_f16 v55, v58, v20, v55
	;;#ASMEND
	;;#ASMSTART
	v_dot2_f32_f16 v55, v59, v21, v55
	;;#ASMEND
	ds_load_b128 v[14:17], v37 offset:32
	;; [unrolled: 29-line block ×7, first 2 shown]
	ds_load_b128 v[18:21], v26 offset:240
	ds_load_b128 v[56:59], v37 offset:4720
	s_wait_dscnt 0x1
	;;#ASMSTART
	v_dot2_f32_f16 v54, v14, v18, v54
	;;#ASMEND
	;;#ASMSTART
	v_dot2_f32_f16 v54, v15, v19, v54
	;;#ASMEND
	;; [unrolled: 3-line block ×4, first 2 shown]
	s_wait_dscnt 0x0
	;;#ASMSTART
	v_dot2_f32_f16 v55, v56, v18, v55
	;;#ASMEND
	;;#ASMSTART
	v_dot2_f32_f16 v55, v57, v19, v55
	;;#ASMEND
	;; [unrolled: 3-line block ×4, first 2 shown]
	s_barrier_signal -1
	s_barrier_wait -1
	s_clause 0x1
	global_load_b128 v[14:17], v[10:11], off offset:256
	global_load_b128 v[18:21], v[12:13], off offset:256
	s_wait_loadcnt 0x1
	ds_store_b128 v34, v[14:17]
	s_wait_loadcnt 0x0
	ds_store_b128 v35, v[18:21]
	s_wait_dscnt 0x0
	s_barrier_signal -1
	s_barrier_wait -1
	ds_load_b128 v[14:17], v37
	ds_load_b128 v[18:21], v26 offset:256
	ds_load_b128 v[56:59], v37 offset:4608
	s_wait_dscnt 0x1
	;;#ASMSTART
	v_dot2_f32_f16 v54, v14, v18, v54
	;;#ASMEND
	;;#ASMSTART
	v_dot2_f32_f16 v54, v15, v19, v54
	;;#ASMEND
	;;#ASMSTART
	v_dot2_f32_f16 v54, v16, v20, v54
	;;#ASMEND
	;;#ASMSTART
	v_dot2_f32_f16 v54, v17, v21, v54
	;;#ASMEND
	s_wait_dscnt 0x0
	;;#ASMSTART
	v_dot2_f32_f16 v55, v56, v18, v55
	;;#ASMEND
	;;#ASMSTART
	v_dot2_f32_f16 v55, v57, v19, v55
	;;#ASMEND
	;;#ASMSTART
	v_dot2_f32_f16 v55, v58, v20, v55
	;;#ASMEND
	;;#ASMSTART
	v_dot2_f32_f16 v55, v59, v21, v55
	;;#ASMEND
	ds_load_b128 v[14:17], v37 offset:16
	ds_load_b128 v[18:21], v26 offset:272
	ds_load_b128 v[56:59], v37 offset:4624
	s_wait_dscnt 0x1
	;;#ASMSTART
	v_dot2_f32_f16 v54, v14, v18, v54
	;;#ASMEND
	;;#ASMSTART
	v_dot2_f32_f16 v54, v15, v19, v54
	;;#ASMEND
	;;#ASMSTART
	v_dot2_f32_f16 v54, v16, v20, v54
	;;#ASMEND
	;;#ASMSTART
	v_dot2_f32_f16 v54, v17, v21, v54
	;;#ASMEND
	s_wait_dscnt 0x0
	;;#ASMSTART
	v_dot2_f32_f16 v55, v56, v18, v55
	;;#ASMEND
	;;#ASMSTART
	v_dot2_f32_f16 v55, v57, v19, v55
	;;#ASMEND
	;;#ASMSTART
	v_dot2_f32_f16 v55, v58, v20, v55
	;;#ASMEND
	;;#ASMSTART
	v_dot2_f32_f16 v55, v59, v21, v55
	;;#ASMEND
	ds_load_b128 v[14:17], v37 offset:32
	;; [unrolled: 29-line block ×7, first 2 shown]
	ds_load_b128 v[18:21], v26 offset:368
	ds_load_b128 v[56:59], v37 offset:4720
	s_wait_dscnt 0x1
	;;#ASMSTART
	v_dot2_f32_f16 v54, v14, v18, v54
	;;#ASMEND
	;;#ASMSTART
	v_dot2_f32_f16 v54, v15, v19, v54
	;;#ASMEND
	;; [unrolled: 3-line block ×4, first 2 shown]
	s_wait_dscnt 0x0
	;;#ASMSTART
	v_dot2_f32_f16 v55, v56, v18, v55
	;;#ASMEND
	;;#ASMSTART
	v_dot2_f32_f16 v55, v57, v19, v55
	;;#ASMEND
	;; [unrolled: 3-line block ×4, first 2 shown]
	s_barrier_signal -1
	s_barrier_wait -1
	s_clause 0x1
	global_load_b128 v[14:17], v[10:11], off offset:384
	global_load_b128 v[18:21], v[12:13], off offset:384
	s_wait_loadcnt 0x1
	ds_store_b128 v34, v[14:17]
	s_wait_loadcnt 0x0
	ds_store_b128 v35, v[18:21]
	s_wait_dscnt 0x0
	s_barrier_signal -1
	s_barrier_wait -1
	ds_load_b128 v[14:17], v37
	ds_load_b128 v[18:21], v26 offset:384
	ds_load_b128 v[56:59], v37 offset:4608
	s_wait_dscnt 0x1
	;;#ASMSTART
	v_dot2_f32_f16 v54, v14, v18, v54
	;;#ASMEND
	;;#ASMSTART
	v_dot2_f32_f16 v54, v15, v19, v54
	;;#ASMEND
	;;#ASMSTART
	v_dot2_f32_f16 v54, v16, v20, v54
	;;#ASMEND
	;;#ASMSTART
	v_dot2_f32_f16 v54, v17, v21, v54
	;;#ASMEND
	s_wait_dscnt 0x0
	;;#ASMSTART
	v_dot2_f32_f16 v55, v56, v18, v55
	;;#ASMEND
	;;#ASMSTART
	v_dot2_f32_f16 v55, v57, v19, v55
	;;#ASMEND
	;;#ASMSTART
	v_dot2_f32_f16 v55, v58, v20, v55
	;;#ASMEND
	;;#ASMSTART
	v_dot2_f32_f16 v55, v59, v21, v55
	;;#ASMEND
	ds_load_b128 v[14:17], v37 offset:16
	ds_load_b128 v[18:21], v26 offset:400
	ds_load_b128 v[56:59], v37 offset:4624
	s_wait_dscnt 0x1
	;;#ASMSTART
	v_dot2_f32_f16 v54, v14, v18, v54
	;;#ASMEND
	;;#ASMSTART
	v_dot2_f32_f16 v54, v15, v19, v54
	;;#ASMEND
	;;#ASMSTART
	v_dot2_f32_f16 v54, v16, v20, v54
	;;#ASMEND
	;;#ASMSTART
	v_dot2_f32_f16 v54, v17, v21, v54
	;;#ASMEND
	s_wait_dscnt 0x0
	;;#ASMSTART
	v_dot2_f32_f16 v55, v56, v18, v55
	;;#ASMEND
	;;#ASMSTART
	v_dot2_f32_f16 v55, v57, v19, v55
	;;#ASMEND
	;;#ASMSTART
	v_dot2_f32_f16 v55, v58, v20, v55
	;;#ASMEND
	;;#ASMSTART
	v_dot2_f32_f16 v55, v59, v21, v55
	;;#ASMEND
	ds_load_b128 v[14:17], v37 offset:32
	;; [unrolled: 29-line block ×7, first 2 shown]
	ds_load_b128 v[18:21], v26 offset:496
	ds_load_b128 v[56:59], v37 offset:4720
	s_wait_dscnt 0x1
	;;#ASMSTART
	v_dot2_f32_f16 v54, v14, v18, v54
	;;#ASMEND
	;;#ASMSTART
	v_dot2_f32_f16 v54, v15, v19, v54
	;;#ASMEND
	;; [unrolled: 3-line block ×4, first 2 shown]
	s_wait_dscnt 0x0
	;;#ASMSTART
	v_dot2_f32_f16 v55, v56, v18, v55
	;;#ASMEND
	;;#ASMSTART
	v_dot2_f32_f16 v55, v57, v19, v55
	;;#ASMEND
	;; [unrolled: 3-line block ×4, first 2 shown]
	s_barrier_signal -1
	s_barrier_wait -1
	s_clause 0x1
	global_load_b128 v[14:17], v[10:11], off offset:512
	global_load_b128 v[18:21], v[12:13], off offset:512
	s_wait_loadcnt 0x1
	ds_store_b128 v34, v[14:17]
	s_wait_loadcnt 0x0
	ds_store_b128 v35, v[18:21]
	s_wait_dscnt 0x0
	s_barrier_signal -1
	s_barrier_wait -1
	ds_load_b128 v[14:17], v37
	ds_load_b128 v[18:21], v26 offset:512
	ds_load_b128 v[56:59], v37 offset:4608
	s_wait_dscnt 0x1
	;;#ASMSTART
	v_dot2_f32_f16 v54, v14, v18, v54
	;;#ASMEND
	;;#ASMSTART
	v_dot2_f32_f16 v54, v15, v19, v54
	;;#ASMEND
	;;#ASMSTART
	v_dot2_f32_f16 v54, v16, v20, v54
	;;#ASMEND
	;;#ASMSTART
	v_dot2_f32_f16 v54, v17, v21, v54
	;;#ASMEND
	s_wait_dscnt 0x0
	;;#ASMSTART
	v_dot2_f32_f16 v55, v56, v18, v55
	;;#ASMEND
	;;#ASMSTART
	v_dot2_f32_f16 v55, v57, v19, v55
	;;#ASMEND
	;;#ASMSTART
	v_dot2_f32_f16 v55, v58, v20, v55
	;;#ASMEND
	;;#ASMSTART
	v_dot2_f32_f16 v55, v59, v21, v55
	;;#ASMEND
	ds_load_b128 v[14:17], v37 offset:16
	ds_load_b128 v[18:21], v26 offset:528
	ds_load_b128 v[56:59], v37 offset:4624
	s_wait_dscnt 0x1
	;;#ASMSTART
	v_dot2_f32_f16 v54, v14, v18, v54
	;;#ASMEND
	;;#ASMSTART
	v_dot2_f32_f16 v54, v15, v19, v54
	;;#ASMEND
	;;#ASMSTART
	v_dot2_f32_f16 v54, v16, v20, v54
	;;#ASMEND
	;;#ASMSTART
	v_dot2_f32_f16 v54, v17, v21, v54
	;;#ASMEND
	s_wait_dscnt 0x0
	;;#ASMSTART
	v_dot2_f32_f16 v55, v56, v18, v55
	;;#ASMEND
	;;#ASMSTART
	v_dot2_f32_f16 v55, v57, v19, v55
	;;#ASMEND
	;;#ASMSTART
	v_dot2_f32_f16 v55, v58, v20, v55
	;;#ASMEND
	;;#ASMSTART
	v_dot2_f32_f16 v55, v59, v21, v55
	;;#ASMEND
	ds_load_b128 v[14:17], v37 offset:32
	ds_load_b128 v[18:21], v26 offset:544
	ds_load_b128 v[56:59], v37 offset:4640
	s_wait_dscnt 0x1
	;;#ASMSTART
	v_dot2_f32_f16 v54, v14, v18, v54
	;;#ASMEND
	;;#ASMSTART
	v_dot2_f32_f16 v54, v15, v19, v54
	;;#ASMEND
	;;#ASMSTART
	v_dot2_f32_f16 v54, v16, v20, v54
	;;#ASMEND
	;;#ASMSTART
	v_dot2_f32_f16 v54, v17, v21, v54
	;;#ASMEND
	s_wait_dscnt 0x0
	;;#ASMSTART
	v_dot2_f32_f16 v55, v56, v18, v55
	;;#ASMEND
	;;#ASMSTART
	v_dot2_f32_f16 v55, v57, v19, v55
	;;#ASMEND
	;;#ASMSTART
	v_dot2_f32_f16 v55, v58, v20, v55
	;;#ASMEND
	;;#ASMSTART
	v_dot2_f32_f16 v55, v59, v21, v55
	;;#ASMEND
	ds_load_b128 v[14:17], v37 offset:48
	ds_load_b128 v[18:21], v26 offset:560
	ds_load_b128 v[56:59], v37 offset:4656
	s_wait_dscnt 0x1
	;;#ASMSTART
	v_dot2_f32_f16 v54, v14, v18, v54
	;;#ASMEND
	;;#ASMSTART
	v_dot2_f32_f16 v54, v15, v19, v54
	;;#ASMEND
	;;#ASMSTART
	v_dot2_f32_f16 v54, v16, v20, v54
	;;#ASMEND
	;;#ASMSTART
	v_dot2_f32_f16 v54, v17, v21, v54
	;;#ASMEND
	s_wait_dscnt 0x0
	;;#ASMSTART
	v_dot2_f32_f16 v55, v56, v18, v55
	;;#ASMEND
	;;#ASMSTART
	v_dot2_f32_f16 v55, v57, v19, v55
	;;#ASMEND
	;;#ASMSTART
	v_dot2_f32_f16 v55, v58, v20, v55
	;;#ASMEND
	;;#ASMSTART
	v_dot2_f32_f16 v55, v59, v21, v55
	;;#ASMEND
	ds_load_b128 v[14:17], v37 offset:64
	ds_load_b128 v[18:21], v26 offset:576
	ds_load_b128 v[56:59], v37 offset:4672
	s_wait_dscnt 0x1
	;;#ASMSTART
	v_dot2_f32_f16 v54, v14, v18, v54
	;;#ASMEND
	;;#ASMSTART
	v_dot2_f32_f16 v54, v15, v19, v54
	;;#ASMEND
	;;#ASMSTART
	v_dot2_f32_f16 v54, v16, v20, v54
	;;#ASMEND
	;;#ASMSTART
	v_dot2_f32_f16 v54, v17, v21, v54
	;;#ASMEND
	s_wait_dscnt 0x0
	;;#ASMSTART
	v_dot2_f32_f16 v55, v56, v18, v55
	;;#ASMEND
	;;#ASMSTART
	v_dot2_f32_f16 v55, v57, v19, v55
	;;#ASMEND
	;;#ASMSTART
	v_dot2_f32_f16 v55, v58, v20, v55
	;;#ASMEND
	;;#ASMSTART
	v_dot2_f32_f16 v55, v59, v21, v55
	;;#ASMEND
	ds_load_b128 v[14:17], v37 offset:80
	ds_load_b128 v[18:21], v26 offset:592
	ds_load_b128 v[56:59], v37 offset:4688
	s_wait_dscnt 0x1
	;;#ASMSTART
	v_dot2_f32_f16 v54, v14, v18, v54
	;;#ASMEND
	;;#ASMSTART
	v_dot2_f32_f16 v54, v15, v19, v54
	;;#ASMEND
	;;#ASMSTART
	v_dot2_f32_f16 v54, v16, v20, v54
	;;#ASMEND
	;;#ASMSTART
	v_dot2_f32_f16 v54, v17, v21, v54
	;;#ASMEND
	s_wait_dscnt 0x0
	;;#ASMSTART
	v_dot2_f32_f16 v55, v56, v18, v55
	;;#ASMEND
	;;#ASMSTART
	v_dot2_f32_f16 v55, v57, v19, v55
	;;#ASMEND
	;;#ASMSTART
	v_dot2_f32_f16 v55, v58, v20, v55
	;;#ASMEND
	;;#ASMSTART
	v_dot2_f32_f16 v55, v59, v21, v55
	;;#ASMEND
	ds_load_b128 v[14:17], v37 offset:96
	ds_load_b128 v[18:21], v26 offset:608
	ds_load_b128 v[56:59], v37 offset:4704
	s_wait_dscnt 0x1
	;;#ASMSTART
	v_dot2_f32_f16 v54, v14, v18, v54
	;;#ASMEND
	;;#ASMSTART
	v_dot2_f32_f16 v54, v15, v19, v54
	;;#ASMEND
	;;#ASMSTART
	v_dot2_f32_f16 v54, v16, v20, v54
	;;#ASMEND
	;;#ASMSTART
	v_dot2_f32_f16 v54, v17, v21, v54
	;;#ASMEND
	s_wait_dscnt 0x0
	;;#ASMSTART
	v_dot2_f32_f16 v55, v56, v18, v55
	;;#ASMEND
	;;#ASMSTART
	v_dot2_f32_f16 v55, v57, v19, v55
	;;#ASMEND
	;;#ASMSTART
	v_dot2_f32_f16 v55, v58, v20, v55
	;;#ASMEND
	;;#ASMSTART
	v_dot2_f32_f16 v55, v59, v21, v55
	;;#ASMEND
	ds_load_b128 v[14:17], v37 offset:112
	ds_load_b128 v[18:21], v26 offset:624
	ds_load_b128 v[56:59], v37 offset:4720
	s_wait_dscnt 0x1
	;;#ASMSTART
	v_dot2_f32_f16 v54, v14, v18, v54
	;;#ASMEND
	;;#ASMSTART
	v_dot2_f32_f16 v54, v15, v19, v54
	;;#ASMEND
	;; [unrolled: 3-line block ×4, first 2 shown]
	s_wait_dscnt 0x0
	;;#ASMSTART
	v_dot2_f32_f16 v55, v56, v18, v55
	;;#ASMEND
	;;#ASMSTART
	v_dot2_f32_f16 v55, v57, v19, v55
	;;#ASMEND
	;; [unrolled: 3-line block ×4, first 2 shown]
	s_barrier_signal -1
	s_barrier_wait -1
	s_clause 0x1
	global_load_b128 v[14:17], v[10:11], off offset:640
	global_load_b128 v[18:21], v[12:13], off offset:640
	s_wait_loadcnt 0x1
	ds_store_b128 v34, v[14:17]
	s_wait_loadcnt 0x0
	ds_store_b128 v35, v[18:21]
	s_wait_dscnt 0x0
	s_barrier_signal -1
	s_barrier_wait -1
	ds_load_b128 v[14:17], v37
	ds_load_b128 v[18:21], v26 offset:640
	ds_load_b128 v[56:59], v37 offset:4608
	s_wait_dscnt 0x1
	;;#ASMSTART
	v_dot2_f32_f16 v54, v14, v18, v54
	;;#ASMEND
	;;#ASMSTART
	v_dot2_f32_f16 v54, v15, v19, v54
	;;#ASMEND
	;;#ASMSTART
	v_dot2_f32_f16 v54, v16, v20, v54
	;;#ASMEND
	;;#ASMSTART
	v_dot2_f32_f16 v54, v17, v21, v54
	;;#ASMEND
	s_wait_dscnt 0x0
	;;#ASMSTART
	v_dot2_f32_f16 v55, v56, v18, v55
	;;#ASMEND
	;;#ASMSTART
	v_dot2_f32_f16 v55, v57, v19, v55
	;;#ASMEND
	;;#ASMSTART
	v_dot2_f32_f16 v55, v58, v20, v55
	;;#ASMEND
	;;#ASMSTART
	v_dot2_f32_f16 v55, v59, v21, v55
	;;#ASMEND
	ds_load_b128 v[14:17], v37 offset:16
	ds_load_b128 v[18:21], v26 offset:656
	ds_load_b128 v[56:59], v37 offset:4624
	s_wait_dscnt 0x1
	;;#ASMSTART
	v_dot2_f32_f16 v54, v14, v18, v54
	;;#ASMEND
	;;#ASMSTART
	v_dot2_f32_f16 v54, v15, v19, v54
	;;#ASMEND
	;;#ASMSTART
	v_dot2_f32_f16 v54, v16, v20, v54
	;;#ASMEND
	;;#ASMSTART
	v_dot2_f32_f16 v54, v17, v21, v54
	;;#ASMEND
	s_wait_dscnt 0x0
	;;#ASMSTART
	v_dot2_f32_f16 v55, v56, v18, v55
	;;#ASMEND
	;;#ASMSTART
	v_dot2_f32_f16 v55, v57, v19, v55
	;;#ASMEND
	;;#ASMSTART
	v_dot2_f32_f16 v55, v58, v20, v55
	;;#ASMEND
	;;#ASMSTART
	v_dot2_f32_f16 v55, v59, v21, v55
	;;#ASMEND
	ds_load_b128 v[14:17], v37 offset:32
	ds_load_b128 v[18:21], v26 offset:672
	ds_load_b128 v[56:59], v37 offset:4640
	s_wait_dscnt 0x1
	;;#ASMSTART
	v_dot2_f32_f16 v54, v14, v18, v54
	;;#ASMEND
	;;#ASMSTART
	v_dot2_f32_f16 v54, v15, v19, v54
	;;#ASMEND
	;;#ASMSTART
	v_dot2_f32_f16 v54, v16, v20, v54
	;;#ASMEND
	;;#ASMSTART
	v_dot2_f32_f16 v54, v17, v21, v54
	;;#ASMEND
	s_wait_dscnt 0x0
	;;#ASMSTART
	v_dot2_f32_f16 v55, v56, v18, v55
	;;#ASMEND
	;;#ASMSTART
	v_dot2_f32_f16 v55, v57, v19, v55
	;;#ASMEND
	;;#ASMSTART
	v_dot2_f32_f16 v55, v58, v20, v55
	;;#ASMEND
	;;#ASMSTART
	v_dot2_f32_f16 v55, v59, v21, v55
	;;#ASMEND
	ds_load_b128 v[14:17], v37 offset:48
	ds_load_b128 v[18:21], v26 offset:688
	ds_load_b128 v[56:59], v37 offset:4656
	s_wait_dscnt 0x1
	;;#ASMSTART
	v_dot2_f32_f16 v54, v14, v18, v54
	;;#ASMEND
	;;#ASMSTART
	v_dot2_f32_f16 v54, v15, v19, v54
	;;#ASMEND
	;;#ASMSTART
	v_dot2_f32_f16 v54, v16, v20, v54
	;;#ASMEND
	;;#ASMSTART
	v_dot2_f32_f16 v54, v17, v21, v54
	;;#ASMEND
	s_wait_dscnt 0x0
	;;#ASMSTART
	v_dot2_f32_f16 v55, v56, v18, v55
	;;#ASMEND
	;;#ASMSTART
	v_dot2_f32_f16 v55, v57, v19, v55
	;;#ASMEND
	;;#ASMSTART
	v_dot2_f32_f16 v55, v58, v20, v55
	;;#ASMEND
	;;#ASMSTART
	v_dot2_f32_f16 v55, v59, v21, v55
	;;#ASMEND
	ds_load_b128 v[14:17], v37 offset:64
	ds_load_b128 v[18:21], v26 offset:704
	ds_load_b128 v[56:59], v37 offset:4672
	s_wait_dscnt 0x1
	;;#ASMSTART
	v_dot2_f32_f16 v54, v14, v18, v54
	;;#ASMEND
	;;#ASMSTART
	v_dot2_f32_f16 v54, v15, v19, v54
	;;#ASMEND
	;;#ASMSTART
	v_dot2_f32_f16 v54, v16, v20, v54
	;;#ASMEND
	;;#ASMSTART
	v_dot2_f32_f16 v54, v17, v21, v54
	;;#ASMEND
	s_wait_dscnt 0x0
	;;#ASMSTART
	v_dot2_f32_f16 v55, v56, v18, v55
	;;#ASMEND
	;;#ASMSTART
	v_dot2_f32_f16 v55, v57, v19, v55
	;;#ASMEND
	;;#ASMSTART
	v_dot2_f32_f16 v55, v58, v20, v55
	;;#ASMEND
	;;#ASMSTART
	v_dot2_f32_f16 v55, v59, v21, v55
	;;#ASMEND
	ds_load_b128 v[14:17], v37 offset:80
	ds_load_b128 v[18:21], v26 offset:720
	ds_load_b128 v[56:59], v37 offset:4688
	s_wait_dscnt 0x1
	;;#ASMSTART
	v_dot2_f32_f16 v54, v14, v18, v54
	;;#ASMEND
	;;#ASMSTART
	v_dot2_f32_f16 v54, v15, v19, v54
	;;#ASMEND
	;;#ASMSTART
	v_dot2_f32_f16 v54, v16, v20, v54
	;;#ASMEND
	;;#ASMSTART
	v_dot2_f32_f16 v54, v17, v21, v54
	;;#ASMEND
	s_wait_dscnt 0x0
	;;#ASMSTART
	v_dot2_f32_f16 v55, v56, v18, v55
	;;#ASMEND
	;;#ASMSTART
	v_dot2_f32_f16 v55, v57, v19, v55
	;;#ASMEND
	;;#ASMSTART
	v_dot2_f32_f16 v55, v58, v20, v55
	;;#ASMEND
	;;#ASMSTART
	v_dot2_f32_f16 v55, v59, v21, v55
	;;#ASMEND
	ds_load_b128 v[14:17], v37 offset:96
	ds_load_b128 v[18:21], v26 offset:736
	ds_load_b128 v[56:59], v37 offset:4704
	s_wait_dscnt 0x1
	;;#ASMSTART
	v_dot2_f32_f16 v54, v14, v18, v54
	;;#ASMEND
	;;#ASMSTART
	v_dot2_f32_f16 v54, v15, v19, v54
	;;#ASMEND
	;;#ASMSTART
	v_dot2_f32_f16 v54, v16, v20, v54
	;;#ASMEND
	;;#ASMSTART
	v_dot2_f32_f16 v54, v17, v21, v54
	;;#ASMEND
	s_wait_dscnt 0x0
	;;#ASMSTART
	v_dot2_f32_f16 v55, v56, v18, v55
	;;#ASMEND
	;;#ASMSTART
	v_dot2_f32_f16 v55, v57, v19, v55
	;;#ASMEND
	;;#ASMSTART
	v_dot2_f32_f16 v55, v58, v20, v55
	;;#ASMEND
	;;#ASMSTART
	v_dot2_f32_f16 v55, v59, v21, v55
	;;#ASMEND
	ds_load_b128 v[14:17], v37 offset:112
	ds_load_b128 v[18:21], v26 offset:752
	ds_load_b128 v[56:59], v37 offset:4720
	s_wait_dscnt 0x1
	;;#ASMSTART
	v_dot2_f32_f16 v54, v14, v18, v54
	;;#ASMEND
	;;#ASMSTART
	v_dot2_f32_f16 v54, v15, v19, v54
	;;#ASMEND
	;; [unrolled: 3-line block ×4, first 2 shown]
	s_wait_dscnt 0x0
	;;#ASMSTART
	v_dot2_f32_f16 v55, v56, v18, v55
	;;#ASMEND
	;;#ASMSTART
	v_dot2_f32_f16 v55, v57, v19, v55
	;;#ASMEND
	;;#ASMSTART
	v_dot2_f32_f16 v55, v58, v20, v55
	;;#ASMEND
	;;#ASMSTART
	v_dot2_f32_f16 v55, v59, v21, v55
	;;#ASMEND
	s_barrier_signal -1
	s_barrier_wait -1
	s_clause 0x1
	global_load_b128 v[14:17], v[10:11], off offset:768
	global_load_b128 v[18:21], v[12:13], off offset:768
	s_wait_loadcnt 0x1
	ds_store_b128 v34, v[14:17]
	s_wait_loadcnt 0x0
	ds_store_b128 v35, v[18:21]
	s_wait_dscnt 0x0
	s_barrier_signal -1
	s_barrier_wait -1
	ds_load_b128 v[14:17], v37
	ds_load_b128 v[18:21], v26 offset:768
	ds_load_b128 v[56:59], v37 offset:4608
	s_wait_dscnt 0x1
	;;#ASMSTART
	v_dot2_f32_f16 v54, v14, v18, v54
	;;#ASMEND
	;;#ASMSTART
	v_dot2_f32_f16 v54, v15, v19, v54
	;;#ASMEND
	;;#ASMSTART
	v_dot2_f32_f16 v54, v16, v20, v54
	;;#ASMEND
	;;#ASMSTART
	v_dot2_f32_f16 v54, v17, v21, v54
	;;#ASMEND
	s_wait_dscnt 0x0
	;;#ASMSTART
	v_dot2_f32_f16 v55, v56, v18, v55
	;;#ASMEND
	;;#ASMSTART
	v_dot2_f32_f16 v55, v57, v19, v55
	;;#ASMEND
	;;#ASMSTART
	v_dot2_f32_f16 v55, v58, v20, v55
	;;#ASMEND
	;;#ASMSTART
	v_dot2_f32_f16 v55, v59, v21, v55
	;;#ASMEND
	ds_load_b128 v[14:17], v37 offset:16
	ds_load_b128 v[18:21], v26 offset:784
	ds_load_b128 v[56:59], v37 offset:4624
	s_wait_dscnt 0x1
	;;#ASMSTART
	v_dot2_f32_f16 v54, v14, v18, v54
	;;#ASMEND
	;;#ASMSTART
	v_dot2_f32_f16 v54, v15, v19, v54
	;;#ASMEND
	;;#ASMSTART
	v_dot2_f32_f16 v54, v16, v20, v54
	;;#ASMEND
	;;#ASMSTART
	v_dot2_f32_f16 v54, v17, v21, v54
	;;#ASMEND
	s_wait_dscnt 0x0
	;;#ASMSTART
	v_dot2_f32_f16 v55, v56, v18, v55
	;;#ASMEND
	;;#ASMSTART
	v_dot2_f32_f16 v55, v57, v19, v55
	;;#ASMEND
	;;#ASMSTART
	v_dot2_f32_f16 v55, v58, v20, v55
	;;#ASMEND
	;;#ASMSTART
	v_dot2_f32_f16 v55, v59, v21, v55
	;;#ASMEND
	ds_load_b128 v[14:17], v37 offset:32
	;; [unrolled: 29-line block ×7, first 2 shown]
	ds_load_b128 v[18:21], v26 offset:880
	ds_load_b128 v[56:59], v37 offset:4720
	s_wait_dscnt 0x1
	;;#ASMSTART
	v_dot2_f32_f16 v54, v14, v18, v54
	;;#ASMEND
	;;#ASMSTART
	v_dot2_f32_f16 v54, v15, v19, v54
	;;#ASMEND
	;; [unrolled: 3-line block ×4, first 2 shown]
	s_wait_dscnt 0x0
	;;#ASMSTART
	v_dot2_f32_f16 v55, v56, v18, v55
	;;#ASMEND
	;;#ASMSTART
	v_dot2_f32_f16 v55, v57, v19, v55
	;;#ASMEND
	;; [unrolled: 3-line block ×4, first 2 shown]
	s_barrier_signal -1
	s_barrier_wait -1
	s_clause 0x1
	global_load_b128 v[14:17], v[10:11], off offset:896
	global_load_b128 v[18:21], v[12:13], off offset:896
	s_wait_loadcnt 0x1
	ds_store_b128 v34, v[14:17]
	s_wait_loadcnt 0x0
	ds_store_b128 v35, v[18:21]
	s_wait_dscnt 0x0
	s_barrier_signal -1
	s_barrier_wait -1
	ds_load_b128 v[14:17], v37
	ds_load_b128 v[18:21], v26 offset:896
	ds_load_b128 v[56:59], v37 offset:4608
	s_wait_dscnt 0x1
	;;#ASMSTART
	v_dot2_f32_f16 v54, v14, v18, v54
	;;#ASMEND
	;;#ASMSTART
	v_dot2_f32_f16 v54, v15, v19, v54
	;;#ASMEND
	;;#ASMSTART
	v_dot2_f32_f16 v54, v16, v20, v54
	;;#ASMEND
	;;#ASMSTART
	v_dot2_f32_f16 v54, v17, v21, v54
	;;#ASMEND
	s_wait_dscnt 0x0
	;;#ASMSTART
	v_dot2_f32_f16 v55, v56, v18, v55
	;;#ASMEND
	;;#ASMSTART
	v_dot2_f32_f16 v55, v57, v19, v55
	;;#ASMEND
	;;#ASMSTART
	v_dot2_f32_f16 v55, v58, v20, v55
	;;#ASMEND
	;;#ASMSTART
	v_dot2_f32_f16 v55, v59, v21, v55
	;;#ASMEND
	ds_load_b128 v[14:17], v37 offset:16
	ds_load_b128 v[18:21], v26 offset:912
	ds_load_b128 v[56:59], v37 offset:4624
	s_wait_dscnt 0x1
	;;#ASMSTART
	v_dot2_f32_f16 v54, v14, v18, v54
	;;#ASMEND
	;;#ASMSTART
	v_dot2_f32_f16 v54, v15, v19, v54
	;;#ASMEND
	;;#ASMSTART
	v_dot2_f32_f16 v54, v16, v20, v54
	;;#ASMEND
	;;#ASMSTART
	v_dot2_f32_f16 v54, v17, v21, v54
	;;#ASMEND
	s_wait_dscnt 0x0
	;;#ASMSTART
	v_dot2_f32_f16 v55, v56, v18, v55
	;;#ASMEND
	;;#ASMSTART
	v_dot2_f32_f16 v55, v57, v19, v55
	;;#ASMEND
	;;#ASMSTART
	v_dot2_f32_f16 v55, v58, v20, v55
	;;#ASMEND
	;;#ASMSTART
	v_dot2_f32_f16 v55, v59, v21, v55
	;;#ASMEND
	ds_load_b128 v[14:17], v37 offset:32
	ds_load_b128 v[18:21], v26 offset:928
	ds_load_b128 v[56:59], v37 offset:4640
	s_wait_dscnt 0x1
	;;#ASMSTART
	v_dot2_f32_f16 v54, v14, v18, v54
	;;#ASMEND
	;;#ASMSTART
	v_dot2_f32_f16 v54, v15, v19, v54
	;;#ASMEND
	;;#ASMSTART
	v_dot2_f32_f16 v54, v16, v20, v54
	;;#ASMEND
	;;#ASMSTART
	v_dot2_f32_f16 v54, v17, v21, v54
	;;#ASMEND
	s_wait_dscnt 0x0
	;;#ASMSTART
	v_dot2_f32_f16 v55, v56, v18, v55
	;;#ASMEND
	;;#ASMSTART
	v_dot2_f32_f16 v55, v57, v19, v55
	;;#ASMEND
	;;#ASMSTART
	v_dot2_f32_f16 v55, v58, v20, v55
	;;#ASMEND
	;;#ASMSTART
	v_dot2_f32_f16 v55, v59, v21, v55
	;;#ASMEND
	ds_load_b128 v[14:17], v37 offset:48
	ds_load_b128 v[18:21], v26 offset:944
	ds_load_b128 v[56:59], v37 offset:4656
	s_wait_dscnt 0x1
	;;#ASMSTART
	v_dot2_f32_f16 v54, v14, v18, v54
	;;#ASMEND
	;;#ASMSTART
	v_dot2_f32_f16 v54, v15, v19, v54
	;;#ASMEND
	;;#ASMSTART
	v_dot2_f32_f16 v54, v16, v20, v54
	;;#ASMEND
	;;#ASMSTART
	v_dot2_f32_f16 v54, v17, v21, v54
	;;#ASMEND
	s_wait_dscnt 0x0
	;;#ASMSTART
	v_dot2_f32_f16 v55, v56, v18, v55
	;;#ASMEND
	;;#ASMSTART
	v_dot2_f32_f16 v55, v57, v19, v55
	;;#ASMEND
	;;#ASMSTART
	v_dot2_f32_f16 v55, v58, v20, v55
	;;#ASMEND
	;;#ASMSTART
	v_dot2_f32_f16 v55, v59, v21, v55
	;;#ASMEND
	ds_load_b128 v[14:17], v37 offset:64
	ds_load_b128 v[18:21], v26 offset:960
	ds_load_b128 v[56:59], v37 offset:4672
	s_wait_dscnt 0x1
	;;#ASMSTART
	v_dot2_f32_f16 v54, v14, v18, v54
	;;#ASMEND
	;;#ASMSTART
	v_dot2_f32_f16 v54, v15, v19, v54
	;;#ASMEND
	;;#ASMSTART
	v_dot2_f32_f16 v54, v16, v20, v54
	;;#ASMEND
	;;#ASMSTART
	v_dot2_f32_f16 v54, v17, v21, v54
	;;#ASMEND
	s_wait_dscnt 0x0
	;;#ASMSTART
	v_dot2_f32_f16 v55, v56, v18, v55
	;;#ASMEND
	;;#ASMSTART
	v_dot2_f32_f16 v55, v57, v19, v55
	;;#ASMEND
	;;#ASMSTART
	v_dot2_f32_f16 v55, v58, v20, v55
	;;#ASMEND
	;;#ASMSTART
	v_dot2_f32_f16 v55, v59, v21, v55
	;;#ASMEND
	ds_load_b128 v[14:17], v37 offset:80
	ds_load_b128 v[18:21], v26 offset:976
	ds_load_b128 v[56:59], v37 offset:4688
	s_wait_dscnt 0x1
	;;#ASMSTART
	v_dot2_f32_f16 v54, v14, v18, v54
	;;#ASMEND
	;;#ASMSTART
	v_dot2_f32_f16 v54, v15, v19, v54
	;;#ASMEND
	;;#ASMSTART
	v_dot2_f32_f16 v54, v16, v20, v54
	;;#ASMEND
	;;#ASMSTART
	v_dot2_f32_f16 v54, v17, v21, v54
	;;#ASMEND
	s_wait_dscnt 0x0
	;;#ASMSTART
	v_dot2_f32_f16 v55, v56, v18, v55
	;;#ASMEND
	;;#ASMSTART
	v_dot2_f32_f16 v55, v57, v19, v55
	;;#ASMEND
	;;#ASMSTART
	v_dot2_f32_f16 v55, v58, v20, v55
	;;#ASMEND
	;;#ASMSTART
	v_dot2_f32_f16 v55, v59, v21, v55
	;;#ASMEND
	ds_load_b128 v[14:17], v37 offset:96
	ds_load_b128 v[18:21], v26 offset:992
	ds_load_b128 v[56:59], v37 offset:4704
	s_wait_dscnt 0x1
	;;#ASMSTART
	v_dot2_f32_f16 v54, v14, v18, v54
	;;#ASMEND
	;;#ASMSTART
	v_dot2_f32_f16 v54, v15, v19, v54
	;;#ASMEND
	;;#ASMSTART
	v_dot2_f32_f16 v54, v16, v20, v54
	;;#ASMEND
	;;#ASMSTART
	v_dot2_f32_f16 v54, v17, v21, v54
	;;#ASMEND
	s_wait_dscnt 0x0
	;;#ASMSTART
	v_dot2_f32_f16 v55, v56, v18, v55
	;;#ASMEND
	;;#ASMSTART
	v_dot2_f32_f16 v55, v57, v19, v55
	;;#ASMEND
	;;#ASMSTART
	v_dot2_f32_f16 v55, v58, v20, v55
	;;#ASMEND
	;;#ASMSTART
	v_dot2_f32_f16 v55, v59, v21, v55
	;;#ASMEND
	ds_load_b128 v[14:17], v37 offset:112
	ds_load_b128 v[56:59], v26 offset:1008
	ds_load_b128 v[60:63], v37 offset:4720
	s_wait_dscnt 0x1
	;;#ASMSTART
	v_dot2_f32_f16 v54, v14, v56, v54
	;;#ASMEND
	;;#ASMSTART
	v_dot2_f32_f16 v54, v15, v57, v54
	;;#ASMEND
	v_dual_cndmask_b32 v14, v27, v28 :: v_dual_lshlrev_b32 v65, 2, v65
	;;#ASMSTART
	v_dot2_f32_f16 v54, v16, v58, v54
	;;#ASMEND
	;;#ASMSTART
	v_dot2_f32_f16 v54, v17, v59, v54
	;;#ASMEND
	s_wait_dscnt 0x0
	;;#ASMSTART
	v_dot2_f32_f16 v55, v60, v56, v55
	;;#ASMEND
	;;#ASMSTART
	v_dot2_f32_f16 v55, v61, v57, v55
	;;#ASMEND
	;; [unrolled: 3-line block ×3, first 2 shown]
	v_dual_lshlrev_b32 v67, 2, v67 :: v_dual_lshlrev_b32 v68, 2, v14
	;;#ASMSTART
	v_dot2_f32_f16 v55, v63, v59, v55
	;;#ASMEND
	s_barrier_signal -1
	s_barrier_wait -1
	s_clause 0x1
	global_load_b128 v[14:17], v[10:11], off offset:1024
	global_load_b128 v[56:59], v[12:13], off offset:1024
	v_lshl_add_u64 v[20:21], s[2:3], 2, v[8:9]
	s_mul_u64 s[2:3], s[36:37], s[10:11]
	v_lshl_add_u64 v[18:19], s[44:45], 2, v[8:9]
	s_wait_loadcnt 0x1
	ds_store_b128 v34, v[14:17]
	s_wait_loadcnt 0x0
	ds_store_b128 v35, v[56:59]
	s_wait_dscnt 0x0
	s_barrier_signal -1
	s_barrier_wait -1
	ds_load_b128 v[10:13], v37
	ds_load_b128 v[14:17], v26 offset:1024
	ds_load_b128 v[56:59], v37 offset:4608
	s_wait_dscnt 0x1
	;;#ASMSTART
	v_dot2_f32_f16 v54, v10, v14, v54
	;;#ASMEND
	;;#ASMSTART
	v_dot2_f32_f16 v54, v11, v15, v54
	;;#ASMEND
	;;#ASMSTART
	v_dot2_f32_f16 v54, v12, v16, v54
	;;#ASMEND
	;;#ASMSTART
	v_dot2_f32_f16 v54, v13, v17, v54
	;;#ASMEND
	s_wait_dscnt 0x0
	;;#ASMSTART
	v_dot2_f32_f16 v55, v56, v14, v55
	;;#ASMEND
	;;#ASMSTART
	v_dot2_f32_f16 v55, v57, v15, v55
	;;#ASMEND
	;;#ASMSTART
	v_dot2_f32_f16 v55, v58, v16, v55
	;;#ASMEND
	;;#ASMSTART
	v_dot2_f32_f16 v55, v59, v17, v55
	;;#ASMEND
	ds_load_b128 v[10:13], v37 offset:16
	ds_load_b128 v[14:17], v26 offset:1040
	ds_load_b128 v[56:59], v37 offset:4624
	s_wait_dscnt 0x1
	;;#ASMSTART
	v_dot2_f32_f16 v54, v10, v14, v54
	;;#ASMEND
	;;#ASMSTART
	v_dot2_f32_f16 v54, v11, v15, v54
	;;#ASMEND
	;;#ASMSTART
	v_dot2_f32_f16 v54, v12, v16, v54
	;;#ASMEND
	;;#ASMSTART
	v_dot2_f32_f16 v54, v13, v17, v54
	;;#ASMEND
	s_wait_dscnt 0x0
	;;#ASMSTART
	v_dot2_f32_f16 v55, v56, v14, v55
	;;#ASMEND
	;;#ASMSTART
	v_dot2_f32_f16 v55, v57, v15, v55
	;;#ASMEND
	;;#ASMSTART
	v_dot2_f32_f16 v55, v58, v16, v55
	;;#ASMEND
	;;#ASMSTART
	v_dot2_f32_f16 v55, v59, v17, v55
	;;#ASMEND
	ds_load_b128 v[10:13], v37 offset:32
	;; [unrolled: 29-line block ×7, first 2 shown]
	ds_load_b128 v[14:17], v26 offset:1136
	ds_load_b128 v[56:59], v37 offset:4720
	s_wait_dscnt 0x1
	;;#ASMSTART
	v_dot2_f32_f16 v54, v10, v14, v54
	;;#ASMEND
	;;#ASMSTART
	v_dot2_f32_f16 v54, v11, v15, v54
	;;#ASMEND
	;;#ASMSTART
	v_dot2_f32_f16 v54, v12, v16, v54
	;;#ASMEND
	;;#ASMSTART
	v_dot2_f32_f16 v54, v13, v17, v54
	;;#ASMEND
	s_wait_dscnt 0x0
	;;#ASMSTART
	v_dot2_f32_f16 v55, v56, v14, v55
	;;#ASMEND
	;;#ASMSTART
	v_dot2_f32_f16 v55, v57, v15, v55
	;;#ASMEND
	;; [unrolled: 3-line block ×4, first 2 shown]
	s_clause 0x1
	global_load_u16 v10, v53, s[34:35] scale_offset
	global_load_u16 v11, v53, s[34:35] offset:64 scale_offset
	s_wait_loadcnt 0x0
	s_barrier_signal -1
	s_barrier_wait -1
	v_lshl_add_u64 v[16:17], s[2:3], 2, v[8:9]
	v_lshl_add_u64 v[12:13], s[42:43], 2, v[8:9]
	;; [unrolled: 1-line block ×3, first 2 shown]
	v_cvt_f32_f16_e32 v10, v10
	v_cvt_f32_f16_e32 v11, v11
	s_wait_xcnt 0x0
	s_delay_alu instid0(VALU_DEP_1) | instskip(NEXT) | instid1(VALU_DEP_1)
	v_dual_add_f32 v53, v54, v10 :: v_dual_add_f32 v11, v55, v11
	v_add_f32_e32 v10, 0x40051340, v53
	s_delay_alu instid0(VALU_DEP_2) | instskip(NEXT) | instid1(VALU_DEP_1)
	v_add_f32_e32 v54, 0x40051340, v11
	v_max3_num_f32 v10, v52, v10, v54
	ds_bpermute_b32 v54, v64, v10
	s_wait_dscnt 0x0
	v_max_num_f32_e32 v54, v54, v54
	s_delay_alu instid0(VALU_DEP_1) | instskip(SKIP_3) | instid1(VALU_DEP_1)
	v_max_num_f32_e32 v10, v10, v54
	ds_bpermute_b32 v54, v65, v10
	s_wait_dscnt 0x0
	v_max_num_f32_e32 v54, v54, v54
	v_max_num_f32_e32 v10, v10, v54
	ds_bpermute_b32 v54, v66, v10
	s_wait_dscnt 0x0
	v_max_num_f32_e32 v54, v54, v54
	s_delay_alu instid0(VALU_DEP_1) | instskip(SKIP_3) | instid1(VALU_DEP_1)
	v_max_num_f32_e32 v10, v10, v54
	ds_bpermute_b32 v54, v67, v10
	s_wait_dscnt 0x0
	v_max_num_f32_e32 v54, v54, v54
	v_max_num_f32_e32 v10, v10, v54
	ds_bpermute_b32 v54, v68, v10
	s_wait_dscnt 0x0
	v_max_num_f32_e32 v54, v54, v54
	s_delay_alu instid0(VALU_DEP_1) | instskip(NEXT) | instid1(VALU_DEP_1)
	v_max_num_f32_e32 v10, v10, v54
	v_dual_sub_f32 v60, v53, v10 :: v_dual_sub_f32 v61, v52, v10
	v_sub_f32_e32 v11, v11, v10
	s_delay_alu instid0(VALU_DEP_2) | instskip(NEXT) | instid1(VALU_DEP_3)
	v_cmp_ngt_f32_e64 s3, 0xc2ce8ed0, v60
	v_cmp_ngt_f32_e64 s2, 0xc2ce8ed0, v61
	s_delay_alu instid0(VALU_DEP_3) | instskip(SKIP_1) | instid1(VALU_DEP_1)
	v_cmp_ngt_f32_e32 vcc_lo, 0xc2ce8ed0, v11
	v_dual_mul_f32 v54, 0x3fb8aa3b, v61 :: v_dual_mul_f32 v53, 0x3fb8aa3b, v11
	v_fma_f32 v57, 0x3fb8aa3b, v61, -v54
	v_rndne_f32_e32 v62, v54
	s_delay_alu instid0(VALU_DEP_3) | instskip(SKIP_1) | instid1(VALU_DEP_3)
	v_fma_f32 v56, 0x3fb8aa3b, v11, -v53
	v_rndne_f32_e32 v59, v53
	v_dual_fmac_f32 v57, 0x32a5705f, v61 :: v_dual_sub_f32 v54, v54, v62
	v_mul_f32_e32 v52, 0x3fb8aa3b, v60
	s_delay_alu instid0(VALU_DEP_4) | instskip(NEXT) | instid1(VALU_DEP_3)
	v_fmac_f32_e32 v56, 0x32a5705f, v11
	v_dual_sub_f32 v53, v53, v59 :: v_dual_add_f32 v57, v54, v57
	s_delay_alu instid0(VALU_DEP_3) | instskip(SKIP_1) | instid1(VALU_DEP_3)
	v_fma_f32 v55, 0x3fb8aa3b, v60, -v52
	v_rndne_f32_e32 v58, v52
	v_add_f32_e32 v56, v53, v56
	s_delay_alu instid0(VALU_DEP_4) | instskip(NEXT) | instid1(VALU_DEP_2)
	v_exp_f32_e32 v57, v57
	v_dual_fmac_f32 v55, 0x32a5705f, v60 :: v_dual_sub_f32 v52, v52, v58
	v_cvt_i32_f32_e32 v58, v58
	s_delay_alu instid0(VALU_DEP_3) | instskip(NEXT) | instid1(VALU_DEP_2)
	v_exp_f32_e32 v56, v56
	v_add_f32_e32 v52, v52, v55
	s_delay_alu instid0(VALU_DEP_1) | instskip(SKIP_1) | instid1(TRANS32_DEP_1)
	v_exp_f32_e32 v52, v52
	v_nop
	v_ldexp_f32 v63, v52, v58
	v_cvt_i32_f32_e32 v58, v59
	v_cvt_i32_f32_e32 v59, v62
	global_load_b128 v[52:55], v[20:21], off
	v_ldexp_f32 v62, v56, v58
	v_ldexp_f32 v64, v57, v59
	global_load_b128 v[56:59], v[20:21], off offset:512
	s_wait_xcnt 0x0
	v_cndmask_b32_e64 v20, 0, v63, s3
	v_cmp_nlt_f32_e64 s3, 0x42b17218, v60
	v_cndmask_b32_e32 v21, 0, v62, vcc_lo
	v_cmp_nlt_f32_e32 vcc_lo, 0x42b17218, v11
	v_cndmask_b32_e64 v11, 0, v64, s2
	v_cmp_nlt_f32_e64 s2, 0x42b17218, v61
	v_cndmask_b32_e64 v60, 0x7f800000, v20, s3
	v_cndmask_b32_e32 v61, 0x7f800000, v21, vcc_lo
	s_delay_alu instid0(VALU_DEP_3) | instskip(NEXT) | instid1(VALU_DEP_3)
	v_cndmask_b32_e64 v11, 0x7f800000, v11, s2
	v_cvt_f16_f32_e32 v20, v60
	s_or_b32 s2, s4, 56
	s_delay_alu instid0(VALU_DEP_3)
	v_cvt_f16_f32_e32 v21, v61
	s_ashr_i32 s3, s2, 31
	v_cvt_f16_f32_e32 v62, v11
	s_mul_u64 s[2:3], s[2:3], s[10:11]
	ds_store_b16 v39, v20
	ds_store_b16 v39, v21 offset:64
	s_wait_loadcnt 0x1
	ds_store_b128 v40, v[52:55]
	s_wait_loadcnt 0x0
	ds_store_b128 v41, v[56:59]
	s_wait_dscnt 0x0
	s_barrier_signal -1
	s_barrier_wait -1
	ds_load_b128 v[52:55], v36
	v_and_b32_e32 v20, 0xffff, v62
	ds_load_2addr_b64 v[56:59], v42 offset0:64 offset1:96
	v_mul_u32_u24_e32 v62, 0x10001, v20
	s_delay_alu instid0(VALU_DEP_1)
	v_pk_mul_f16 v21, v48, v62
	v_pk_mul_f16 v20, v49, v62
	;; [unrolled: 1-line block ×6, first 2 shown]
	s_wait_dscnt 0x1
	v_and_b32_e32 v48, 0xffff, v52
	v_lshrrev_b32_e32 v52, 16, v52
	s_delay_alu instid0(VALU_DEP_2) | instskip(NEXT) | instid1(VALU_DEP_2)
	v_mul_u32_u24_e32 v48, 0x10001, v48
	v_mul_u32_u24_e32 v52, 0x10001, v52
	s_wait_dscnt 0x0
	s_delay_alu instid0(VALU_DEP_2)
	v_pk_fma_f16 v56, v56, v48, v20
	v_pk_fma_f16 v57, v57, v48, v21
	;; [unrolled: 1-line block ×4, first 2 shown]
	ds_load_2addr_b64 v[20:23], v42 offset1:32
	s_wait_dscnt 0x0
	v_pk_mul_f16 v20, v20, v48
	v_pk_mul_f16 v21, v21, v48
	v_pk_fma_f16 v51, v22, v48, v49
	v_pk_fma_f16 v50, v23, v48, v50
	v_lshl_add_u64 v[22:23], s[24:25], 2, v[8:9]
	v_pk_fma_f16 v20, v47, v62, v20
	v_pk_fma_f16 v21, v46, v62, v21
	ds_load_2addr_b64 v[46:49], v42 offset0:192 offset1:224
	s_wait_dscnt 0x0
	v_pk_fma_f16 v56, v46, v52, v56
	v_pk_fma_f16 v57, v47, v52, v57
	;; [unrolled: 1-line block ×4, first 2 shown]
	ds_load_2addr_b64 v[46:49], v42 offset0:128 offset1:160
	s_wait_dscnt 0x0
	v_pk_fma_f16 v51, v48, v52, v51
	v_pk_fma_f16 v50, v49, v52, v50
	v_pk_fma_f16 v20, v46, v52, v20
	v_pk_fma_f16 v21, v47, v52, v21
	ds_load_2addr_b64 v[46:49], v43 offset0:64 offset1:96
	v_and_b32_e32 v52, 0xffff, v53
	s_delay_alu instid0(VALU_DEP_1) | instskip(SKIP_1) | instid1(VALU_DEP_1)
	v_mul_u32_u24_e32 v52, 0x10001, v52
	s_wait_dscnt 0x0
	v_pk_fma_f16 v56, v46, v52, v56
	v_pk_fma_f16 v57, v47, v52, v57
	;; [unrolled: 1-line block ×4, first 2 shown]
	ds_load_2addr_b64 v[46:49], v43 offset1:32
	s_wait_dscnt 0x0
	v_pk_fma_f16 v51, v48, v52, v51
	v_pk_fma_f16 v50, v49, v52, v50
	v_pk_fma_f16 v20, v46, v52, v20
	v_pk_fma_f16 v21, v47, v52, v21
	ds_load_2addr_b64 v[46:49], v43 offset0:192 offset1:224
	v_lshrrev_b32_e32 v52, 16, v53
	s_delay_alu instid0(VALU_DEP_1) | instskip(SKIP_1) | instid1(VALU_DEP_1)
	v_mul_u32_u24_e32 v52, 0x10001, v52
	s_wait_dscnt 0x0
	v_pk_fma_f16 v53, v46, v52, v56
	v_pk_fma_f16 v56, v47, v52, v57
	;; [unrolled: 1-line block ×4, first 2 shown]
	ds_load_2addr_b64 v[46:49], v43 offset0:128 offset1:160
	v_add_f32_e32 v59, v60, v61
	s_wait_dscnt 0x0
	v_pk_fma_f16 v51, v48, v52, v51
	v_pk_fma_f16 v50, v49, v52, v50
	;; [unrolled: 1-line block ×4, first 2 shown]
	ds_load_2addr_b64 v[46:49], v44 offset0:64 offset1:96
	v_and_b32_e32 v52, 0xffff, v54
	s_delay_alu instid0(VALU_DEP_1) | instskip(SKIP_1) | instid1(VALU_DEP_1)
	v_mul_u32_u24_e32 v52, 0x10001, v52
	s_wait_dscnt 0x0
	v_pk_fma_f16 v53, v46, v52, v53
	v_pk_fma_f16 v56, v47, v52, v56
	;; [unrolled: 1-line block ×4, first 2 shown]
	ds_load_2addr_b64 v[46:49], v44 offset1:32
	s_wait_dscnt 0x0
	v_pk_fma_f16 v51, v48, v52, v51
	v_pk_fma_f16 v50, v49, v52, v50
	;; [unrolled: 1-line block ×4, first 2 shown]
	ds_load_2addr_b64 v[46:49], v44 offset0:192 offset1:224
	v_lshrrev_b32_e32 v52, 16, v54
	s_delay_alu instid0(VALU_DEP_1) | instskip(SKIP_1) | instid1(VALU_DEP_1)
	v_mul_u32_u24_e32 v52, 0x10001, v52
	s_wait_dscnt 0x0
	v_pk_fma_f16 v53, v46, v52, v53
	v_pk_fma_f16 v54, v47, v52, v56
	;; [unrolled: 1-line block ×4, first 2 shown]
	ds_load_2addr_b64 v[46:49], v44 offset0:128 offset1:160
	s_wait_dscnt 0x0
	v_pk_fma_f16 v51, v48, v52, v51
	v_pk_fma_f16 v50, v49, v52, v50
	;; [unrolled: 1-line block ×4, first 2 shown]
	ds_load_2addr_b64 v[46:49], v45 offset0:64 offset1:96
	v_and_b32_e32 v52, 0xffff, v55
	v_lshrrev_b32_e32 v55, 16, v55
	s_delay_alu instid0(VALU_DEP_2) | instskip(NEXT) | instid1(VALU_DEP_2)
	v_mul_u32_u24_e32 v52, 0x10001, v52
	v_mul_u32_u24_e32 v55, 0x10001, v55
	s_wait_dscnt 0x0
	s_delay_alu instid0(VALU_DEP_2)
	v_pk_fma_f16 v53, v46, v52, v53
	v_pk_fma_f16 v54, v47, v52, v54
	;; [unrolled: 1-line block ×4, first 2 shown]
	ds_load_2addr_b64 v[46:49], v45 offset1:32
	s_wait_dscnt 0x0
	v_pk_fma_f16 v51, v48, v52, v51
	v_pk_fma_f16 v50, v49, v52, v50
	;; [unrolled: 1-line block ×4, first 2 shown]
	ds_load_2addr_b64 v[46:49], v45 offset0:192 offset1:224
	v_lshl_add_u64 v[20:21], s[20:21], 2, v[8:9]
	s_wait_dscnt 0x0
	v_pk_fma_f16 v60, v46, v55, v53
	v_pk_fma_f16 v54, v47, v55, v54
	;; [unrolled: 1-line block ×4, first 2 shown]
	ds_load_2addr_b64 v[46:49], v45 offset0:128 offset1:160
	s_wait_dscnt 0x0
	s_barrier_signal -1
	s_barrier_wait -1
	v_pk_fma_f16 v61, v48, v55, v51
	v_pk_fma_f16 v62, v49, v55, v50
	;; [unrolled: 1-line block ×4, first 2 shown]
	s_clause 0x1
	global_load_b128 v[46:49], v[18:19], off
	global_load_b128 v[50:53], v[18:19], off offset:512
	s_wait_loadcnt 0x1
	ds_store_b128 v40, v[46:49]
	s_wait_loadcnt 0x0
	ds_store_b128 v41, v[50:53]
	s_wait_dscnt 0x0
	s_barrier_signal -1
	s_barrier_wait -1
	ds_load_b128 v[46:49], v36 offset:16
	ds_load_2addr_b64 v[50:53], v42 offset1:32
	s_wait_dscnt 0x1
	v_and_b32_e32 v18, 0xffff, v46
	v_lshrrev_b32_e32 v46, 16, v46
	s_delay_alu instid0(VALU_DEP_2) | instskip(SKIP_1) | instid1(VALU_DEP_1)
	v_mul_u32_u24_e32 v18, 0x10001, v18
	s_wait_dscnt 0x0
	v_pk_fma_f16 v19, v50, v18, v58
	v_pk_fma_f16 v55, v51, v18, v55
	;; [unrolled: 1-line block ×4, first 2 shown]
	ds_load_2addr_b64 v[50:53], v42 offset0:64 offset1:96
	v_lshrrev_b32_e32 v62, 16, v49
	v_mul_u32_u24_e32 v46, 0x10001, v46
	s_wait_dscnt 0x0
	v_pk_fma_f16 v60, v50, v18, v60
	v_pk_fma_f16 v54, v51, v18, v54
	;; [unrolled: 1-line block ×4, first 2 shown]
	ds_load_2addr_b64 v[50:53], v42 offset0:128 offset1:160
	s_wait_dscnt 0x0
	v_pk_fma_f16 v19, v50, v46, v19
	v_pk_fma_f16 v55, v51, v46, v55
	;; [unrolled: 1-line block ×4, first 2 shown]
	ds_load_2addr_b64 v[50:53], v42 offset0:192 offset1:224
	v_and_b32_e32 v61, 0xffff, v49
	s_delay_alu instid0(VALU_DEP_1)
	v_mul_u32_u24_e32 v61, 0x10001, v61
	s_wait_dscnt 0x0
	v_pk_fma_f16 v60, v50, v46, v60
	v_pk_fma_f16 v54, v51, v46, v54
	;; [unrolled: 1-line block ×4, first 2 shown]
	ds_load_2addr_b64 v[50:53], v43 offset1:32
	v_and_b32_e32 v46, 0xffff, v47
	s_delay_alu instid0(VALU_DEP_1) | instskip(SKIP_1) | instid1(VALU_DEP_1)
	v_mul_u32_u24_e32 v46, 0x10001, v46
	s_wait_dscnt 0x0
	v_pk_fma_f16 v19, v50, v46, v19
	v_pk_fma_f16 v55, v51, v46, v55
	;; [unrolled: 1-line block ×4, first 2 shown]
	ds_load_2addr_b64 v[50:53], v43 offset0:64 offset1:96
	s_wait_dscnt 0x0
	v_pk_fma_f16 v60, v50, v46, v60
	v_pk_fma_f16 v54, v51, v46, v54
	;; [unrolled: 1-line block ×4, first 2 shown]
	ds_load_2addr_b64 v[50:53], v43 offset0:128 offset1:160
	v_lshrrev_b32_e32 v46, 16, v47
	s_delay_alu instid0(VALU_DEP_1) | instskip(SKIP_1) | instid1(VALU_DEP_1)
	v_mul_u32_u24_e32 v46, 0x10001, v46
	s_wait_dscnt 0x0
	v_pk_fma_f16 v19, v50, v46, v19
	v_pk_fma_f16 v47, v51, v46, v55
	;; [unrolled: 1-line block ×4, first 2 shown]
	ds_load_2addr_b64 v[50:53], v43 offset0:192 offset1:224
	s_wait_dscnt 0x0
	v_pk_fma_f16 v58, v50, v46, v60
	v_pk_fma_f16 v54, v51, v46, v54
	;; [unrolled: 1-line block ×4, first 2 shown]
	ds_load_2addr_b64 v[50:53], v44 offset1:32
	v_and_b32_e32 v46, 0xffff, v48
	s_delay_alu instid0(VALU_DEP_1) | instskip(SKIP_1) | instid1(VALU_DEP_1)
	v_mul_u32_u24_e32 v46, 0x10001, v46
	s_wait_dscnt 0x0
	v_pk_fma_f16 v19, v50, v46, v19
	v_pk_fma_f16 v47, v51, v46, v47
	;; [unrolled: 1-line block ×4, first 2 shown]
	ds_load_2addr_b64 v[50:53], v44 offset0:64 offset1:96
	s_wait_dscnt 0x0
	v_pk_fma_f16 v58, v50, v46, v58
	v_pk_fma_f16 v54, v51, v46, v54
	;; [unrolled: 1-line block ×4, first 2 shown]
	ds_load_2addr_b64 v[50:53], v44 offset0:128 offset1:160
	v_lshrrev_b32_e32 v46, 16, v48
	s_delay_alu instid0(VALU_DEP_1) | instskip(SKIP_1) | instid1(VALU_DEP_1)
	v_mul_u32_u24_e32 v46, 0x10001, v46
	s_wait_dscnt 0x0
	v_pk_fma_f16 v19, v50, v46, v19
	v_pk_fma_f16 v60, v51, v46, v47
	;; [unrolled: 1-line block ×4, first 2 shown]
	ds_load_2addr_b64 v[50:53], v44 offset0:192 offset1:224
	s_wait_dscnt 0x0
	v_pk_fma_f16 v58, v50, v46, v58
	v_pk_fma_f16 v54, v51, v46, v54
	v_pk_fma_f16 v56, v52, v46, v56
	v_pk_fma_f16 v18, v53, v46, v18
	ds_load_2addr_b64 v[50:53], v45 offset1:32
	ds_load_2addr_b64 v[46:49], v45 offset0:64 offset1:96
	s_wait_dscnt 0x1
	v_pk_fma_f16 v19, v50, v61, v19
	v_pk_fma_f16 v60, v51, v61, v60
	;; [unrolled: 1-line block ×4, first 2 shown]
	ds_load_2addr_b64 v[50:53], v45 offset0:128 offset1:160
	s_wait_dscnt 0x1
	v_pk_fma_f16 v58, v46, v61, v58
	v_pk_fma_f16 v54, v47, v61, v54
	;; [unrolled: 1-line block ×4, first 2 shown]
	ds_load_2addr_b64 v[46:49], v45 offset0:192 offset1:224
	v_mul_u32_u24_e32 v61, 0x10001, v62
	s_wait_dscnt 0x0
	s_barrier_signal -1
	s_barrier_wait -1
	s_delay_alu instid0(VALU_DEP_1)
	v_pk_fma_f16 v19, v50, v61, v19
	v_pk_fma_f16 v60, v51, v61, v60
	;; [unrolled: 1-line block ×4, first 2 shown]
	global_load_b128 v[50:53], v[12:13], off
	v_pk_fma_f16 v58, v46, v61, v58
	v_pk_fma_f16 v54, v47, v61, v54
	;; [unrolled: 1-line block ×4, first 2 shown]
	global_load_b128 v[46:49], v[12:13], off offset:512
	s_wait_loadcnt 0x1
	ds_store_b128 v40, v[50:53]
	s_wait_loadcnt 0x0
	ds_store_b128 v41, v[46:49]
	s_wait_dscnt 0x0
	s_barrier_signal -1
	s_barrier_wait -1
	ds_load_b128 v[46:49], v36 offset:32
	ds_load_2addr_b64 v[50:53], v42 offset1:32
	s_wait_dscnt 0x1
	v_and_b32_e32 v12, 0xffff, v46
	s_delay_alu instid0(VALU_DEP_1) | instskip(SKIP_1) | instid1(VALU_DEP_1)
	v_mul_u32_u24_e32 v12, 0x10001, v12
	s_wait_dscnt 0x0
	v_pk_fma_f16 v13, v50, v12, v19
	v_pk_fma_f16 v19, v51, v12, v60
	v_pk_fma_f16 v55, v52, v12, v55
	v_pk_fma_f16 v57, v53, v12, v57
	ds_load_2addr_b64 v[50:53], v42 offset0:64 offset1:96
	s_wait_dscnt 0x0
	v_pk_fma_f16 v58, v50, v12, v58
	v_pk_fma_f16 v54, v51, v12, v54
	v_pk_fma_f16 v56, v52, v12, v56
	v_pk_fma_f16 v12, v53, v12, v18
	ds_load_2addr_b64 v[50:53], v42 offset0:128 offset1:160
	v_lshrrev_b32_e32 v18, 16, v46
	s_delay_alu instid0(VALU_DEP_1) | instskip(SKIP_1) | instid1(VALU_DEP_1)
	v_mul_u32_u24_e32 v18, 0x10001, v18
	s_wait_dscnt 0x0
	v_pk_fma_f16 v13, v50, v18, v13
	v_pk_fma_f16 v19, v51, v18, v19
	v_pk_fma_f16 v46, v52, v18, v55
	v_pk_fma_f16 v55, v53, v18, v57
	ds_load_2addr_b64 v[50:53], v42 offset0:192 offset1:224
	s_wait_dscnt 0x0
	v_pk_fma_f16 v57, v50, v18, v58
	v_pk_fma_f16 v54, v51, v18, v54
	v_pk_fma_f16 v56, v52, v18, v56
	v_pk_fma_f16 v12, v53, v18, v12
	ds_load_2addr_b64 v[50:53], v43 offset1:32
	v_and_b32_e32 v18, 0xffff, v47
	s_delay_alu instid0(VALU_DEP_1) | instskip(SKIP_1) | instid1(VALU_DEP_1)
	v_mul_u32_u24_e32 v18, 0x10001, v18
	s_wait_dscnt 0x0
	v_pk_fma_f16 v13, v50, v18, v13
	v_pk_fma_f16 v19, v51, v18, v19
	v_pk_fma_f16 v46, v52, v18, v46
	v_pk_fma_f16 v55, v53, v18, v55
	ds_load_2addr_b64 v[50:53], v43 offset0:64 offset1:96
	s_wait_dscnt 0x0
	v_pk_fma_f16 v57, v50, v18, v57
	v_pk_fma_f16 v54, v51, v18, v54
	v_pk_fma_f16 v56, v52, v18, v56
	v_pk_fma_f16 v12, v53, v18, v12
	ds_load_2addr_b64 v[50:53], v43 offset0:128 offset1:160
	v_lshrrev_b32_e32 v18, 16, v47
	s_delay_alu instid0(VALU_DEP_1) | instskip(SKIP_1) | instid1(VALU_DEP_1)
	v_mul_u32_u24_e32 v18, 0x10001, v18
	s_wait_dscnt 0x0
	v_pk_fma_f16 v13, v50, v18, v13
	v_pk_fma_f16 v19, v51, v18, v19
	v_pk_fma_f16 v46, v52, v18, v46
	v_pk_fma_f16 v47, v53, v18, v55
	ds_load_2addr_b64 v[50:53], v43 offset0:192 offset1:224
	s_wait_dscnt 0x0
	v_pk_fma_f16 v55, v50, v18, v57
	v_pk_fma_f16 v54, v51, v18, v54
	v_pk_fma_f16 v56, v52, v18, v56
	v_pk_fma_f16 v12, v53, v18, v12
	ds_load_2addr_b64 v[50:53], v44 offset1:32
	;; [unrolled: 30-line block ×3, first 2 shown]
	v_and_b32_e32 v18, 0xffff, v49
	s_delay_alu instid0(VALU_DEP_1) | instskip(SKIP_1) | instid1(VALU_DEP_1)
	v_mul_u32_u24_e32 v18, 0x10001, v18
	s_wait_dscnt 0x0
	v_pk_fma_f16 v13, v50, v18, v13
	v_pk_fma_f16 v19, v51, v18, v19
	;; [unrolled: 1-line block ×4, first 2 shown]
	ds_load_2addr_b64 v[50:53], v45 offset0:64 offset1:96
	s_wait_dscnt 0x0
	v_pk_fma_f16 v58, v50, v18, v48
	v_pk_fma_f16 v60, v51, v18, v54
	;; [unrolled: 1-line block ×4, first 2 shown]
	ds_load_2addr_b64 v[50:53], v45 offset0:128 offset1:160
	ds_load_2addr_b64 v[54:57], v45 offset0:192 offset1:224
	v_lshrrev_b32_e32 v18, 16, v49
	s_wait_dscnt 0x0
	s_barrier_signal -1
	s_barrier_wait -1
	s_delay_alu instid0(VALU_DEP_1) | instskip(NEXT) | instid1(VALU_DEP_1)
	v_mul_u32_u24_e32 v18, 0x10001, v18
	v_pk_fma_f16 v62, v50, v18, v13
	v_pk_fma_f16 v19, v51, v18, v19
	;; [unrolled: 1-line block ×4, first 2 shown]
	s_clause 0x1
	global_load_b128 v[46:49], v[14:15], off
	global_load_b128 v[50:53], v[14:15], off offset:512
	v_pk_fma_f16 v54, v54, v18, v58
	v_pk_fma_f16 v55, v55, v18, v60
	;; [unrolled: 1-line block ×4, first 2 shown]
	s_wait_loadcnt 0x1
	ds_store_b128 v40, v[46:49]
	s_wait_loadcnt 0x0
	ds_store_b128 v41, v[50:53]
	s_wait_dscnt 0x0
	s_barrier_signal -1
	s_barrier_wait -1
	ds_load_b128 v[12:15], v36 offset:48
	ds_load_2addr_b64 v[46:49], v42 offset1:32
	ds_load_2addr_b64 v[50:53], v42 offset0:64 offset1:96
	s_wait_dscnt 0x2
	v_and_b32_e32 v57, 0xffff, v12
	v_lshrrev_b32_e32 v12, 16, v12
	s_delay_alu instid0(VALU_DEP_2) | instskip(NEXT) | instid1(VALU_DEP_2)
	v_mul_u32_u24_e32 v57, 0x10001, v57
	v_mul_u32_u24_e32 v12, 0x10001, v12
	s_wait_dscnt 0x1
	s_delay_alu instid0(VALU_DEP_2)
	v_pk_fma_f16 v58, v46, v57, v62
	v_pk_fma_f16 v19, v47, v57, v19
	;; [unrolled: 1-line block ×4, first 2 shown]
	ds_load_2addr_b64 v[46:49], v42 offset0:128 offset1:160
	s_wait_dscnt 0x1
	v_pk_fma_f16 v54, v50, v57, v54
	v_pk_fma_f16 v55, v51, v57, v55
	;; [unrolled: 1-line block ×4, first 2 shown]
	ds_load_2addr_b64 v[50:53], v42 offset0:192 offset1:224
	v_lshrrev_b32_e32 v62, 16, v15
	s_wait_dscnt 0x1
	v_pk_fma_f16 v57, v46, v12, v58
	v_pk_fma_f16 v19, v47, v12, v19
	;; [unrolled: 1-line block ×4, first 2 shown]
	ds_load_2addr_b64 v[46:49], v43 offset1:32
	s_wait_dscnt 0x1
	v_pk_fma_f16 v54, v50, v12, v54
	v_pk_fma_f16 v55, v51, v12, v55
	;; [unrolled: 1-line block ×4, first 2 shown]
	ds_load_2addr_b64 v[50:53], v43 offset0:64 offset1:96
	v_and_b32_e32 v18, 0xffff, v13
	v_lshrrev_b32_e32 v13, 16, v13
	v_and_b32_e32 v61, 0xffff, v15
	s_delay_alu instid0(VALU_DEP_3) | instskip(NEXT) | instid1(VALU_DEP_3)
	v_mul_u32_u24_e32 v18, 0x10001, v18
	v_mul_u32_u24_e32 v13, 0x10001, v13
	s_delay_alu instid0(VALU_DEP_3) | instskip(SKIP_1) | instid1(VALU_DEP_3)
	v_mul_u32_u24_e32 v61, 0x10001, v61
	s_wait_dscnt 0x1
	v_pk_fma_f16 v57, v46, v18, v57
	v_pk_fma_f16 v19, v47, v18, v19
	;; [unrolled: 1-line block ×4, first 2 shown]
	ds_load_2addr_b64 v[46:49], v43 offset0:128 offset1:160
	s_wait_dscnt 0x1
	v_pk_fma_f16 v54, v50, v18, v54
	v_pk_fma_f16 v55, v51, v18, v55
	;; [unrolled: 1-line block ×4, first 2 shown]
	ds_load_2addr_b64 v[50:53], v43 offset0:192 offset1:224
	s_wait_dscnt 0x1
	v_pk_fma_f16 v18, v46, v13, v57
	v_pk_fma_f16 v19, v47, v13, v19
	;; [unrolled: 1-line block ×4, first 2 shown]
	ds_load_2addr_b64 v[46:49], v44 offset1:32
	s_wait_dscnt 0x1
	v_pk_fma_f16 v54, v50, v13, v54
	v_pk_fma_f16 v55, v51, v13, v55
	;; [unrolled: 1-line block ×4, first 2 shown]
	ds_load_2addr_b64 v[50:53], v44 offset0:64 offset1:96
	v_and_b32_e32 v13, 0xffff, v14
	s_delay_alu instid0(VALU_DEP_1) | instskip(SKIP_1) | instid1(VALU_DEP_1)
	v_mul_u32_u24_e32 v13, 0x10001, v13
	s_wait_dscnt 0x1
	v_pk_fma_f16 v18, v46, v13, v18
	v_pk_fma_f16 v19, v47, v13, v19
	;; [unrolled: 1-line block ×4, first 2 shown]
	ds_load_2addr_b64 v[46:49], v44 offset0:128 offset1:160
	s_wait_dscnt 0x1
	v_pk_fma_f16 v54, v50, v13, v54
	v_pk_fma_f16 v55, v51, v13, v55
	;; [unrolled: 1-line block ×4, first 2 shown]
	ds_load_2addr_b64 v[50:53], v44 offset0:192 offset1:224
	v_lshrrev_b32_e32 v13, 16, v14
	s_delay_alu instid0(VALU_DEP_1) | instskip(SKIP_1) | instid1(VALU_DEP_1)
	v_mul_u32_u24_e32 v13, 0x10001, v13
	s_wait_dscnt 0x1
	v_pk_fma_f16 v18, v46, v13, v18
	v_pk_fma_f16 v19, v47, v13, v19
	;; [unrolled: 1-line block ×4, first 2 shown]
	ds_load_2addr_b64 v[46:49], v45 offset1:32
	s_wait_dscnt 0x1
	v_pk_fma_f16 v54, v50, v13, v54
	v_pk_fma_f16 v55, v51, v13, v55
	v_pk_fma_f16 v56, v52, v13, v56
	v_pk_fma_f16 v60, v53, v13, v12
	ds_load_2addr_b64 v[50:53], v45 offset0:64 offset1:96
	ds_load_2addr_b64 v[12:15], v45 offset0:128 offset1:160
	s_wait_dscnt 0x2
	v_pk_fma_f16 v18, v46, v61, v18
	v_pk_fma_f16 v19, v47, v61, v19
	;; [unrolled: 1-line block ×4, first 2 shown]
	ds_load_2addr_b64 v[46:49], v45 offset0:192 offset1:224
	s_wait_dscnt 0x2
	v_pk_fma_f16 v54, v50, v61, v54
	v_pk_fma_f16 v55, v51, v61, v55
	;; [unrolled: 1-line block ×4, first 2 shown]
	v_mul_u32_u24_e32 v61, 0x10001, v62
	s_wait_dscnt 0x0
	s_barrier_signal -1
	s_barrier_wait -1
	global_load_b128 v[50:53], v[16:17], off
	v_pk_fma_f16 v62, v12, v61, v18
	v_pk_fma_f16 v63, v13, v61, v19
	;; [unrolled: 1-line block ×4, first 2 shown]
	global_load_b128 v[12:15], v[16:17], off offset:512
	s_wait_loadcnt 0x1
	ds_store_b128 v40, v[50:53]
	s_wait_loadcnt 0x0
	ds_store_b128 v41, v[12:15]
	v_pk_fma_f16 v54, v46, v61, v54
	v_pk_fma_f16 v55, v47, v61, v55
	;; [unrolled: 1-line block ×4, first 2 shown]
	s_wait_dscnt 0x0
	s_barrier_signal -1
	s_barrier_wait -1
	ds_load_b128 v[12:15], v36 offset:64
	ds_load_2addr_b64 v[16:19], v42 offset1:32
	ds_load_2addr_b64 v[46:49], v42 offset0:64 offset1:96
	s_wait_dscnt 0x2
	v_and_b32_e32 v50, 0xffff, v12
	v_lshrrev_b32_e32 v12, 16, v12
	s_delay_alu instid0(VALU_DEP_2) | instskip(NEXT) | instid1(VALU_DEP_2)
	v_mul_u32_u24_e32 v50, 0x10001, v50
	v_mul_u32_u24_e32 v12, 0x10001, v12
	s_wait_dscnt 0x1
	s_delay_alu instid0(VALU_DEP_2)
	v_pk_fma_f16 v51, v16, v50, v62
	v_pk_fma_f16 v52, v17, v50, v63
	;; [unrolled: 1-line block ×4, first 2 shown]
	ds_load_2addr_b64 v[16:19], v42 offset0:128 offset1:160
	s_wait_dscnt 0x1
	v_pk_fma_f16 v54, v46, v50, v54
	v_pk_fma_f16 v55, v47, v50, v55
	;; [unrolled: 1-line block ×4, first 2 shown]
	ds_load_2addr_b64 v[46:49], v42 offset0:192 offset1:224
	v_lshrrev_b32_e32 v63, 16, v15
	s_wait_dscnt 0x1
	v_pk_fma_f16 v51, v16, v12, v51
	v_pk_fma_f16 v52, v17, v12, v52
	;; [unrolled: 1-line block ×4, first 2 shown]
	ds_load_2addr_b64 v[16:19], v43 offset1:32
	s_wait_dscnt 0x1
	v_pk_fma_f16 v54, v46, v12, v54
	v_pk_fma_f16 v55, v47, v12, v55
	;; [unrolled: 1-line block ×4, first 2 shown]
	ds_load_2addr_b64 v[46:49], v43 offset0:64 offset1:96
	v_and_b32_e32 v50, 0xffff, v13
	v_lshrrev_b32_e32 v13, 16, v13
	s_delay_alu instid0(VALU_DEP_2) | instskip(NEXT) | instid1(VALU_DEP_2)
	v_mul_u32_u24_e32 v50, 0x10001, v50
	v_mul_u32_u24_e32 v13, 0x10001, v13
	s_wait_dscnt 0x1
	s_delay_alu instid0(VALU_DEP_2)
	v_pk_fma_f16 v51, v16, v50, v51
	v_pk_fma_f16 v52, v17, v50, v52
	;; [unrolled: 1-line block ×4, first 2 shown]
	ds_load_2addr_b64 v[16:19], v43 offset0:128 offset1:160
	s_wait_dscnt 0x1
	v_pk_fma_f16 v54, v46, v50, v54
	v_pk_fma_f16 v55, v47, v50, v55
	;; [unrolled: 1-line block ×4, first 2 shown]
	ds_load_2addr_b64 v[46:49], v43 offset0:192 offset1:224
	s_wait_dscnt 0x1
	v_pk_fma_f16 v50, v16, v13, v51
	v_pk_fma_f16 v51, v17, v13, v52
	;; [unrolled: 1-line block ×4, first 2 shown]
	ds_load_2addr_b64 v[16:19], v44 offset1:32
	s_wait_dscnt 0x1
	v_pk_fma_f16 v54, v46, v13, v54
	v_pk_fma_f16 v55, v47, v13, v55
	;; [unrolled: 1-line block ×4, first 2 shown]
	ds_load_2addr_b64 v[46:49], v44 offset0:64 offset1:96
	v_and_b32_e32 v13, 0xffff, v14
	s_delay_alu instid0(VALU_DEP_1) | instskip(SKIP_1) | instid1(VALU_DEP_1)
	v_mul_u32_u24_e32 v13, 0x10001, v13
	s_wait_dscnt 0x1
	v_pk_fma_f16 v50, v16, v13, v50
	v_pk_fma_f16 v51, v17, v13, v51
	;; [unrolled: 1-line block ×4, first 2 shown]
	ds_load_2addr_b64 v[16:19], v44 offset0:128 offset1:160
	s_wait_dscnt 0x1
	v_pk_fma_f16 v54, v46, v13, v54
	v_pk_fma_f16 v55, v47, v13, v55
	;; [unrolled: 1-line block ×4, first 2 shown]
	ds_load_2addr_b64 v[46:49], v44 offset0:192 offset1:224
	v_lshrrev_b32_e32 v13, 16, v14
	s_delay_alu instid0(VALU_DEP_1) | instskip(SKIP_1) | instid1(VALU_DEP_1)
	v_mul_u32_u24_e32 v13, 0x10001, v13
	s_wait_dscnt 0x1
	v_pk_fma_f16 v14, v16, v13, v50
	v_pk_fma_f16 v50, v17, v13, v51
	v_pk_fma_f16 v51, v18, v13, v52
	v_pk_fma_f16 v52, v19, v13, v53
	ds_load_2addr_b64 v[16:19], v45 offset1:32
	s_wait_dscnt 0x1
	v_pk_fma_f16 v53, v46, v13, v54
	v_pk_fma_f16 v54, v47, v13, v55
	;; [unrolled: 1-line block ×4, first 2 shown]
	ds_load_2addr_b64 v[46:49], v45 offset0:64 offset1:96
	v_and_b32_e32 v13, 0xffff, v15
	s_delay_alu instid0(VALU_DEP_1) | instskip(SKIP_1) | instid1(VALU_DEP_1)
	v_mul_u32_u24_e32 v13, 0x10001, v13
	s_wait_dscnt 0x1
	v_pk_fma_f16 v56, v16, v13, v14
	v_pk_fma_f16 v57, v17, v13, v50
	;; [unrolled: 1-line block ×4, first 2 shown]
	ds_load_2addr_b64 v[16:19], v45 offset0:128 offset1:160
	s_wait_dscnt 0x1
	v_pk_fma_f16 v61, v46, v13, v53
	v_pk_fma_f16 v54, v47, v13, v54
	v_pk_fma_f16 v55, v48, v13, v55
	v_pk_fma_f16 v62, v49, v13, v12
	ds_load_2addr_b64 v[46:49], v45 offset0:192 offset1:224
	s_wait_dscnt 0x0
	s_barrier_signal -1
	s_barrier_wait -1
	s_clause 0x1
	global_load_b128 v[50:53], v[22:23], off
	global_load_b128 v[12:15], v[22:23], off offset:512
	s_wait_xcnt 0x0
	v_mul_u32_u24_e32 v22, 0x10001, v63
	s_wait_loadcnt 0x1
	ds_store_b128 v40, v[50:53]
	s_wait_loadcnt 0x0
	ds_store_b128 v41, v[12:15]
	v_pk_fma_f16 v23, v16, v22, v56
	v_pk_fma_f16 v56, v17, v22, v57
	v_pk_fma_f16 v57, v18, v22, v58
	v_pk_fma_f16 v58, v19, v22, v60
	v_pk_fma_f16 v60, v46, v22, v61
	v_pk_fma_f16 v54, v47, v22, v54
	v_pk_fma_f16 v55, v48, v22, v55
	v_pk_fma_f16 v22, v49, v22, v62
	s_wait_dscnt 0x0
	s_barrier_signal -1
	s_barrier_wait -1
	ds_load_b128 v[12:15], v36 offset:80
	ds_load_2addr_b64 v[16:19], v42 offset1:32
	ds_load_2addr_b64 v[46:49], v42 offset0:64 offset1:96
	ds_load_2addr_b64 v[50:53], v42 offset0:128 offset1:160
	s_wait_dscnt 0x3
	v_and_b32_e32 v61, 0xffff, v12
	v_lshrrev_b32_e32 v12, 16, v12
	s_delay_alu instid0(VALU_DEP_2) | instskip(NEXT) | instid1(VALU_DEP_2)
	v_mul_u32_u24_e32 v61, 0x10001, v61
	v_mul_u32_u24_e32 v12, 0x10001, v12
	s_wait_dscnt 0x2
	s_delay_alu instid0(VALU_DEP_2)
	v_pk_fma_f16 v23, v16, v61, v23
	v_pk_fma_f16 v56, v17, v61, v56
	v_pk_fma_f16 v57, v18, v61, v57
	v_pk_fma_f16 v58, v19, v61, v58
	ds_load_2addr_b64 v[16:19], v42 offset0:192 offset1:224
	s_wait_dscnt 0x2
	v_pk_fma_f16 v60, v46, v61, v60
	v_pk_fma_f16 v54, v47, v61, v54
	;; [unrolled: 1-line block ×4, first 2 shown]
	ds_load_2addr_b64 v[46:49], v43 offset1:32
	s_wait_dscnt 0x2
	v_pk_fma_f16 v23, v50, v12, v23
	v_pk_fma_f16 v56, v51, v12, v56
	;; [unrolled: 1-line block ×4, first 2 shown]
	ds_load_2addr_b64 v[50:53], v43 offset0:64 offset1:96
	s_wait_dscnt 0x2
	v_pk_fma_f16 v60, v16, v12, v60
	v_pk_fma_f16 v54, v17, v12, v54
	;; [unrolled: 1-line block ×4, first 2 shown]
	ds_load_2addr_b64 v[16:19], v43 offset0:128 offset1:160
	v_and_b32_e32 v22, 0xffff, v13
	v_lshrrev_b32_e32 v13, 16, v13
	s_delay_alu instid0(VALU_DEP_2) | instskip(NEXT) | instid1(VALU_DEP_2)
	v_mul_u32_u24_e32 v22, 0x10001, v22
	v_mul_u32_u24_e32 v13, 0x10001, v13
	s_wait_dscnt 0x2
	s_delay_alu instid0(VALU_DEP_2)
	v_pk_fma_f16 v23, v46, v22, v23
	v_pk_fma_f16 v56, v47, v22, v56
	;; [unrolled: 1-line block ×4, first 2 shown]
	ds_load_2addr_b64 v[46:49], v43 offset0:192 offset1:224
	s_wait_dscnt 0x2
	v_pk_fma_f16 v60, v50, v22, v60
	v_pk_fma_f16 v54, v51, v22, v54
	;; [unrolled: 1-line block ×4, first 2 shown]
	ds_load_2addr_b64 v[50:53], v44 offset1:32
	s_wait_dscnt 0x2
	v_pk_fma_f16 v22, v16, v13, v23
	v_pk_fma_f16 v23, v17, v13, v56
	;; [unrolled: 1-line block ×4, first 2 shown]
	ds_load_2addr_b64 v[16:19], v44 offset0:64 offset1:96
	s_wait_dscnt 0x2
	v_pk_fma_f16 v58, v46, v13, v60
	v_pk_fma_f16 v54, v47, v13, v54
	;; [unrolled: 1-line block ×4, first 2 shown]
	ds_load_2addr_b64 v[46:49], v44 offset0:128 offset1:160
	v_and_b32_e32 v13, 0xffff, v14
	s_delay_alu instid0(VALU_DEP_1) | instskip(SKIP_1) | instid1(VALU_DEP_1)
	v_mul_u32_u24_e32 v13, 0x10001, v13
	s_wait_dscnt 0x2
	v_pk_fma_f16 v22, v50, v13, v22
	v_pk_fma_f16 v23, v51, v13, v23
	;; [unrolled: 1-line block ×4, first 2 shown]
	ds_load_2addr_b64 v[50:53], v44 offset0:192 offset1:224
	s_wait_dscnt 0x2
	v_pk_fma_f16 v58, v16, v13, v58
	v_pk_fma_f16 v54, v17, v13, v54
	;; [unrolled: 1-line block ×4, first 2 shown]
	v_lshrrev_b32_e32 v13, 16, v14
	ds_load_2addr_b64 v[16:19], v45 offset1:32
	v_mul_u32_u24_e32 v13, 0x10001, v13
	s_wait_dscnt 0x2
	s_delay_alu instid0(VALU_DEP_1)
	v_pk_fma_f16 v14, v46, v13, v22
	v_pk_fma_f16 v22, v47, v13, v23
	v_pk_fma_f16 v23, v48, v13, v56
	v_pk_fma_f16 v56, v49, v13, v57
	ds_load_2addr_b64 v[46:49], v45 offset0:64 offset1:96
	s_wait_dscnt 0x2
	v_pk_fma_f16 v57, v50, v13, v58
	v_pk_fma_f16 v54, v51, v13, v54
	;; [unrolled: 1-line block ×4, first 2 shown]
	v_and_b32_e32 v13, 0xffff, v15
	ds_load_2addr_b64 v[50:53], v45 offset0:128 offset1:160
	v_mul_u32_u24_e32 v13, 0x10001, v13
	s_wait_dscnt 0x2
	s_delay_alu instid0(VALU_DEP_1)
	v_pk_fma_f16 v14, v16, v13, v14
	v_pk_fma_f16 v22, v17, v13, v22
	;; [unrolled: 1-line block ×4, first 2 shown]
	ds_load_2addr_b64 v[16:19], v45 offset0:192 offset1:224
	s_wait_dscnt 0x0
	s_barrier_signal -1
	s_barrier_wait -1
	v_pk_fma_f16 v61, v46, v13, v57
	v_pk_fma_f16 v62, v47, v13, v54
	;; [unrolled: 1-line block ×4, first 2 shown]
	s_clause 0x1
	global_load_b128 v[46:49], v[20:21], off
	global_load_b128 v[54:57], v[20:21], off offset:512
	v_dual_mov_b32 v13, v33 :: v_dual_mov_b32 v33, v59
	s_wait_loadcnt 0x1
	ds_store_b128 v40, v[46:49]
	s_wait_loadcnt 0x0
	ds_store_b128 v41, v[54:57]
	v_fmac_f32_e32 v33, v13, v11
	v_lshrrev_b32_e32 v11, 16, v15
	s_wait_dscnt 0x0
	s_barrier_signal -1
	s_barrier_wait -1
	s_delay_alu instid0(VALU_DEP_1) | instskip(SKIP_1) | instid1(VALU_DEP_2)
	v_mul_u32_u24_e32 v11, 0x10001, v11
	v_lshl_add_u64 v[58:59], s[2:3], 2, v[8:9]
	v_pk_fma_f16 v50, v50, v11, v14
	v_pk_fma_f16 v51, v51, v11, v22
	;; [unrolled: 1-line block ×8, first 2 shown]
	ds_load_b128 v[12:15], v36 offset:96
	ds_load_2addr_b64 v[16:19], v42 offset1:32
	ds_load_2addr_b64 v[20:23], v42 offset0:64 offset1:96
	ds_load_2addr_b64 v[46:49], v42 offset0:128 offset1:160
	s_wait_dscnt 0x3
	v_and_b32_e32 v54, 0xffff, v12
	v_lshrrev_b32_e32 v12, 16, v12
	s_delay_alu instid0(VALU_DEP_2) | instskip(NEXT) | instid1(VALU_DEP_2)
	v_mul_u32_u24_e32 v54, 0x10001, v54
	v_mul_u32_u24_e32 v12, 0x10001, v12
	s_wait_dscnt 0x2
	s_delay_alu instid0(VALU_DEP_2)
	v_pk_fma_f16 v50, v16, v54, v50
	v_pk_fma_f16 v51, v17, v54, v51
	;; [unrolled: 1-line block ×4, first 2 shown]
	ds_load_2addr_b64 v[16:19], v42 offset0:192 offset1:224
	s_wait_dscnt 0x2
	v_pk_fma_f16 v55, v20, v54, v60
	v_pk_fma_f16 v56, v21, v54, v61
	;; [unrolled: 1-line block ×4, first 2 shown]
	ds_load_2addr_b64 v[20:23], v43 offset1:32
	s_wait_dscnt 0x2
	v_pk_fma_f16 v50, v46, v12, v50
	v_pk_fma_f16 v51, v47, v12, v51
	;; [unrolled: 1-line block ×4, first 2 shown]
	ds_load_2addr_b64 v[46:49], v43 offset0:64 offset1:96
	v_dual_lshrrev_b32 v60, 16, v14 :: v_dual_lshrrev_b32 v61, 16, v15
	v_and_b32_e32 v62, 0xffff, v15
	s_wait_dscnt 0x2
	v_pk_fma_f16 v54, v16, v12, v55
	v_pk_fma_f16 v55, v17, v12, v56
	;; [unrolled: 1-line block ×4, first 2 shown]
	v_and_b32_e32 v12, 0xffff, v13
	ds_load_2addr_b64 v[16:19], v43 offset0:128 offset1:160
	v_and_b32_e32 v57, 0xffff, v14
	v_mul_u32_u24_e32 v12, 0x10001, v12
	s_delay_alu instid0(VALU_DEP_2) | instskip(SKIP_1) | instid1(VALU_DEP_2)
	v_mul_u32_u24_e32 v57, 0x10001, v57
	s_wait_dscnt 0x2
	v_pk_fma_f16 v50, v20, v12, v50
	v_pk_fma_f16 v51, v21, v12, v51
	;; [unrolled: 1-line block ×4, first 2 shown]
	ds_load_2addr_b64 v[20:23], v43 offset0:192 offset1:224
	s_wait_dscnt 0x2
	v_pk_fma_f16 v54, v46, v12, v54
	v_pk_fma_f16 v55, v47, v12, v55
	;; [unrolled: 1-line block ×4, first 2 shown]
	ds_load_2addr_b64 v[46:49], v44 offset1:32
	v_lshrrev_b32_e32 v12, 16, v13
	s_delay_alu instid0(VALU_DEP_1) | instskip(SKIP_1) | instid1(VALU_DEP_1)
	v_mul_u32_u24_e32 v12, 0x10001, v12
	s_wait_dscnt 0x2
	v_pk_fma_f16 v50, v16, v12, v50
	v_pk_fma_f16 v51, v17, v12, v51
	;; [unrolled: 1-line block ×4, first 2 shown]
	ds_load_2addr_b64 v[16:19], v44 offset0:64 offset1:96
	s_wait_dscnt 0x2
	v_pk_fma_f16 v54, v20, v12, v54
	v_pk_fma_f16 v55, v21, v12, v55
	;; [unrolled: 1-line block ×4, first 2 shown]
	ds_load_2addr_b64 v[20:23], v44 offset0:128 offset1:160
	ds_load_2addr_b64 v[12:15], v44 offset0:192 offset1:224
	s_wait_dscnt 0x3
	v_pk_fma_f16 v50, v46, v57, v50
	v_pk_fma_f16 v51, v47, v57, v51
	;; [unrolled: 1-line block ×4, first 2 shown]
	ds_load_2addr_b64 v[46:49], v45 offset1:32
	s_wait_dscnt 0x3
	v_pk_fma_f16 v54, v16, v57, v54
	v_pk_fma_f16 v55, v17, v57, v55
	;; [unrolled: 1-line block ×4, first 2 shown]
	v_mul_u32_u24_e32 v57, 0x10001, v60
	ds_load_2addr_b64 v[16:19], v45 offset0:64 offset1:96
	s_wait_dscnt 0x3
	v_pk_fma_f16 v50, v20, v57, v50
	v_pk_fma_f16 v51, v21, v57, v51
	;; [unrolled: 1-line block ×4, first 2 shown]
	s_wait_dscnt 0x2
	v_pk_fma_f16 v54, v12, v57, v54
	v_pk_fma_f16 v55, v13, v57, v55
	;; [unrolled: 1-line block ×4, first 2 shown]
	v_mul_u32_u24_e32 v57, 0x10001, v62
	ds_load_2addr_b64 v[20:23], v45 offset0:128 offset1:160
	ds_load_2addr_b64 v[12:15], v45 offset0:192 offset1:224
	s_wait_dscnt 0x0
	s_barrier_signal -1
	s_barrier_wait -1
	v_pk_fma_f16 v60, v46, v57, v50
	v_pk_fma_f16 v62, v47, v57, v51
	;; [unrolled: 1-line block ×4, first 2 shown]
	s_clause 0x1
	global_load_b128 v[46:49], v[58:59], off
	global_load_b128 v[50:53], v[58:59], off offset:512
	s_wait_xcnt 0x0
	v_mul_u32_u24_e32 v58, 0x10001, v61
	v_pk_fma_f16 v16, v16, v57, v54
	v_pk_fma_f16 v17, v17, v57, v55
	v_pk_fma_f16 v18, v18, v57, v56
	v_pk_fma_f16 v11, v19, v57, v11
	s_wait_loadcnt 0x1
	ds_store_b128 v40, v[46:49]
	s_wait_loadcnt 0x0
	ds_store_b128 v41, v[50:53]
	v_pk_fma_f16 v54, v20, v58, v60
	v_pk_fma_f16 v55, v21, v58, v62
	;; [unrolled: 1-line block ×8, first 2 shown]
	s_wait_dscnt 0x0
	s_barrier_signal -1
	s_barrier_wait -1
	ds_load_b128 v[12:15], v36 offset:112
	ds_load_2addr_b64 v[16:19], v42 offset1:32
	ds_load_2addr_b64 v[20:23], v42 offset0:64 offset1:96
	ds_load_2addr_b64 v[46:49], v42 offset0:128 offset1:160
	;; [unrolled: 1-line block ×3, first 2 shown]
	s_wait_dscnt 0x4
	v_and_b32_e32 v58, 0xffff, v12
	v_lshrrev_b32_e32 v12, 16, v12
	s_delay_alu instid0(VALU_DEP_2) | instskip(NEXT) | instid1(VALU_DEP_2)
	v_mul_u32_u24_e32 v58, 0x10001, v58
	v_mul_u32_u24_e32 v12, 0x10001, v12
	s_wait_dscnt 0x3
	s_delay_alu instid0(VALU_DEP_2)
	v_pk_fma_f16 v54, v16, v58, v54
	v_pk_fma_f16 v55, v17, v58, v55
	;; [unrolled: 1-line block ×4, first 2 shown]
	ds_load_2addr_b64 v[16:19], v43 offset1:32
	s_wait_dscnt 0x3
	v_pk_fma_f16 v59, v20, v58, v59
	v_pk_fma_f16 v60, v21, v58, v60
	v_pk_fma_f16 v61, v22, v58, v61
	v_pk_fma_f16 v11, v23, v58, v11
	ds_load_2addr_b64 v[20:23], v43 offset0:64 offset1:96
	s_wait_dscnt 0x3
	v_pk_fma_f16 v54, v46, v12, v54
	v_pk_fma_f16 v55, v47, v12, v55
	v_pk_fma_f16 v56, v48, v12, v56
	v_pk_fma_f16 v57, v49, v12, v57
	ds_load_2addr_b64 v[46:49], v43 offset0:128 offset1:160
	;; [unrolled: 6-line block ×3, first 2 shown]
	v_and_b32_e32 v12, 0xffff, v13
	s_delay_alu instid0(VALU_DEP_1) | instskip(SKIP_1) | instid1(VALU_DEP_1)
	v_mul_u32_u24_e32 v12, 0x10001, v12
	s_wait_dscnt 0x3
	v_pk_fma_f16 v54, v16, v12, v54
	v_pk_fma_f16 v55, v17, v12, v55
	;; [unrolled: 1-line block ×4, first 2 shown]
	ds_load_2addr_b64 v[16:19], v44 offset1:32
	s_wait_dscnt 0x3
	v_pk_fma_f16 v58, v20, v12, v58
	v_pk_fma_f16 v59, v21, v12, v59
	;; [unrolled: 1-line block ×4, first 2 shown]
	ds_load_2addr_b64 v[20:23], v44 offset0:64 offset1:96
	v_lshrrev_b32_e32 v12, 16, v13
	s_delay_alu instid0(VALU_DEP_1) | instskip(SKIP_1) | instid1(VALU_DEP_1)
	v_mul_u32_u24_e32 v12, 0x10001, v12
	s_wait_dscnt 0x3
	v_pk_fma_f16 v13, v46, v12, v54
	v_pk_fma_f16 v54, v47, v12, v55
	;; [unrolled: 1-line block ×4, first 2 shown]
	ds_load_2addr_b64 v[46:49], v44 offset0:128 offset1:160
	s_wait_dscnt 0x3
	v_pk_fma_f16 v57, v50, v12, v58
	v_pk_fma_f16 v58, v51, v12, v59
	;; [unrolled: 1-line block ×4, first 2 shown]
	ds_load_2addr_b64 v[50:53], v44 offset0:192 offset1:224
	v_and_b32_e32 v12, 0xffff, v14
	s_delay_alu instid0(VALU_DEP_1) | instskip(SKIP_1) | instid1(VALU_DEP_1)
	v_mul_u32_u24_e32 v12, 0x10001, v12
	s_wait_dscnt 0x3
	v_pk_fma_f16 v13, v16, v12, v13
	v_pk_fma_f16 v54, v17, v12, v54
	;; [unrolled: 1-line block ×4, first 2 shown]
	s_wait_dscnt 0x2
	v_pk_fma_f16 v60, v20, v12, v57
	v_pk_fma_f16 v58, v21, v12, v58
	;; [unrolled: 1-line block ×4, first 2 shown]
	v_lshrrev_b32_e32 v12, 16, v14
	ds_load_2addr_b64 v[16:19], v45 offset1:32
	ds_load_2addr_b64 v[20:23], v45 offset0:64 offset1:96
	v_mul_u32_u24_e32 v12, 0x10001, v12
	s_wait_dscnt 0x3
	s_delay_alu instid0(VALU_DEP_1)
	v_pk_fma_f16 v13, v46, v12, v13
	v_pk_fma_f16 v14, v47, v12, v54
	;; [unrolled: 1-line block ×4, first 2 shown]
	ds_load_2addr_b64 v[54:57], v45 offset0:128 offset1:160
	s_wait_dscnt 0x3
	v_pk_fma_f16 v48, v50, v12, v60
	v_pk_fma_f16 v49, v51, v12, v58
	;; [unrolled: 1-line block ×3, first 2 shown]
	ds_load_2addr_b64 v[58:61], v45 offset0:192 offset1:224
	s_wait_dscnt 0x0
	s_barrier_signal -1
	s_barrier_wait -1
	s_load_b32 s2, s[8:9], 0x4
	v_pk_fma_f16 v11, v53, v12, v11
	v_and_b32_e32 v12, 0xffff, v15
	v_lshrrev_b32_e32 v15, 16, v15
	s_delay_alu instid0(VALU_DEP_2) | instskip(NEXT) | instid1(VALU_DEP_2)
	v_mul_u32_u24_e32 v12, 0x10001, v12
	v_mul_u32_u24_e32 v15, 0x10001, v15
	s_delay_alu instid0(VALU_DEP_2)
	v_pk_fma_f16 v13, v16, v12, v13
	v_pk_fma_f16 v14, v17, v12, v14
	;; [unrolled: 1-line block ×8, first 2 shown]
	s_wait_kmcnt 0x0
	s_lshl_b32 s2, s2, 6
	v_pk_fma_f16 v47, v54, v15, v13
	v_pk_fma_f16 v46, v55, v15, v14
	;; [unrolled: 1-line block ×8, first 2 shown]
	s_add_co_i32 s4, s2, s4
	s_delay_alu instid0(SALU_CYCLE_1)
	s_cmp_ge_i32 s4, s30
	s_cbranch_scc0 .LBB17_11
; %bb.12:
	v_dual_mov_b32 v0, 32 :: v_dual_mov_b32 v1, v27
.LBB17_13:
	s_delay_alu instid0(VALU_DEP_1)
	v_cmp_lt_i32_e32 vcc_lo, v32, v0
	s_cmp_lg_u64 s[12:13], 0
	v_add_nc_u32_e32 v2, s33, v2
	s_cselect_b32 s2, -1, 0
	s_cmp_eq_u32 s31, 0
	v_cndmask_b32_e32 v4, v1, v32, vcc_lo
	v_cmp_lt_i32_e32 vcc_lo, v31, v0
	s_cselect_b32 s3, -1, 0
	s_delay_alu instid0(SALU_CYCLE_1) | instskip(NEXT) | instid1(VALU_DEP_2)
	s_and_b32 s2, s3, s2
	v_dual_cndmask_b32 v5, v1, v31 :: v_dual_lshlrev_b32 v4, 2, v4
	v_cmp_lt_i32_e32 vcc_lo, v30, v0
	s_delay_alu instid0(VALU_DEP_2) | instskip(SKIP_4) | instid1(VALU_DEP_2)
	v_lshlrev_b32_e32 v5, 2, v5
	ds_bpermute_b32 v4, v4, v33
	v_cndmask_b32_e32 v6, v1, v30, vcc_lo
	v_cmp_lt_i32_e32 vcc_lo, v29, v0
	s_wait_dscnt 0x0
	v_dual_lshlrev_b32 v6, 2, v6 :: v_dual_add_f32 v4, v33, v4
	ds_bpermute_b32 v5, v5, v4
	s_wait_dscnt 0x0
	v_add_f32_e32 v4, v4, v5
	ds_bpermute_b32 v5, v6, v4
	v_cndmask_b32_e32 v6, v1, v29, vcc_lo
	v_cmp_lt_i32_e32 vcc_lo, v28, v0
	s_delay_alu instid0(VALU_DEP_2)
	v_dual_cndmask_b32 v0, v1, v28, vcc_lo :: v_dual_lshlrev_b32 v6, 2, v6
	s_and_b32 vcc_lo, exec_lo, s2
	s_wait_dscnt 0x0
	v_add_f32_e32 v4, v4, v5
	ds_bpermute_b32 v5, v6, v4
	s_wait_dscnt 0x0
	v_dual_add_f32 v1, v4, v5 :: v_dual_lshlrev_b32 v0, 2, v0
	ds_bpermute_b32 v0, v0, v1
	s_wait_dscnt 0x0
	v_add_f32_e32 v11, v1, v0
	s_cbranch_vccz .LBB17_16
; %bb.14:
	global_load_b32 v1, v2, s[12:13] scale_offset
	s_wait_loadcnt 0x0
	v_dual_max_num_f32 v0, v10, v10 :: v_dual_max_num_f32 v4, v1, v1
	s_delay_alu instid0(VALU_DEP_1) | instskip(NEXT) | instid1(VALU_DEP_1)
	v_max_num_f32_e32 v0, v0, v4
	v_sub_f32_e32 v4, v10, v0
	s_delay_alu instid0(VALU_DEP_1) | instskip(SKIP_2) | instid1(VALU_DEP_3)
	v_mul_f32_e32 v5, 0x3fb8aa3b, v4
	v_sub_f32_e32 v1, v1, v0
	v_cmp_ngt_f32_e32 vcc_lo, 0xc2ce8ed0, v4
	v_fma_f32 v6, 0x3fb8aa3b, v4, -v5
	v_rndne_f32_e32 v7, v5
	s_delay_alu instid0(VALU_DEP_1) | instskip(SKIP_2) | instid1(VALU_DEP_3)
	v_dual_fmac_f32 v6, 0x32a5705f, v4 :: v_dual_sub_f32 v5, v5, v7
	v_mul_f32_e32 v8, 0x3fb8aa3b, v1
	v_cvt_i32_f32_e32 v7, v7
	v_add_f32_e32 v5, v5, v6
	s_delay_alu instid0(VALU_DEP_3) | instskip(SKIP_1) | instid1(VALU_DEP_3)
	v_fma_f32 v6, 0x3fb8aa3b, v1, -v8
	v_rndne_f32_e32 v9, v8
	v_exp_f32_e32 v5, v5
	s_delay_alu instid0(VALU_DEP_1) | instskip(NEXT) | instid1(TRANS32_DEP_1)
	v_sub_f32_e32 v8, v8, v9
	v_ldexp_f32 v5, v5, v7
	v_cvt_i32_f32_e32 v7, v9
	s_delay_alu instid0(VALU_DEP_2) | instskip(SKIP_1) | instid1(VALU_DEP_2)
	v_cndmask_b32_e32 v5, 0, v5, vcc_lo
	v_cmp_nlt_f32_e32 vcc_lo, 0x42b17218, v4
	v_cndmask_b32_e32 v4, 0x7f800000, v5, vcc_lo
	v_fmac_f32_e32 v6, 0x32a5705f, v1
	v_cmp_ngt_f32_e32 vcc_lo, 0xc2ce8ed0, v1
	s_delay_alu instid0(VALU_DEP_2) | instskip(NEXT) | instid1(VALU_DEP_1)
	v_add_f32_e32 v6, v8, v6
	v_exp_f32_e32 v6, v6
	v_nop
	s_delay_alu instid0(TRANS32_DEP_1) | instskip(SKIP_1) | instid1(VALU_DEP_2)
	v_ldexp_f32 v5, v6, v7
	v_cvt_f16_f32_e32 v6, v4
	v_cndmask_b32_e32 v5, 0, v5, vcc_lo
	v_cmp_nlt_f32_e32 vcc_lo, 0x42b17218, v1
	s_delay_alu instid0(VALU_DEP_3) | instskip(NEXT) | instid1(VALU_DEP_3)
	v_and_b32_e32 v6, 0xffff, v6
	v_cndmask_b32_e32 v1, 0x7f800000, v5, vcc_lo
	s_delay_alu instid0(VALU_DEP_2) | instskip(NEXT) | instid1(VALU_DEP_2)
	v_mul_u32_u24_e32 v5, 0x10001, v6
	v_fmac_f32_e32 v1, v11, v4
	s_delay_alu instid0(VALU_DEP_2)
	v_pk_mul_f16 v47, v47, v5
	v_pk_mul_f16 v46, v46, v5
	v_pk_mul_f16 v51, v51, v5
	v_pk_mul_f16 v50, v50, v5
	v_mov_b64_e32 v[10:11], v[0:1]
	v_pk_mul_f16 v49, v49, v5
	v_pk_mul_f16 v48, v48, v5
	;; [unrolled: 1-line block ×4, first 2 shown]
	s_mov_b32 s2, exec_lo
	v_cmpx_gt_i32_e64 s22, v24
	s_cbranch_execnz .LBB17_17
.LBB17_15:
	s_sendmsg sendmsg(MSG_DEALLOC_VGPRS)
	s_endpgm
.LBB17_16:
	s_delay_alu instid0(VALU_DEP_1)
	v_mov_b32_e32 v1, v11
	s_mov_b32 s2, exec_lo
	v_cmpx_gt_i32_e64 s22, v24
	s_cbranch_execz .LBB17_15
.LBB17_17:
	s_delay_alu instid0(VALU_DEP_2) | instskip(SKIP_3) | instid1(VALU_DEP_3)
	v_div_scale_f32 v13, null, v1, v1, 1.0
	v_mad_u32 v0, s28, s22, v24
	s_load_b32 s1, s[0:1], 0xd4
	v_div_scale_f32 v16, vcc_lo, 1.0, v1, 1.0
	v_rcp_f32_e32 v15, v13
	v_dual_mov_b32 v17, 0 :: v_dual_lshrrev_b32 v5, 16, v47
	s_wait_xcnt 0x0
	v_cmp_eq_u32_e64 s0, 0, v25
	v_dual_lshrrev_b32 v9, 16, v46 :: v_dual_lshrrev_b32 v19, 16, v51
	v_lshrrev_b32_e32 v28, 16, v23
	s_delay_alu instid0(TRANS32_DEP_1) | instskip(SKIP_3) | instid1(VALU_DEP_4)
	v_fma_f32 v7, -v13, v15, 1.0
	v_mad_u32 v0, v0, s23, v2
	v_cvt_f32_f16_e32 v20, v23
	v_lshrrev_b32_e32 v23, 16, v22
	v_dual_lshrrev_b32 v21, 16, v50 :: v_dual_fmac_f32 v15, v7, v15
	v_cvt_f32_f16_e32 v4, v47
	v_cvt_f32_f16_e32 v6, v46
	;; [unrolled: 1-line block ×3, first 2 shown]
	s_delay_alu instid0(VALU_DEP_4)
	v_dual_lshrrev_b32 v24, 16, v49 :: v_dual_mul_f32 v2, v16, v15
	v_lshrrev_b32_e32 v26, 16, v48
	s_wait_kmcnt 0x0
	v_mad_u32 v0, s1, v0, s31
	s_cmp_lg_u32 s1, 1
	v_cvt_f32_f16_e32 v8, v51
	v_fma_f32 v7, -v13, v2, v16
	s_cselect_b32 s1, -1, 0
	v_cvt_f32_f16_e32 v12, v50
	v_cvt_f32_f16_e32 v14, v49
	s_delay_alu instid0(VALU_DEP_3)
	v_dual_mov_b32 v25, v17 :: v_dual_fmac_f32 v2, v7, v15
	v_cvt_f32_f16_e32 v7, v9
	v_cvt_f32_f16_e32 v9, v19
	v_cvt_f32_f16_e32 v18, v48
	v_cvt_f32_f16_e32 v19, v26
	v_fma_f32 v16, -v13, v2, v16
	v_cvt_f32_f16_e32 v13, v21
	v_cvt_f32_f16_e32 v21, v28
	v_cvt_f32_f16_e32 v23, v23
	v_cvt_f32_f16_e32 v22, v22
	v_div_fmas_f32 v2, v16, v15, v2
	v_lshl_add_u32 v16, v0, 9, v3
	v_mov_b32_e32 v27, v17
	v_cvt_f32_f16_e32 v15, v24
	s_and_b32 s0, s0, s1
	v_div_fixup_f32 v1, v2, v1, 1.0
	v_add_nc_u32_e32 v24, 0x80, v16
	v_add_nc_u32_e32 v26, 0x100, v16
	v_lshl_add_u64 v[30:31], v[16:17], 2, s[16:17]
	v_add_nc_u32_e32 v16, 0x180, v16
	v_cndmask_b32_e64 v28, v1, 1.0, s1
	v_lshl_add_u64 v[24:25], v[24:25], 2, s[16:17]
	v_lshl_add_u64 v[26:27], v[26:27], 2, s[16:17]
	s_delay_alu instid0(VALU_DEP_4) | instskip(NEXT) | instid1(VALU_DEP_4)
	v_lshl_add_u64 v[32:33], v[16:17], 2, s[16:17]
	v_pk_mul_f32 v[2:3], v[28:29], v[4:5] op_sel_hi:[0,1]
	v_pk_mul_f32 v[4:5], v[28:29], v[6:7] op_sel_hi:[0,1]
	;; [unrolled: 1-line block ×8, first 2 shown]
	s_clause 0x3
	global_store_b128 v[30:31], v[2:5], off
	global_store_b128 v[24:25], v[6:9], off
	;; [unrolled: 1-line block ×4, first 2 shown]
	s_wait_xcnt 0x0
	s_and_b32 exec_lo, exec_lo, s0
	s_cbranch_execz .LBB17_15
; %bb.18:
	global_store_b64 v0, v[10:11], s[18:19] scale_offset
	s_sendmsg sendmsg(MSG_DEALLOC_VGPRS)
	s_endpgm
	.section	.rodata,"a",@progbits
	.p2align	6, 0x0
	.amdhsa_kernel _ZL15flash_attn_tileILi576ELi512ELi2ELi4ELb0EEvPKcS1_S1_S1_S1_PKiPfP15HIP_vector_typeIfLj2EEffffjfiS5_IjLj3EEiiiiiiiiiiiliiliiiiil
		.amdhsa_group_segment_fixed_size 19456
		.amdhsa_private_segment_fixed_size 0
		.amdhsa_kernarg_size 464
		.amdhsa_user_sgpr_count 2
		.amdhsa_user_sgpr_dispatch_ptr 0
		.amdhsa_user_sgpr_queue_ptr 0
		.amdhsa_user_sgpr_kernarg_segment_ptr 1
		.amdhsa_user_sgpr_dispatch_id 0
		.amdhsa_user_sgpr_kernarg_preload_length 0
		.amdhsa_user_sgpr_kernarg_preload_offset 0
		.amdhsa_user_sgpr_private_segment_size 0
		.amdhsa_wavefront_size32 1
		.amdhsa_uses_dynamic_stack 0
		.amdhsa_enable_private_segment 0
		.amdhsa_system_sgpr_workgroup_id_x 1
		.amdhsa_system_sgpr_workgroup_id_y 1
		.amdhsa_system_sgpr_workgroup_id_z 1
		.amdhsa_system_sgpr_workgroup_info 0
		.amdhsa_system_vgpr_workitem_id 1
		.amdhsa_next_free_vgpr 69
		.amdhsa_next_free_sgpr 46
		.amdhsa_named_barrier_count 0
		.amdhsa_reserve_vcc 1
		.amdhsa_float_round_mode_32 0
		.amdhsa_float_round_mode_16_64 0
		.amdhsa_float_denorm_mode_32 3
		.amdhsa_float_denorm_mode_16_64 3
		.amdhsa_fp16_overflow 0
		.amdhsa_memory_ordered 1
		.amdhsa_forward_progress 1
		.amdhsa_inst_pref_size 114
		.amdhsa_round_robin_scheduling 0
		.amdhsa_exception_fp_ieee_invalid_op 0
		.amdhsa_exception_fp_denorm_src 0
		.amdhsa_exception_fp_ieee_div_zero 0
		.amdhsa_exception_fp_ieee_overflow 0
		.amdhsa_exception_fp_ieee_underflow 0
		.amdhsa_exception_fp_ieee_inexact 0
		.amdhsa_exception_int_div_zero 0
	.end_amdhsa_kernel
	.section	.text._ZL15flash_attn_tileILi576ELi512ELi2ELi4ELb0EEvPKcS1_S1_S1_S1_PKiPfP15HIP_vector_typeIfLj2EEffffjfiS5_IjLj3EEiiiiiiiiiiiliiliiiiil,"axG",@progbits,_ZL15flash_attn_tileILi576ELi512ELi2ELi4ELb0EEvPKcS1_S1_S1_S1_PKiPfP15HIP_vector_typeIfLj2EEffffjfiS5_IjLj3EEiiiiiiiiiiiliiliiiiil,comdat
.Lfunc_end17:
	.size	_ZL15flash_attn_tileILi576ELi512ELi2ELi4ELb0EEvPKcS1_S1_S1_S1_PKiPfP15HIP_vector_typeIfLj2EEffffjfiS5_IjLj3EEiiiiiiiiiiiliiliiiiil, .Lfunc_end17-_ZL15flash_attn_tileILi576ELi512ELi2ELi4ELb0EEvPKcS1_S1_S1_S1_PKiPfP15HIP_vector_typeIfLj2EEffffjfiS5_IjLj3EEiiiiiiiiiiiliiliiiiil
                                        ; -- End function
	.set _ZL15flash_attn_tileILi576ELi512ELi2ELi4ELb0EEvPKcS1_S1_S1_S1_PKiPfP15HIP_vector_typeIfLj2EEffffjfiS5_IjLj3EEiiiiiiiiiiiliiliiiiil.num_vgpr, 69
	.set _ZL15flash_attn_tileILi576ELi512ELi2ELi4ELb0EEvPKcS1_S1_S1_S1_PKiPfP15HIP_vector_typeIfLj2EEffffjfiS5_IjLj3EEiiiiiiiiiiiliiliiiiil.num_agpr, 0
	.set _ZL15flash_attn_tileILi576ELi512ELi2ELi4ELb0EEvPKcS1_S1_S1_S1_PKiPfP15HIP_vector_typeIfLj2EEffffjfiS5_IjLj3EEiiiiiiiiiiiliiliiiiil.numbered_sgpr, 46
	.set _ZL15flash_attn_tileILi576ELi512ELi2ELi4ELb0EEvPKcS1_S1_S1_S1_PKiPfP15HIP_vector_typeIfLj2EEffffjfiS5_IjLj3EEiiiiiiiiiiiliiliiiiil.num_named_barrier, 0
	.set _ZL15flash_attn_tileILi576ELi512ELi2ELi4ELb0EEvPKcS1_S1_S1_S1_PKiPfP15HIP_vector_typeIfLj2EEffffjfiS5_IjLj3EEiiiiiiiiiiiliiliiiiil.private_seg_size, 0
	.set _ZL15flash_attn_tileILi576ELi512ELi2ELi4ELb0EEvPKcS1_S1_S1_S1_PKiPfP15HIP_vector_typeIfLj2EEffffjfiS5_IjLj3EEiiiiiiiiiiiliiliiiiil.uses_vcc, 1
	.set _ZL15flash_attn_tileILi576ELi512ELi2ELi4ELb0EEvPKcS1_S1_S1_S1_PKiPfP15HIP_vector_typeIfLj2EEffffjfiS5_IjLj3EEiiiiiiiiiiiliiliiiiil.uses_flat_scratch, 0
	.set _ZL15flash_attn_tileILi576ELi512ELi2ELi4ELb0EEvPKcS1_S1_S1_S1_PKiPfP15HIP_vector_typeIfLj2EEffffjfiS5_IjLj3EEiiiiiiiiiiiliiliiiiil.has_dyn_sized_stack, 0
	.set _ZL15flash_attn_tileILi576ELi512ELi2ELi4ELb0EEvPKcS1_S1_S1_S1_PKiPfP15HIP_vector_typeIfLj2EEffffjfiS5_IjLj3EEiiiiiiiiiiiliiliiiiil.has_recursion, 0
	.set _ZL15flash_attn_tileILi576ELi512ELi2ELi4ELb0EEvPKcS1_S1_S1_S1_PKiPfP15HIP_vector_typeIfLj2EEffffjfiS5_IjLj3EEiiiiiiiiiiiliiliiiiil.has_indirect_call, 0
	.section	.AMDGPU.csdata,"",@progbits
; Kernel info:
; codeLenInByte = 14576
; TotalNumSgprs: 48
; NumVgprs: 69
; ScratchSize: 0
; MemoryBound: 0
; FloatMode: 240
; IeeeMode: 1
; LDSByteSize: 19456 bytes/workgroup (compile time only)
; SGPRBlocks: 0
; VGPRBlocks: 4
; NumSGPRsForWavesPerEU: 48
; NumVGPRsForWavesPerEU: 69
; NamedBarCnt: 0
; Occupancy: 12
; WaveLimiterHint : 1
; COMPUTE_PGM_RSRC2:SCRATCH_EN: 0
; COMPUTE_PGM_RSRC2:USER_SGPR: 2
; COMPUTE_PGM_RSRC2:TRAP_HANDLER: 0
; COMPUTE_PGM_RSRC2:TGID_X_EN: 1
; COMPUTE_PGM_RSRC2:TGID_Y_EN: 1
; COMPUTE_PGM_RSRC2:TGID_Z_EN: 1
; COMPUTE_PGM_RSRC2:TIDIG_COMP_CNT: 1
	.section	.text._ZL33flash_attn_stream_k_fixup_uniformILi512ELi2ELi4EEvPfPK15HIP_vector_typeIfLj2EEiiiiiiS1_IjLj3EES5_S5_,"axG",@progbits,_ZL33flash_attn_stream_k_fixup_uniformILi512ELi2ELi4EEvPfPK15HIP_vector_typeIfLj2EEiiiiiiS1_IjLj3EES5_S5_,comdat
	.globl	_ZL33flash_attn_stream_k_fixup_uniformILi512ELi2ELi4EEvPfPK15HIP_vector_typeIfLj2EEiiiiiiS1_IjLj3EES5_S5_ ; -- Begin function _ZL33flash_attn_stream_k_fixup_uniformILi512ELi2ELi4EEvPfPK15HIP_vector_typeIfLj2EEiiiiiiS1_IjLj3EES5_S5_
	.p2align	8
	.type	_ZL33flash_attn_stream_k_fixup_uniformILi512ELi2ELi4EEvPfPK15HIP_vector_typeIfLj2EEiiiiiiS1_IjLj3EES5_S5_,@function
_ZL33flash_attn_stream_k_fixup_uniformILi512ELi2ELi4EEvPfPK15HIP_vector_typeIfLj2EEiiiiiiS1_IjLj3EES5_S5_: ; @_ZL33flash_attn_stream_k_fixup_uniformILi512ELi2ELi4EEvPfPK15HIP_vector_typeIfLj2EEiiiiiiS1_IjLj3EES5_S5_
; %bb.0:
	s_load_b256 s[4:11], s[0:1], 0x1c
	s_bfe_u32 s2, ttmp6, 0x40014
	s_lshr_b32 s3, ttmp7, 16
	s_add_co_i32 s2, s2, 1
	s_bfe_u32 s13, ttmp6, 0x40010
	s_mul_i32 s2, s3, s2
	s_bfe_u32 s12, ttmp6, 0x40008
	s_and_b32 s15, ttmp7, 0xffff
	s_add_co_i32 s13, s13, 1
	s_bfe_u32 s14, ttmp6, 0x4000c
	s_add_co_i32 s12, s12, s2
	s_mul_i32 s2, s15, s13
	s_bfe_u32 s13, ttmp6, 0x40004
	s_add_co_i32 s14, s14, 1
	s_add_co_i32 s13, s13, s2
	s_and_b32 s2, ttmp6, 15
	s_mul_i32 s14, ttmp9, s14
	s_getreg_b32 s20, hwreg(HW_REG_IB_STS2, 6, 4)
	s_add_co_i32 s2, s2, s14
	s_load_b128 s[16:19], s[0:1], 0x3c
	s_cmp_eq_u32 s20, 0
	s_cselect_b32 s14, ttmp9, s2
	s_cselect_b32 s13, s15, s13
	s_wait_kmcnt 0x0
	s_mul_hi_u32 s2, s7, s14
	s_cselect_b32 s12, s3, s12
	s_add_co_i32 s2, s14, s2
	s_delay_alu instid0(SALU_CYCLE_1) | instskip(NEXT) | instid1(SALU_CYCLE_1)
	s_lshr_b32 s7, s2, s8
	s_mul_i32 s2, s7, s9
	s_delay_alu instid0(SALU_CYCLE_1) | instskip(NEXT) | instid1(SALU_CYCLE_1)
	s_sub_co_i32 s8, s14, s2
	s_mul_hi_u32 s2, s8, s10
	s_delay_alu instid0(SALU_CYCLE_1) | instskip(SKIP_2) | instid1(SALU_CYCLE_1)
	s_add_co_i32 s9, s8, s2
	s_load_b64 s[2:3], s[0:1], 0x10
	s_lshr_b32 s15, s9, s11
	s_mul_i32 s9, s15, s16
	s_delay_alu instid0(SALU_CYCLE_1) | instskip(NEXT) | instid1(SALU_CYCLE_1)
	s_sub_co_i32 s8, s8, s9
	s_mul_hi_u32 s9, s8, s17
	s_delay_alu instid0(SALU_CYCLE_1) | instskip(NEXT) | instid1(SALU_CYCLE_1)
	s_add_co_i32 s9, s8, s9
	s_lshr_b32 s9, s9, s18
	s_delay_alu instid0(SALU_CYCLE_1) | instskip(SKIP_2) | instid1(SALU_CYCLE_1)
	s_mul_i32 s10, s9, s19
	s_lshl_b32 s17, s9, 2
	s_sub_co_i32 s16, s8, s10
	s_lshl_b32 s8, s16, 1
	s_delay_alu instid0(SALU_CYCLE_1) | instskip(SKIP_4) | instid1(SALU_CYCLE_1)
	s_add_co_i32 s8, s8, s13
	s_wait_kmcnt 0x0
	s_cmp_lt_i32 s8, s2
	s_cselect_b32 s8, -1, 0
	s_add_co_i32 s9, s17, s12
	s_cmp_lt_i32 s9, s5
	s_cselect_b32 s9, -1, 0
	s_delay_alu instid0(SALU_CYCLE_1) | instskip(NEXT) | instid1(SALU_CYCLE_1)
	s_and_b32 s8, s8, s9
	s_and_not1_b32 vcc_lo, exec_lo, s8
	s_cbranch_vccnz .LBB18_6
; %bb.1:
	s_mul_i32 s2, s7, s2
	s_load_b128 s[8:11], s[0:1], 0x0
	s_wait_xcnt 0x0
	s_add_co_i32 s0, s2, s13
	s_mul_i32 s15, s15, s5
	s_mul_i32 s0, s0, s3
	;; [unrolled: 1-line block ×3, first 2 shown]
	s_add_co_i32 s0, s0, s12
	s_lshl_b32 s1, s1, 10
	s_add_co_i32 s0, s0, s15
	s_mul_i32 s7, s6, s14
	s_add_co_i32 s0, s0, s17
	s_lshl_b32 s5, s13, 2
	s_lshl_b32 s0, s0, 9
	s_add_co_i32 s15, s7, s6
	s_add_co_i32 s1, s1, s0
	;; [unrolled: 1-line block ×3, first 2 shown]
	v_or_b32_e32 v4, s1, v0
	s_lshl_b32 s1, s15, 3
	s_add_co_i32 s2, s15, -2
	s_add_co_i32 s0, s0, s1
	s_delay_alu instid0(SALU_CYCLE_1)
	s_add_co_i32 s0, s0, -8
	s_wait_kmcnt 0x0
	global_load_b32 v3, v4, s[8:9] scale_offset
	s_ashr_i32 s1, s0, 31
	v_ashrrev_i32_e32 v5, 31, v4
	s_lshl_b64 s[0:1], s[0:1], 3
	s_cmp_lt_i32 s2, s7
	s_add_nc_u64 s[0:1], s[10:11], s[0:1]
	s_load_b32 s16, s[0:1], 0x4
	s_cbranch_scc1 .LBB18_4
; %bb.2:
	s_wait_xcnt 0x0
	s_load_b32 s0, s[0:1], 0x0
	s_add_co_i32 s14, s14, 1
	s_lshl_b32 s3, s13, 11
	s_wait_xcnt 0x0
	s_mul_i32 s1, s6, s14
	s_lshl_b32 s6, s12, 9
	s_lshl_b32 s13, s1, 12
	s_add_co_i32 s6, s6, s3
	s_lshl_b32 s1, s1, 3
	s_add_co_i32 s6, s6, s13
	s_lshl_b32 s2, s4, 5
	s_wait_kmcnt 0x0
	v_dual_mov_b32 v2, s16 :: v_dual_bitop2_b32 v0, s6, v0 bitop3:0x54
	s_add_co_i32 s1, s12, s1
	s_lshl_b32 s4, s4, 3
	s_ashr_i32 s3, s2, 31
	s_add_co_i32 s1, s1, s4
	v_add_nc_u32_e32 v0, 0xffffe000, v0
	s_lshl_b64 s[2:3], s[2:3], 2
	s_add_co_i32 s4, s1, s5
	s_add_nc_u64 s[2:3], s[10:11], s[2:3]
	s_add_co_i32 s1, s15, -1
	s_add_co_i32 s4, s4, -16
.LBB18_3:                               ; =>This Inner Loop Header: Depth=1
	global_load_b32 v7, v0, s[2:3] scale_offset
	s_ashr_i32 s5, s4, 31
	v_max_num_f32_e64 v1, s0, s0
	s_lshl_b64 s[12:13], s[4:5], 3
	s_delay_alu instid0(SALU_CYCLE_1) | instskip(SKIP_1) | instid1(VALU_DEP_1)
	s_add_nc_u64 s[12:13], s[10:11], s[12:13]
	s_load_b64 s[12:13], s[12:13], 0x0
	v_readfirstlane_b32 s5, v1
	v_add_nc_u32_e32 v0, 0xfffff000, v0
	s_wait_kmcnt 0x0
	v_max_num_f32_e64 v1, s12, s12
	s_delay_alu instid0(VALU_DEP_1) | instskip(SKIP_1) | instid1(SALU_CYCLE_3)
	v_readfirstlane_b32 s6, v1
	s_max_num_f32 s5, s5, s6
	s_sub_f32 s0, s0, s5
	s_sub_f32 s6, s12, s5
	s_delay_alu instid0(SALU_CYCLE_2) | instskip(NEXT) | instid1(SALU_CYCLE_2)
	s_mul_f32 s12, s0, 0x3fb8aa3b
	s_mul_f32 s14, s6, 0x3fb8aa3b
	s_delay_alu instid0(SALU_CYCLE_2)
	s_xor_b32 s15, s12, 0x80000000
	s_rndne_f32 s16, s12
	s_fmamk_f32 s15, s0, 0x3fb8aa3b, s15
	s_cmp_nlt_f32 s0, 0xc2ce8ed0
	s_rndne_f32 s17, s14
	s_sub_f32 s12, s12, s16
	s_fmamk_f32 s15, s0, 0x32a5705f, s15
	s_cselect_b32 vcc_lo, -1, 0
	s_cmp_ngt_f32 s0, 0x42b17218
	s_delay_alu instid0(SALU_CYCLE_1) | instskip(SKIP_2) | instid1(SALU_CYCLE_1)
	s_add_f32 s12, s12, s15
	s_cvt_i32_f32 s15, s16
	s_sub_f32 s16, s14, s17
	v_s_exp_f32 s12, s12
	v_nop
	s_delay_alu instid0(TRANS32_DEP_1) | instskip(SKIP_1) | instid1(VALU_DEP_1)
	v_ldexp_f32 v1, s12, s15
	s_cvt_i32_f32 s12, s17
	v_cndmask_b32_e32 v1, 0, v1, vcc_lo
	s_cselect_b32 vcc_lo, -1, 0
	s_cmp_ge_f32 s0, 0xc1a00000
	s_delay_alu instid0(VALU_DEP_1)
	v_cndmask_b32_e32 v1, 0x7f800000, v1, vcc_lo
	s_cselect_b32 vcc_lo, -1, 0
	s_xor_b32 s0, s14, 0x80000000
	s_cmp_nlt_f32 s6, 0xc2ce8ed0
	s_fmamk_f32 s0, s6, 0x3fb8aa3b, s0
	v_cndmask_b32_e32 v10, 0, v1, vcc_lo
	s_delay_alu instid0(SALU_CYCLE_2) | instskip(NEXT) | instid1(SALU_CYCLE_3)
	s_fmamk_f32 s0, s6, 0x32a5705f, s0
	s_add_f32 s0, s16, s0
	s_delay_alu instid0(SALU_CYCLE_3) | instskip(SKIP_1) | instid1(TRANS32_DEP_1)
	v_s_exp_f32 s0, s0
	v_nop
	v_ldexp_f32 v6, s0, s12
	s_cselect_b32 s0, -1, 0
	s_cmp_ngt_f32 s6, 0x42b17218
	s_delay_alu instid0(VALU_DEP_1) | instskip(SKIP_2) | instid1(VALU_DEP_1)
	v_cndmask_b32_e64 v6, 0, v6, s0
	s_cselect_b32 s0, -1, 0
	s_cmp_ge_f32 s6, 0xc1a00000
	v_cndmask_b32_e64 v8, 0x7f800000, v6, s0
	s_cselect_b32 s0, -1, 0
	v_mov_b32_e32 v6, s13
	s_add_co_i32 s1, s1, -1
	s_add_co_i32 s4, s4, -8
	v_cndmask_b32_e64 v8, 0, v8, s0
	s_cmp_le_i32 s1, s7
	s_mov_b32 s0, s5
	s_wait_loadcnt 0x0
	s_delay_alu instid0(VALU_DEP_1) | instskip(NEXT) | instid1(VALU_DEP_1)
	v_pk_mul_f32 v[6:7], v[6:7], v[8:9] op_sel_hi:[1,0]
	v_pk_fma_f32 v[2:3], v[2:3], v[10:11], v[6:7] op_sel_hi:[1,0,1]
	s_cbranch_scc0 .LBB18_3
	s_branch .LBB18_5
.LBB18_4:
	s_wait_kmcnt 0x0
	v_mov_b32_e32 v2, s16
.LBB18_5:
	v_lshl_add_u64 v[0:1], v[4:5], 2, s[8:9]
	s_wait_loadcnt 0x0
	s_delay_alu instid0(VALU_DEP_2) | instskip(NEXT) | instid1(VALU_DEP_1)
	v_div_scale_f32 v4, null, v2, v2, v3
	v_rcp_f32_e32 v5, v4
	v_nop
	s_delay_alu instid0(TRANS32_DEP_1) | instskip(NEXT) | instid1(VALU_DEP_1)
	v_fma_f32 v6, -v4, v5, 1.0
	v_fmac_f32_e32 v5, v6, v5
	v_div_scale_f32 v6, vcc_lo, v3, v2, v3
	s_delay_alu instid0(VALU_DEP_1) | instskip(NEXT) | instid1(VALU_DEP_1)
	v_mul_f32_e32 v7, v6, v5
	v_fma_f32 v8, -v4, v7, v6
	s_delay_alu instid0(VALU_DEP_1) | instskip(NEXT) | instid1(VALU_DEP_1)
	v_fmac_f32_e32 v7, v8, v5
	v_fma_f32 v4, -v4, v7, v6
	s_delay_alu instid0(VALU_DEP_1) | instskip(NEXT) | instid1(VALU_DEP_1)
	v_div_fmas_f32 v4, v4, v5, v7
	v_div_fixup_f32 v2, v4, v2, v3
	global_store_b32 v[0:1], v2, off
.LBB18_6:
	s_endpgm
	.section	.rodata,"a",@progbits
	.p2align	6, 0x0
	.amdhsa_kernel _ZL33flash_attn_stream_k_fixup_uniformILi512ELi2ELi4EEvPfPK15HIP_vector_typeIfLj2EEiiiiiiS1_IjLj3EES5_S5_
		.amdhsa_group_segment_fixed_size 0
		.amdhsa_private_segment_fixed_size 0
		.amdhsa_kernarg_size 76
		.amdhsa_user_sgpr_count 2
		.amdhsa_user_sgpr_dispatch_ptr 0
		.amdhsa_user_sgpr_queue_ptr 0
		.amdhsa_user_sgpr_kernarg_segment_ptr 1
		.amdhsa_user_sgpr_dispatch_id 0
		.amdhsa_user_sgpr_kernarg_preload_length 0
		.amdhsa_user_sgpr_kernarg_preload_offset 0
		.amdhsa_user_sgpr_private_segment_size 0
		.amdhsa_wavefront_size32 1
		.amdhsa_uses_dynamic_stack 0
		.amdhsa_enable_private_segment 0
		.amdhsa_system_sgpr_workgroup_id_x 1
		.amdhsa_system_sgpr_workgroup_id_y 1
		.amdhsa_system_sgpr_workgroup_id_z 1
		.amdhsa_system_sgpr_workgroup_info 0
		.amdhsa_system_vgpr_workitem_id 0
		.amdhsa_next_free_vgpr 12
		.amdhsa_next_free_sgpr 21
		.amdhsa_named_barrier_count 0
		.amdhsa_reserve_vcc 1
		.amdhsa_float_round_mode_32 0
		.amdhsa_float_round_mode_16_64 0
		.amdhsa_float_denorm_mode_32 3
		.amdhsa_float_denorm_mode_16_64 3
		.amdhsa_fp16_overflow 0
		.amdhsa_memory_ordered 1
		.amdhsa_forward_progress 1
		.amdhsa_inst_pref_size 9
		.amdhsa_round_robin_scheduling 0
		.amdhsa_exception_fp_ieee_invalid_op 0
		.amdhsa_exception_fp_denorm_src 0
		.amdhsa_exception_fp_ieee_div_zero 0
		.amdhsa_exception_fp_ieee_overflow 0
		.amdhsa_exception_fp_ieee_underflow 0
		.amdhsa_exception_fp_ieee_inexact 0
		.amdhsa_exception_int_div_zero 0
	.end_amdhsa_kernel
	.section	.text._ZL33flash_attn_stream_k_fixup_uniformILi512ELi2ELi4EEvPfPK15HIP_vector_typeIfLj2EEiiiiiiS1_IjLj3EES5_S5_,"axG",@progbits,_ZL33flash_attn_stream_k_fixup_uniformILi512ELi2ELi4EEvPfPK15HIP_vector_typeIfLj2EEiiiiiiS1_IjLj3EES5_S5_,comdat
.Lfunc_end18:
	.size	_ZL33flash_attn_stream_k_fixup_uniformILi512ELi2ELi4EEvPfPK15HIP_vector_typeIfLj2EEiiiiiiS1_IjLj3EES5_S5_, .Lfunc_end18-_ZL33flash_attn_stream_k_fixup_uniformILi512ELi2ELi4EEvPfPK15HIP_vector_typeIfLj2EEiiiiiiS1_IjLj3EES5_S5_
                                        ; -- End function
	.set _ZL33flash_attn_stream_k_fixup_uniformILi512ELi2ELi4EEvPfPK15HIP_vector_typeIfLj2EEiiiiiiS1_IjLj3EES5_S5_.num_vgpr, 12
	.set _ZL33flash_attn_stream_k_fixup_uniformILi512ELi2ELi4EEvPfPK15HIP_vector_typeIfLj2EEiiiiiiS1_IjLj3EES5_S5_.num_agpr, 0
	.set _ZL33flash_attn_stream_k_fixup_uniformILi512ELi2ELi4EEvPfPK15HIP_vector_typeIfLj2EEiiiiiiS1_IjLj3EES5_S5_.numbered_sgpr, 21
	.set _ZL33flash_attn_stream_k_fixup_uniformILi512ELi2ELi4EEvPfPK15HIP_vector_typeIfLj2EEiiiiiiS1_IjLj3EES5_S5_.num_named_barrier, 0
	.set _ZL33flash_attn_stream_k_fixup_uniformILi512ELi2ELi4EEvPfPK15HIP_vector_typeIfLj2EEiiiiiiS1_IjLj3EES5_S5_.private_seg_size, 0
	.set _ZL33flash_attn_stream_k_fixup_uniformILi512ELi2ELi4EEvPfPK15HIP_vector_typeIfLj2EEiiiiiiS1_IjLj3EES5_S5_.uses_vcc, 1
	.set _ZL33flash_attn_stream_k_fixup_uniformILi512ELi2ELi4EEvPfPK15HIP_vector_typeIfLj2EEiiiiiiS1_IjLj3EES5_S5_.uses_flat_scratch, 0
	.set _ZL33flash_attn_stream_k_fixup_uniformILi512ELi2ELi4EEvPfPK15HIP_vector_typeIfLj2EEiiiiiiS1_IjLj3EES5_S5_.has_dyn_sized_stack, 0
	.set _ZL33flash_attn_stream_k_fixup_uniformILi512ELi2ELi4EEvPfPK15HIP_vector_typeIfLj2EEiiiiiiS1_IjLj3EES5_S5_.has_recursion, 0
	.set _ZL33flash_attn_stream_k_fixup_uniformILi512ELi2ELi4EEvPfPK15HIP_vector_typeIfLj2EEiiiiiiS1_IjLj3EES5_S5_.has_indirect_call, 0
	.section	.AMDGPU.csdata,"",@progbits
; Kernel info:
; codeLenInByte = 1092
; TotalNumSgprs: 23
; NumVgprs: 12
; ScratchSize: 0
; MemoryBound: 0
; FloatMode: 240
; IeeeMode: 1
; LDSByteSize: 0 bytes/workgroup (compile time only)
; SGPRBlocks: 0
; VGPRBlocks: 0
; NumSGPRsForWavesPerEU: 23
; NumVGPRsForWavesPerEU: 12
; NamedBarCnt: 0
; Occupancy: 16
; WaveLimiterHint : 0
; COMPUTE_PGM_RSRC2:SCRATCH_EN: 0
; COMPUTE_PGM_RSRC2:USER_SGPR: 2
; COMPUTE_PGM_RSRC2:TRAP_HANDLER: 0
; COMPUTE_PGM_RSRC2:TGID_X_EN: 1
; COMPUTE_PGM_RSRC2:TGID_Y_EN: 1
; COMPUTE_PGM_RSRC2:TGID_Z_EN: 1
; COMPUTE_PGM_RSRC2:TIDIG_COMP_CNT: 0
	.section	.text._ZL33flash_attn_stream_k_fixup_generalILi512ELi2ELi4EEvPfPK15HIP_vector_typeIfLj2EEiiiiS1_IjLj3EES5_S5_S5_,"axG",@progbits,_ZL33flash_attn_stream_k_fixup_generalILi512ELi2ELi4EEvPfPK15HIP_vector_typeIfLj2EEiiiiS1_IjLj3EES5_S5_S5_,comdat
	.globl	_ZL33flash_attn_stream_k_fixup_generalILi512ELi2ELi4EEvPfPK15HIP_vector_typeIfLj2EEiiiiS1_IjLj3EES5_S5_S5_ ; -- Begin function _ZL33flash_attn_stream_k_fixup_generalILi512ELi2ELi4EEvPfPK15HIP_vector_typeIfLj2EEiiiiS1_IjLj3EES5_S5_S5_
	.p2align	8
	.type	_ZL33flash_attn_stream_k_fixup_generalILi512ELi2ELi4EEvPfPK15HIP_vector_typeIfLj2EEiiiiS1_IjLj3EES5_S5_S5_,@function
_ZL33flash_attn_stream_k_fixup_generalILi512ELi2ELi4EEvPfPK15HIP_vector_typeIfLj2EEiiiiS1_IjLj3EES5_S5_S5_: ; @_ZL33flash_attn_stream_k_fixup_generalILi512ELi2ELi4EEvPfPK15HIP_vector_typeIfLj2EEiiiiS1_IjLj3EES5_S5_S5_
; %bb.0:
	s_clause 0x1
	s_load_b128 s[4:7], s[0:1], 0x10
	s_load_b32 s16, s[0:1], 0x50
	s_bfe_u32 s2, ttmp6, 0x4000c
	s_and_b32 s3, ttmp6, 15
	s_add_co_i32 s2, s2, 1
	s_getreg_b32 s15, hwreg(HW_REG_IB_STS2, 6, 4)
	s_mul_i32 s2, ttmp9, s2
	s_mov_b32 s17, 0
	s_add_co_i32 s3, s3, s2
	s_cmp_eq_u32 s15, 0
	s_cselect_b32 s2, ttmp9, s3
	s_delay_alu instid0(SALU_CYCLE_1) | instskip(SKIP_3) | instid1(SALU_CYCLE_1)
	s_ashr_i32 s3, s2, 31
	s_wait_kmcnt 0x0
	s_ashr_i32 s19, s7, 31
	s_mov_b32 s18, s7
	s_mul_u64 s[8:9], s[18:19], s[2:3]
	s_delay_alu instid0(SALU_CYCLE_1) | instskip(NEXT) | instid1(SALU_CYCLE_1)
	s_and_b64 s[10:11], s[8:9], 0xffffffff00000000
	s_cmp_lg_u64 s[10:11], 0
	s_cbranch_scc0 .LBB19_21
; %bb.1:
	s_add_nc_u64 s[10:11], s[16:17], 0
	s_mov_b32 s23, s17
	s_xor_b64 s[10:11], s[10:11], 0
	s_mov_b32 s27, s17
	s_cvt_f32_u32 s3, s10
	s_cvt_f32_u32 s7, s11
	s_sub_nc_u64 s[20:21], 0, s[10:11]
	s_delay_alu instid0(SALU_CYCLE_2) | instskip(NEXT) | instid1(SALU_CYCLE_3)
	s_fmamk_f32 s3, s7, 0x4f800000, s3
	v_s_rcp_f32 s3, s3
	s_delay_alu instid0(TRANS32_DEP_1) | instskip(NEXT) | instid1(SALU_CYCLE_3)
	s_mul_f32 s3, s3, 0x5f7ffffc
	s_mul_f32 s7, s3, 0x2f800000
	s_delay_alu instid0(SALU_CYCLE_3) | instskip(NEXT) | instid1(SALU_CYCLE_3)
	s_trunc_f32 s7, s7
	s_fmamk_f32 s3, s7, 0xcf800000, s3
	s_cvt_u32_f32 s13, s7
	s_delay_alu instid0(SALU_CYCLE_2) | instskip(NEXT) | instid1(SALU_CYCLE_3)
	s_cvt_u32_f32 s12, s3
	s_mul_u64 s[24:25], s[20:21], s[12:13]
	s_delay_alu instid0(SALU_CYCLE_1)
	s_mul_hi_u32 s29, s12, s25
	s_mul_i32 s28, s12, s25
	s_mul_hi_u32 s22, s12, s24
	s_mul_i32 s7, s13, s24
	s_add_nc_u64 s[22:23], s[22:23], s[28:29]
	s_mul_hi_u32 s3, s13, s24
	s_mul_hi_u32 s14, s13, s25
	s_add_co_u32 s7, s22, s7
	s_add_co_ci_u32 s26, s23, s3
	s_mul_i32 s24, s13, s25
	s_add_co_ci_u32 s25, s14, 0
	s_delay_alu instid0(SALU_CYCLE_1) | instskip(SKIP_3) | instid1(SALU_CYCLE_1)
	s_add_nc_u64 s[22:23], s[26:27], s[24:25]
	s_mov_b32 s25, s17
	s_add_co_u32 s12, s12, s22
	s_cselect_b32 s3, -1, 0
	s_cmp_lg_u32 s3, 0
	s_add_co_ci_u32 s13, s13, s23
	s_mov_b32 s23, s17
	s_mul_u64 s[20:21], s[20:21], s[12:13]
	s_delay_alu instid0(SALU_CYCLE_1)
	s_mul_hi_u32 s27, s12, s21
	s_mul_i32 s26, s12, s21
	s_mul_hi_u32 s22, s12, s20
	s_mul_i32 s7, s13, s20
	s_add_nc_u64 s[22:23], s[22:23], s[26:27]
	s_mul_hi_u32 s3, s13, s20
	s_mul_hi_u32 s14, s13, s21
	s_add_co_u32 s7, s22, s7
	s_add_co_ci_u32 s24, s23, s3
	s_mul_i32 s20, s13, s21
	s_add_co_ci_u32 s21, s14, 0
	s_mov_b32 s23, s17
	s_add_nc_u64 s[20:21], s[24:25], s[20:21]
	s_delay_alu instid0(SALU_CYCLE_1) | instskip(SKIP_1) | instid1(SALU_CYCLE_1)
	s_add_co_u32 s3, s12, s20
	s_cselect_b32 s7, -1, 0
	s_cmp_lg_u32 s7, 0
	s_add_co_ci_u32 s7, s13, s21
	s_ashr_i32 s12, s9, 31
	s_delay_alu instid0(SALU_CYCLE_1) | instskip(NEXT) | instid1(SALU_CYCLE_1)
	s_mov_b32 s13, s12
	s_add_nc_u64 s[20:21], s[8:9], s[12:13]
	s_delay_alu instid0(SALU_CYCLE_1) | instskip(NEXT) | instid1(SALU_CYCLE_1)
	s_xor_b64 s[20:21], s[20:21], s[12:13]
	s_mul_hi_u32 s27, s20, s7
	s_mul_i32 s26, s20, s7
	s_mul_hi_u32 s22, s20, s3
	s_mul_hi_u32 s14, s21, s3
	s_mul_i32 s3, s21, s3
	s_add_nc_u64 s[22:23], s[22:23], s[26:27]
	s_mul_hi_u32 s9, s21, s7
	s_add_co_u32 s3, s22, s3
	s_add_co_ci_u32 s24, s23, s14
	s_mul_i32 s26, s21, s7
	s_add_co_ci_u32 s27, s9, 0
	s_delay_alu instid0(SALU_CYCLE_1) | instskip(NEXT) | instid1(SALU_CYCLE_1)
	s_add_nc_u64 s[22:23], s[24:25], s[26:27]
	s_and_b64 s[24:25], s[22:23], 0xffffffff00000000
	s_delay_alu instid0(SALU_CYCLE_1) | instskip(NEXT) | instid1(SALU_CYCLE_1)
	s_or_b32 s24, s24, s22
	s_mul_u64 s[22:23], s[10:11], s[24:25]
	s_add_nc_u64 s[26:27], s[24:25], 1
	s_sub_co_u32 s3, s20, s22
	s_cselect_b32 s7, -1, 0
	s_sub_co_i32 s9, s21, s23
	s_cmp_lg_u32 s7, 0
	s_add_nc_u64 s[28:29], s[24:25], 2
	s_sub_co_ci_u32 s9, s9, s11
	s_sub_co_u32 s14, s3, s10
	s_cselect_b32 s20, -1, 0
	s_delay_alu instid0(SALU_CYCLE_1) | instskip(SKIP_1) | instid1(SALU_CYCLE_1)
	s_cmp_lg_u32 s20, 0
	s_sub_co_ci_u32 s9, s9, 0
	s_cmp_ge_u32 s9, s11
	s_cselect_b32 s20, -1, 0
	s_cmp_ge_u32 s14, s10
	s_cselect_b32 s14, -1, 0
	s_cmp_eq_u32 s9, s11
	s_cselect_b32 s9, s14, s20
	s_delay_alu instid0(SALU_CYCLE_1) | instskip(SKIP_4) | instid1(SALU_CYCLE_1)
	s_cmp_lg_u32 s9, 0
	s_cselect_b32 s9, s28, s26
	s_cselect_b32 s14, s29, s27
	s_cmp_lg_u32 s7, 0
	s_sub_co_ci_u32 s7, s21, s23
	s_cmp_ge_u32 s7, s11
	s_cselect_b32 s20, -1, 0
	s_cmp_ge_u32 s3, s10
	s_cselect_b32 s3, -1, 0
	s_cmp_eq_u32 s7, s11
	s_cselect_b32 s3, s3, s20
	s_delay_alu instid0(SALU_CYCLE_1) | instskip(SKIP_4) | instid1(SALU_CYCLE_1)
	s_cmp_lg_u32 s3, 0
	s_mov_b32 s3, s17
	s_cselect_b32 s11, s14, s25
	s_cselect_b32 s10, s9, s24
	s_xor_b64 s[12:13], s[12:13], 0
	s_xor_b64 s[10:11], s[10:11], s[12:13]
	s_delay_alu instid0(SALU_CYCLE_1)
	s_sub_nc_u64 s[20:21], s[10:11], s[12:13]
	s_and_not1_b32 vcc_lo, exec_lo, s3
	s_cbranch_vccnz .LBB19_3
.LBB19_2:
	v_cvt_f32_u32_e32 v1, s16
	s_sub_co_i32 s7, 0, s16
	s_mov_b32 s21, 0
	s_delay_alu instid0(VALU_DEP_1) | instskip(SKIP_1) | instid1(TRANS32_DEP_1)
	v_rcp_iflag_f32_e32 v1, v1
	v_nop
	v_mul_f32_e32 v1, 0x4f7ffffe, v1
	s_delay_alu instid0(VALU_DEP_1) | instskip(NEXT) | instid1(VALU_DEP_1)
	v_cvt_u32_f32_e32 v1, v1
	v_readfirstlane_b32 s3, v1
	s_mul_i32 s7, s7, s3
	s_delay_alu instid0(SALU_CYCLE_1) | instskip(NEXT) | instid1(SALU_CYCLE_1)
	s_mul_hi_u32 s7, s3, s7
	s_add_co_i32 s3, s3, s7
	s_delay_alu instid0(SALU_CYCLE_1) | instskip(NEXT) | instid1(SALU_CYCLE_1)
	s_mul_hi_u32 s3, s8, s3
	s_mul_i32 s7, s3, s16
	s_delay_alu instid0(SALU_CYCLE_1)
	s_sub_co_i32 s7, s8, s7
	s_add_co_i32 s8, s3, 1
	s_sub_co_i32 s9, s7, s16
	s_cmp_ge_u32 s7, s16
	s_cselect_b32 s3, s8, s3
	s_cselect_b32 s7, s9, s7
	s_add_co_i32 s8, s3, 1
	s_cmp_ge_u32 s7, s16
	s_cselect_b32 s20, s8, s3
.LBB19_3:
	s_add_co_i32 s8, s2, 1
	s_delay_alu instid0(SALU_CYCLE_1) | instskip(NEXT) | instid1(SALU_CYCLE_1)
	s_ashr_i32 s9, s8, 31
	s_mul_u64 s[8:9], s[18:19], s[8:9]
	s_delay_alu instid0(SALU_CYCLE_1) | instskip(NEXT) | instid1(SALU_CYCLE_1)
	s_and_b64 s[10:11], s[8:9], 0xffffffff00000000
	s_cmp_lg_u64 s[10:11], 0
	s_cbranch_scc0 .LBB19_22
; %bb.4:
	s_add_nc_u64 s[10:11], s[16:17], 0
	s_delay_alu instid0(SALU_CYCLE_1) | instskip(SKIP_4) | instid1(SALU_CYCLE_2)
	s_xor_b64 s[12:13], s[10:11], 0
	s_mov_b32 s11, 0
	s_cvt_f32_u32 s3, s12
	s_cvt_f32_u32 s7, s13
	s_sub_nc_u64 s[24:25], 0, s[12:13]
	s_fmamk_f32 s3, s7, 0x4f800000, s3
	s_delay_alu instid0(SALU_CYCLE_3) | instskip(NEXT) | instid1(TRANS32_DEP_1)
	v_s_rcp_f32 s3, s3
	s_mul_f32 s3, s3, 0x5f7ffffc
	s_delay_alu instid0(SALU_CYCLE_3) | instskip(NEXT) | instid1(SALU_CYCLE_3)
	s_mul_f32 s7, s3, 0x2f800000
	s_trunc_f32 s7, s7
	s_delay_alu instid0(SALU_CYCLE_3) | instskip(SKIP_1) | instid1(SALU_CYCLE_2)
	s_fmamk_f32 s3, s7, 0xcf800000, s3
	s_cvt_u32_f32 s23, s7
	s_cvt_u32_f32 s22, s3
	s_delay_alu instid0(SALU_CYCLE_3) | instskip(NEXT) | instid1(SALU_CYCLE_1)
	s_mul_u64 s[26:27], s[24:25], s[22:23]
	s_mul_hi_u32 s29, s22, s27
	s_mul_i32 s28, s22, s27
	s_mul_hi_u32 s10, s22, s26
	s_mul_i32 s7, s23, s26
	s_add_nc_u64 s[28:29], s[10:11], s[28:29]
	s_mul_hi_u32 s3, s23, s26
	s_mul_hi_u32 s14, s23, s27
	s_add_co_u32 s7, s28, s7
	s_add_co_ci_u32 s10, s29, s3
	s_mul_i32 s26, s23, s27
	s_add_co_ci_u32 s27, s14, 0
	s_delay_alu instid0(SALU_CYCLE_1) | instskip(NEXT) | instid1(SALU_CYCLE_1)
	s_add_nc_u64 s[26:27], s[10:11], s[26:27]
	s_add_co_u32 s22, s22, s26
	s_cselect_b32 s3, -1, 0
	s_delay_alu instid0(SALU_CYCLE_1) | instskip(SKIP_1) | instid1(SALU_CYCLE_1)
	s_cmp_lg_u32 s3, 0
	s_add_co_ci_u32 s23, s23, s27
	s_mul_u64 s[24:25], s[24:25], s[22:23]
	s_delay_alu instid0(SALU_CYCLE_1)
	s_mul_hi_u32 s27, s22, s25
	s_mul_i32 s26, s22, s25
	s_mul_hi_u32 s10, s22, s24
	s_mul_i32 s7, s23, s24
	s_add_nc_u64 s[26:27], s[10:11], s[26:27]
	s_mul_hi_u32 s3, s23, s24
	s_mul_hi_u32 s14, s23, s25
	s_add_co_u32 s7, s26, s7
	s_add_co_ci_u32 s10, s27, s3
	s_mul_i32 s24, s23, s25
	s_add_co_ci_u32 s25, s14, 0
	s_delay_alu instid0(SALU_CYCLE_1) | instskip(NEXT) | instid1(SALU_CYCLE_1)
	s_add_nc_u64 s[24:25], s[10:11], s[24:25]
	s_add_co_u32 s3, s22, s24
	s_cselect_b32 s7, -1, 0
	s_delay_alu instid0(SALU_CYCLE_1) | instskip(SKIP_2) | instid1(SALU_CYCLE_1)
	s_cmp_lg_u32 s7, 0
	s_add_co_ci_u32 s7, s23, s25
	s_ashr_i32 s22, s9, 31
	s_mov_b32 s23, s22
	s_delay_alu instid0(SALU_CYCLE_1) | instskip(NEXT) | instid1(SALU_CYCLE_1)
	s_add_nc_u64 s[24:25], s[8:9], s[22:23]
	s_xor_b64 s[24:25], s[24:25], s[22:23]
	s_delay_alu instid0(SALU_CYCLE_1)
	s_mul_hi_u32 s27, s24, s7
	s_mul_i32 s26, s24, s7
	s_mul_hi_u32 s10, s24, s3
	s_mul_hi_u32 s14, s25, s3
	s_mul_i32 s3, s25, s3
	s_add_nc_u64 s[26:27], s[10:11], s[26:27]
	s_mul_hi_u32 s9, s25, s7
	s_add_co_u32 s3, s26, s3
	s_add_co_ci_u32 s10, s27, s14
	s_mul_i32 s28, s25, s7
	s_add_co_ci_u32 s29, s9, 0
	s_delay_alu instid0(SALU_CYCLE_1) | instskip(NEXT) | instid1(SALU_CYCLE_1)
	s_add_nc_u64 s[26:27], s[10:11], s[28:29]
	s_and_b64 s[28:29], s[26:27], 0xffffffff00000000
	s_delay_alu instid0(SALU_CYCLE_1) | instskip(NEXT) | instid1(SALU_CYCLE_1)
	s_or_b32 s28, s28, s26
	s_mul_u64 s[26:27], s[12:13], s[28:29]
	s_add_nc_u64 s[30:31], s[28:29], 1
	s_sub_co_u32 s3, s24, s26
	s_cselect_b32 s7, -1, 0
	s_sub_co_i32 s9, s25, s27
	s_cmp_lg_u32 s7, 0
	s_add_nc_u64 s[34:35], s[28:29], 2
	s_sub_co_ci_u32 s9, s9, s13
	s_sub_co_u32 s10, s3, s12
	s_cselect_b32 s14, -1, 0
	s_delay_alu instid0(SALU_CYCLE_1) | instskip(SKIP_1) | instid1(SALU_CYCLE_1)
	s_cmp_lg_u32 s14, 0
	s_sub_co_ci_u32 s9, s9, 0
	s_cmp_ge_u32 s9, s13
	s_cselect_b32 s14, -1, 0
	s_cmp_ge_u32 s10, s12
	s_cselect_b32 s10, -1, 0
	s_cmp_eq_u32 s9, s13
	s_cselect_b32 s9, s10, s14
	s_delay_alu instid0(SALU_CYCLE_1) | instskip(SKIP_4) | instid1(SALU_CYCLE_1)
	s_cmp_lg_u32 s9, 0
	s_cselect_b32 s9, s34, s30
	s_cselect_b32 s10, s35, s31
	s_cmp_lg_u32 s7, 0
	s_sub_co_ci_u32 s7, s25, s27
	s_cmp_ge_u32 s7, s13
	s_cselect_b32 s14, -1, 0
	s_cmp_ge_u32 s3, s12
	s_cselect_b32 s3, -1, 0
	s_cmp_eq_u32 s7, s13
	s_cselect_b32 s3, s3, s14
	s_delay_alu instid0(SALU_CYCLE_1) | instskip(SKIP_3) | instid1(SALU_CYCLE_1)
	s_cmp_lg_u32 s3, 0
	s_cselect_b32 s13, s10, s29
	s_cselect_b32 s12, s9, s28
	s_xor_b64 s[22:23], s[22:23], 0
	s_xor_b64 s[12:13], s[12:13], s[22:23]
	s_delay_alu instid0(SALU_CYCLE_1)
	s_sub_nc_u64 s[24:25], s[12:13], s[22:23]
	s_load_b96 s[12:14], s[0:1], 0x44
	s_cbranch_execnz .LBB19_6
.LBB19_5:
	v_cvt_f32_u32_e32 v1, s16
	s_sub_co_i32 s7, 0, s16
	s_delay_alu instid0(VALU_DEP_1) | instskip(SKIP_1) | instid1(TRANS32_DEP_1)
	v_rcp_iflag_f32_e32 v1, v1
	v_nop
	v_mul_f32_e32 v1, 0x4f7ffffe, v1
	s_delay_alu instid0(VALU_DEP_1) | instskip(NEXT) | instid1(VALU_DEP_1)
	v_cvt_u32_f32_e32 v1, v1
	v_readfirstlane_b32 s3, v1
	s_mul_i32 s7, s7, s3
	s_delay_alu instid0(SALU_CYCLE_1) | instskip(NEXT) | instid1(SALU_CYCLE_1)
	s_mul_hi_u32 s7, s3, s7
	s_add_co_i32 s3, s3, s7
	s_delay_alu instid0(SALU_CYCLE_1) | instskip(NEXT) | instid1(SALU_CYCLE_1)
	s_mul_hi_u32 s3, s8, s3
	s_mul_i32 s7, s3, s16
	s_delay_alu instid0(SALU_CYCLE_1)
	s_sub_co_i32 s7, s8, s7
	s_add_co_i32 s8, s3, 1
	s_sub_co_i32 s9, s7, s16
	s_cmp_ge_u32 s7, s16
	s_cselect_b32 s3, s8, s3
	s_cselect_b32 s7, s9, s7
	s_add_co_i32 s8, s3, 1
	s_cmp_ge_u32 s7, s16
	s_cselect_b32 s24, s8, s3
.LBB19_6:
	s_delay_alu instid0(SALU_CYCLE_1)
	s_cmp_eq_u32 s20, s24
	s_mov_b64 s[8:9], 0xffffffff
	s_cselect_b32 s3, -1, 0
	s_and_b64 s[8:9], s[20:21], s[8:9]
	s_mov_b32 s23, 0
	s_wait_kmcnt 0x0
	s_mov_b32 s22, s12
	s_mov_b32 s25, s23
	s_mul_u64 s[10:11], s[8:9], s[22:23]
	s_delay_alu instid0(SALU_CYCLE_1) | instskip(SKIP_2) | instid1(SALU_CYCLE_1)
	s_add_co_i32 s7, s11, s20
	s_mul_u64 s[10:11], s[24:25], s[22:23]
	s_lshr_b32 s12, s7, s13
	s_mul_i32 s7, s12, s14
	s_delay_alu instid0(SALU_CYCLE_1) | instskip(SKIP_2) | instid1(SALU_CYCLE_1)
	s_cmp_eq_u32 s7, s20
	s_cselect_b32 s7, -1, 0
	s_add_co_i32 s10, s11, s24
	s_lshr_b32 s10, s10, s13
	s_delay_alu instid0(SALU_CYCLE_1)
	s_cmp_eq_u32 s12, s10
	s_mul_i32 s10, s10, s14
	s_cselect_b32 s11, -1, 0
	s_cmp_lg_u32 s10, s24
	s_cselect_b32 s10, -1, 0
	s_or_b32 s3, s3, s7
	s_and_b32 s10, s11, s10
	s_delay_alu instid0(SALU_CYCLE_1) | instskip(NEXT) | instid1(SALU_CYCLE_1)
	s_or_b32 s3, s3, s10
	s_and_b32 vcc_lo, exec_lo, s3
	s_cbranch_vccnz .LBB19_24
; %bb.7:
	s_load_b256 s[24:31], s[0:1], 0x20
	s_bfe_u32 s7, ttmp6, 0x40014
	s_bfe_u32 s33, ttmp6, 0x40010
	s_lshr_b32 s3, ttmp7, 16
	s_add_co_i32 s7, s7, 1
	s_and_b32 s21, ttmp7, 0xffff
	s_add_co_i32 s33, s33, 1
	s_bfe_u32 s10, ttmp6, 0x40008
	s_mul_i32 s7, s3, s7
	s_bfe_u32 s34, ttmp6, 0x40004
	s_mul_i32 s33, s21, s33
	s_mov_b32 s11, s23
	s_add_co_i32 s35, s10, s7
	s_add_co_i32 s34, s34, s33
	s_cmp_eq_u32 s15, 0
	s_cselect_b32 s7, s21, s34
	s_cselect_b32 s3, s3, s35
	s_wait_kmcnt 0x0
	s_mov_b32 s10, s24
	s_delay_alu instid0(SALU_CYCLE_1) | instskip(NEXT) | instid1(SALU_CYCLE_1)
	s_mul_u64 s[8:9], s[8:9], s[10:11]
	s_add_co_i32 s8, s9, s20
	s_load_b32 s9, s[0:1], 0x40
	s_lshr_b32 s8, s8, s25
	s_delay_alu instid0(SALU_CYCLE_1) | instskip(NEXT) | instid1(SALU_CYCLE_1)
	s_mul_i32 s10, s8, s26
	s_sub_co_i32 s10, s20, s10
	s_delay_alu instid0(SALU_CYCLE_1) | instskip(NEXT) | instid1(SALU_CYCLE_1)
	s_mul_hi_u32 s11, s10, s27
	s_add_co_i32 s11, s10, s11
	s_delay_alu instid0(SALU_CYCLE_1) | instskip(NEXT) | instid1(SALU_CYCLE_1)
	s_lshr_b32 s15, s11, s28
	s_mul_i32 s11, s15, s29
	s_delay_alu instid0(SALU_CYCLE_1) | instskip(NEXT) | instid1(SALU_CYCLE_1)
	s_sub_co_i32 s10, s10, s11
	s_mul_hi_u32 s11, s10, s30
	s_delay_alu instid0(SALU_CYCLE_1) | instskip(NEXT) | instid1(SALU_CYCLE_1)
	s_add_co_i32 s11, s10, s11
	s_lshr_b32 s26, s11, s31
	s_mov_b32 s11, s23
	s_wait_kmcnt 0x0
	s_mul_i32 s9, s26, s9
	s_delay_alu instid0(SALU_CYCLE_1) | instskip(NEXT) | instid1(SALU_CYCLE_1)
	s_sub_co_i32 s10, s10, s9
	s_mul_u64 s[24:25], s[10:11], s[22:23]
	s_lshl_b32 s24, s26, 2
	s_add_co_i32 s9, s10, s25
	s_delay_alu instid0(SALU_CYCLE_1) | instskip(NEXT) | instid1(SALU_CYCLE_1)
	s_lshr_b32 s21, s9, s13
	s_lshl_b32 s9, s21, 1
	s_delay_alu instid0(SALU_CYCLE_1) | instskip(NEXT) | instid1(SALU_CYCLE_1)
	s_add_co_i32 s9, s9, s7
	s_cmp_lt_i32 s9, s4
	s_cselect_b32 s9, -1, 0
	s_add_co_i32 s10, s24, s3
	s_delay_alu instid0(SALU_CYCLE_1) | instskip(SKIP_1) | instid1(SALU_CYCLE_1)
	s_cmp_lt_i32 s10, s6
	s_cselect_b32 s10, -1, 0
	s_and_b32 s9, s9, s10
	s_delay_alu instid0(SALU_CYCLE_1)
	s_and_not1_b32 vcc_lo, exec_lo, s9
	s_cbranch_vccnz .LBB19_24
; %bb.8:
	s_mul_i32 s4, s8, s4
	s_load_b128 s[8:11], s[0:1], 0x0
	s_wait_xcnt 0x0
	s_add_co_i32 s0, s4, s7
	s_mul_i32 s15, s15, s6
	s_mul_i32 s0, s0, s5
	;; [unrolled: 1-line block ×3, first 2 shown]
	s_add_co_i32 s0, s0, s3
	s_lshl_b32 s1, s1, 10
	s_add_co_i32 s0, s0, s15
	s_lshl_b32 s15, s7, 2
	s_add_co_i32 s0, s0, s24
	s_add_co_i32 s15, s15, s3
	s_lshl_b32 s0, s0, 9
	v_lshl_or_b32 v6, s15, 9, v0
	s_add_co_i32 s1, s1, s0
	v_cvt_f32_u32_e32 v4, s16
	v_or_b32_e32 v2, s1, v0
	s_add_nc_u64 s[0:1], s[16:17], 0
	s_lshl_b32 s24, s16, 5
	s_xor_b64 s[6:7], s[0:1], 0
	s_lshl_b32 s0, s2, 3
	s_cvt_f32_u32 s3, s6
	s_add_co_i32 s0, s15, s0
	s_cvt_f32_u32 s4, s7
	s_ashr_i32 s1, s0, 31
	v_rcp_iflag_f32_e32 v4, v4
	s_lshl_b64 s[0:1], s[0:1], 3
	s_fmamk_f32 s3, s4, 0x4f800000, s3
	s_wait_kmcnt 0x0
	s_add_nc_u64 s[0:1], s[10:11], s[0:1]
	s_mov_b32 s25, 0
	s_load_b64 s[28:29], s[0:1], 0x0
	v_s_rcp_f32 s3, s3
	s_wait_xcnt 0x0
	s_lshl_b64 s[0:1], s[24:25], 2
	s_add_co_i32 s36, s2, -1
	s_add_nc_u64 s[26:27], s[10:11], s[0:1]
	s_sub_nc_u64 s[34:35], 0, s[6:7]
	v_mul_f32_e32 v4, 0x4f7ffffe, v4
	s_delay_alu instid0(TRANS32_DEP_1) | instskip(NEXT) | instid1(VALU_DEP_1)
	s_mul_f32 s3, s3, 0x5f7ffffc
	v_cvt_u32_f32_e32 v7, v4
	s_delay_alu instid0(SALU_CYCLE_2) | instskip(NEXT) | instid1(SALU_CYCLE_3)
	s_mul_f32 s4, s3, 0x2f800000
	s_trunc_f32 s4, s4
	s_wait_kmcnt 0x0
	v_mov_b32_e32 v0, s29
	global_load_b32 v1, v2, s[8:9] scale_offset
	v_ashrrev_i32_e32 v3, 31, v2
	s_fmamk_f32 s0, s4, 0xcf800000, s3
	s_cvt_u32_f32 s31, s4
	s_wait_xcnt 0x0
	s_delay_alu instid0(VALU_DEP_1)
	v_lshl_add_u64 v[2:3], v[2:3], 2, s[8:9]
	s_cvt_u32_f32 s30, s0
	s_mov_b64 s[8:9], 0xffffffff
.LBB19_9:                               ; =>This Inner Loop Header: Depth=1
	s_ashr_i32 s37, s36, 31
                                        ; implicit-def: $sgpr40_sgpr41
	s_delay_alu instid0(SALU_CYCLE_1) | instskip(NEXT) | instid1(SALU_CYCLE_1)
	s_mul_u64 s[0:1], s[36:37], s[18:19]
	s_and_b64 s[2:3], s[0:1], 0xffffffff00000000
	s_delay_alu instid0(SALU_CYCLE_1)
	s_cmp_lg_u64 s[2:3], 0
	s_mov_b32 s2, -1
	s_cbranch_scc0 .LBB19_11
; %bb.10:                               ;   in Loop: Header=BB19_9 Depth=1
	s_mul_u64 s[2:3], s[34:35], s[30:31]
	s_delay_alu instid0(SALU_CYCLE_1)
	s_mul_hi_u32 s5, s30, s3
	s_mul_i32 s4, s30, s3
	s_mul_hi_u32 s24, s30, s2
	s_mul_hi_u32 s17, s31, s2
	s_add_nc_u64 s[4:5], s[24:25], s[4:5]
	s_mul_i32 s2, s31, s2
	s_mul_hi_u32 s21, s31, s3
	s_add_co_u32 s2, s4, s2
	s_add_co_ci_u32 s24, s5, s17
	s_add_co_ci_u32 s5, s21, 0
	s_mul_i32 s4, s31, s3
	s_delay_alu instid0(SALU_CYCLE_1) | instskip(NEXT) | instid1(SALU_CYCLE_1)
	s_add_nc_u64 s[2:3], s[24:25], s[4:5]
	s_add_co_u32 s2, s30, s2
	s_cselect_b32 s4, -1, 0
	s_delay_alu instid0(SALU_CYCLE_1) | instskip(SKIP_1) | instid1(SALU_CYCLE_1)
	s_cmp_lg_u32 s4, 0
	s_add_co_ci_u32 s3, s31, s3
	s_mul_u64 s[4:5], s[34:35], s[2:3]
	s_delay_alu instid0(SALU_CYCLE_1)
	s_mul_hi_u32 s39, s2, s5
	s_mul_i32 s38, s2, s5
	s_mul_hi_u32 s24, s2, s4
	s_mul_hi_u32 s17, s3, s4
	s_mul_i32 s4, s3, s4
	s_add_nc_u64 s[38:39], s[24:25], s[38:39]
	s_mul_hi_u32 s21, s3, s5
	s_add_co_u32 s4, s38, s4
	s_add_co_ci_u32 s24, s39, s17
	s_mul_i32 s4, s3, s5
	s_add_co_ci_u32 s5, s21, 0
	s_delay_alu instid0(SALU_CYCLE_1) | instskip(NEXT) | instid1(SALU_CYCLE_1)
	s_add_nc_u64 s[4:5], s[24:25], s[4:5]
	s_add_co_u32 s17, s2, s4
	s_cselect_b32 s2, -1, 0
	s_delay_alu instid0(SALU_CYCLE_1) | instskip(SKIP_2) | instid1(SALU_CYCLE_1)
	s_cmp_lg_u32 s2, 0
	s_add_co_ci_u32 s21, s3, s5
	s_ashr_i32 s2, s1, 31
	s_mov_b32 s3, s2
	s_delay_alu instid0(SALU_CYCLE_1) | instskip(NEXT) | instid1(SALU_CYCLE_1)
	s_add_nc_u64 s[4:5], s[0:1], s[2:3]
	s_xor_b64 s[4:5], s[4:5], s[2:3]
	s_delay_alu instid0(SALU_CYCLE_1)
	s_mul_hi_u32 s39, s4, s21
	s_mul_i32 s38, s4, s21
	s_mul_hi_u32 s24, s4, s17
	s_mul_hi_u32 s29, s5, s17
	s_mul_i32 s17, s5, s17
	s_add_nc_u64 s[38:39], s[24:25], s[38:39]
	s_mul_hi_u32 s1, s5, s21
	s_add_co_u32 s17, s38, s17
	s_add_co_ci_u32 s24, s39, s29
	s_mul_i32 s40, s5, s21
	s_add_co_ci_u32 s41, s1, 0
	s_delay_alu instid0(SALU_CYCLE_1) | instskip(NEXT) | instid1(SALU_CYCLE_1)
	s_add_nc_u64 s[38:39], s[24:25], s[40:41]
	s_and_b64 s[40:41], s[38:39], 0xffffffff00000000
	s_delay_alu instid0(SALU_CYCLE_1) | instskip(NEXT) | instid1(SALU_CYCLE_1)
	s_or_b32 s40, s40, s38
	s_mul_u64 s[38:39], s[6:7], s[40:41]
	s_add_nc_u64 s[42:43], s[40:41], 1
	s_sub_co_u32 s1, s4, s38
	s_cselect_b32 s4, -1, 0
	s_sub_co_i32 s17, s5, s39
	s_cmp_lg_u32 s4, 0
	s_add_nc_u64 s[44:45], s[40:41], 2
	s_sub_co_ci_u32 s17, s17, s7
	s_sub_co_u32 s21, s1, s6
	s_cselect_b32 s24, -1, 0
	s_delay_alu instid0(SALU_CYCLE_1) | instskip(SKIP_1) | instid1(SALU_CYCLE_1)
	s_cmp_lg_u32 s24, 0
	s_sub_co_ci_u32 s17, s17, 0
	s_cmp_ge_u32 s17, s7
	s_cselect_b32 s24, -1, 0
	s_cmp_ge_u32 s21, s6
	s_cselect_b32 s21, -1, 0
	s_cmp_eq_u32 s17, s7
	s_cselect_b32 s17, s21, s24
	s_delay_alu instid0(SALU_CYCLE_1) | instskip(SKIP_4) | instid1(SALU_CYCLE_1)
	s_cmp_lg_u32 s17, 0
	s_cselect_b32 s17, s44, s42
	s_cselect_b32 s21, s45, s43
	s_cmp_lg_u32 s4, 0
	s_sub_co_ci_u32 s4, s5, s39
	s_cmp_ge_u32 s4, s7
	s_cselect_b32 s5, -1, 0
	s_cmp_ge_u32 s1, s6
	s_cselect_b32 s1, -1, 0
	s_cmp_eq_u32 s4, s7
	s_cselect_b32 s1, s1, s5
	s_delay_alu instid0(SALU_CYCLE_1) | instskip(SKIP_3) | instid1(SALU_CYCLE_1)
	s_cmp_lg_u32 s1, 0
	s_cselect_b32 s5, s21, s41
	s_cselect_b32 s4, s17, s40
	s_xor_b64 s[2:3], s[2:3], 0
	s_xor_b64 s[4:5], s[4:5], s[2:3]
	s_delay_alu instid0(SALU_CYCLE_1)
	s_sub_nc_u64 s[40:41], s[4:5], s[2:3]
	s_mov_b32 s2, 0
.LBB19_11:                              ;   in Loop: Header=BB19_9 Depth=1
	s_delay_alu instid0(SALU_CYCLE_1)
	s_and_not1_b32 vcc_lo, exec_lo, s2
	s_cbranch_vccnz .LBB19_13
; %bb.12:                               ;   in Loop: Header=BB19_9 Depth=1
	v_readfirstlane_b32 s1, v7
	s_sub_co_i32 s2, 0, s16
	s_delay_alu instid0(SALU_CYCLE_1) | instskip(NEXT) | instid1(SALU_CYCLE_1)
	s_mul_i32 s2, s2, s1
	s_mul_hi_u32 s2, s1, s2
	s_delay_alu instid0(SALU_CYCLE_1) | instskip(NEXT) | instid1(SALU_CYCLE_1)
	s_add_co_i32 s1, s1, s2
	s_mul_hi_u32 s1, s0, s1
	s_delay_alu instid0(SALU_CYCLE_1) | instskip(NEXT) | instid1(SALU_CYCLE_1)
	s_mul_i32 s2, s1, s16
	s_sub_co_i32 s0, s0, s2
	s_add_co_i32 s2, s1, 1
	s_sub_co_i32 s3, s0, s16
	s_cmp_ge_u32 s0, s16
	s_cselect_b32 s1, s2, s1
	s_cselect_b32 s0, s3, s0
	s_add_co_i32 s2, s1, 1
	s_cmp_ge_u32 s0, s16
	s_cselect_b32 s24, s2, s1
	s_delay_alu instid0(SALU_CYCLE_1)
	s_mov_b64 s[40:41], s[24:25]
.LBB19_13:                              ;   in Loop: Header=BB19_9 Depth=1
	s_delay_alu instid0(SALU_CYCLE_1)
	s_cmp_lg_u32 s20, s40
	s_mov_b32 s0, -1
                                        ; implicit-def: $vgpr4_vgpr5
                                        ; implicit-def: $sgpr24
                                        ; implicit-def: $sgpr17
                                        ; implicit-def: $sgpr21
                                        ; implicit-def: $sgpr29
	s_cbranch_scc0 .LBB19_18
; %bb.14:                               ;   in Loop: Header=BB19_9 Depth=1
	s_add_co_i32 s0, s36, s16
	v_max_num_f32_e64 v4, s28, s28
	s_lshl_b32 s0, s0, 3
	s_mov_b32 s29, s20
	s_add_co_i32 s0, s0, s15
	s_load_b64 s[38:39], s[10:11], s0 offset:0x0 scale_offset
	s_wait_xcnt 0x0
	v_readfirstlane_b32 s0, v4
	s_wait_kmcnt 0x0
	v_max_num_f32_e64 v5, s38, s38
	s_delay_alu instid0(VALU_DEP_1) | instskip(SKIP_1) | instid1(SALU_CYCLE_3)
	v_readfirstlane_b32 s1, v5
	s_max_num_f32 s17, s0, s1
	s_sub_f32 s33, s28, s17
	s_sub_f32 s37, s38, s17
	s_delay_alu instid0(SALU_CYCLE_2)
	s_cmp_nlt_f32 s33, 0xc2ce8ed0
	s_cselect_b32 s1, -1, 0
	s_cmp_ngt_f32 s33, 0x42b17218
	s_cselect_b32 s2, -1, 0
	s_cmp_ge_f32 s33, 0xc1a00000
	s_cselect_b32 s0, -1, 0
	s_cmp_nlt_f32 s37, 0xc2ce8ed0
	s_cselect_b32 s3, -1, 0
	s_cmp_ngt_f32 s37, 0x42b17218
	s_cselect_b32 s4, -1, 0
	s_cmp_ge_f32 s37, 0xc1a00000
	s_cselect_b32 s5, -1, 0
	s_and_b64 s[42:43], s[40:41], s[8:9]
	s_delay_alu instid0(SALU_CYCLE_1) | instskip(NEXT) | instid1(SALU_CYCLE_1)
	s_mul_u64 s[42:43], s[42:43], s[22:23]
	s_add_co_i32 s21, s43, s40
	s_delay_alu instid0(SALU_CYCLE_1) | instskip(NEXT) | instid1(SALU_CYCLE_1)
	s_lshr_b32 s21, s21, s13
	s_mul_i32 s24, s21, s14
	s_delay_alu instid0(SALU_CYCLE_1) | instskip(SKIP_3) | instid1(SALU_CYCLE_1)
	s_cmp_eq_u32 s24, s40
	s_cselect_b32 s24, -1, 0
	s_cmp_lt_u32 s21, s12
	s_cselect_b32 s21, -1, 0
	s_or_b32 s21, s21, s24
	s_mov_b32 s24, -1
	s_and_b32 vcc_lo, exec_lo, s21
	s_mov_b32 s21, s36
	s_cbranch_vccnz .LBB19_16
; %bb.15:                               ;   in Loop: Header=BB19_9 Depth=1
	s_add_co_i32 s21, s36, -1
	s_mov_b32 s24, 0
	s_mov_b32 s29, s40
.LBB19_16:                              ;   in Loop: Header=BB19_9 Depth=1
	v_lshl_add_u32 v4, s36, 12, v6
	s_mul_f32 s40, s33, 0x3fb8aa3b
	s_mul_f32 s38, s37, 0x3fb8aa3b
	s_delay_alu instid0(SALU_CYCLE_2)
	s_xor_b32 s42, s40, 0x80000000
	global_load_b32 v5, v4, s[26:27] scale_offset
	s_fmamk_f32 s42, s33, 0x3fb8aa3b, s42
	s_rndne_f32 s44, s40
	s_xor_b32 s41, s38, 0x80000000
	s_rndne_f32 s43, s38
	s_fmamk_f32 s33, s33, 0x32a5705f, s42
	s_sub_f32 s40, s40, s44
	s_fmamk_f32 s41, s37, 0x3fb8aa3b, s41
	s_sub_f32 s38, s38, s43
	s_delay_alu instid0(SALU_CYCLE_1) | instskip(NEXT) | instid1(SALU_CYCLE_1)
	s_add_f32 s33, s40, s33
	s_fmamk_f32 s37, s37, 0x32a5705f, s41
	s_cvt_i32_f32 s40, s44
	s_delay_alu instid0(SALU_CYCLE_1) | instskip(NEXT) | instid1(SALU_CYCLE_1)
	v_s_exp_f32 s33, s33
	s_add_f32 s37, s38, s37
	s_cvt_i32_f32 s38, s43
	s_delay_alu instid0(SALU_CYCLE_2) | instskip(NEXT) | instid1(TRANS32_DEP_2)
	v_s_exp_f32 s37, s37
	v_ldexp_f32 v8, s33, s40
	s_wait_xcnt 0x0
	s_delay_alu instid0(TRANS32_DEP_1) | instskip(NEXT) | instid1(VALU_DEP_2)
	v_ldexp_f32 v4, s37, s38
	v_cndmask_b32_e64 v8, 0, v8, s1
	s_delay_alu instid0(VALU_DEP_1) | instskip(NEXT) | instid1(VALU_DEP_1)
	v_cndmask_b32_e64 v9, 0x7f800000, v8, s2
	v_dual_cndmask_b32 v4, 0, v4, s3 :: v_dual_cndmask_b32 v10, 0, v9, s0
	s_delay_alu instid0(VALU_DEP_1) | instskip(NEXT) | instid1(VALU_DEP_1)
	v_cndmask_b32_e64 v4, 0x7f800000, v4, s4
	v_dual_cndmask_b32 v8, 0, v4, s5 :: v_dual_mov_b32 v4, s39
	s_wait_loadcnt 0x0
	s_delay_alu instid0(VALU_DEP_1) | instskip(NEXT) | instid1(VALU_DEP_1)
	v_pk_mul_f32 v[4:5], v[4:5], v[8:9] op_sel_hi:[1,0]
	v_pk_fma_f32 v[4:5], v[0:1], v[10:11], v[4:5] op_sel_hi:[1,0,1]
	s_cbranch_execz .LBB19_19
.LBB19_17:                              ;   in Loop: Header=BB19_9 Depth=1
	s_and_not1_b32 vcc_lo, exec_lo, s24
	s_cbranch_vccnz .LBB19_20
	s_branch .LBB19_23
.LBB19_18:                              ;   in Loop: Header=BB19_9 Depth=1
	s_and_not1_b32 vcc_lo, exec_lo, s0
	s_cbranch_vccnz .LBB19_17
.LBB19_19:                              ;   in Loop: Header=BB19_9 Depth=1
	s_wait_loadcnt 0x0
	v_mov_b64_e32 v[4:5], v[0:1]
	s_add_co_i32 s21, s36, -1
	s_mov_b32 s29, s20
	s_mov_b32 s17, s28
	s_cbranch_execz .LBB19_23
.LBB19_20:                              ;   in Loop: Header=BB19_9 Depth=1
	s_wait_loadcnt 0x0
	s_delay_alu instid0(VALU_DEP_1)
	v_mov_b64_e32 v[0:1], v[4:5]
	s_mov_b32 s20, s29
	s_mov_b32 s36, s21
	;; [unrolled: 1-line block ×3, first 2 shown]
	s_branch .LBB19_9
.LBB19_21:
                                        ; implicit-def: $sgpr20_sgpr21
	s_branch .LBB19_2
.LBB19_22:
                                        ; implicit-def: $sgpr24_sgpr25
	s_load_b96 s[12:14], s[0:1], 0x44
	s_branch .LBB19_5
.LBB19_23:
	s_delay_alu instid0(VALU_DEP_1) | instskip(SKIP_1) | instid1(VALU_DEP_1)
	v_div_scale_f32 v0, null, v4, v4, v5
	s_wait_loadcnt 0x0
	v_rcp_f32_e32 v1, v0
	v_nop
	s_delay_alu instid0(TRANS32_DEP_1) | instskip(NEXT) | instid1(VALU_DEP_1)
	v_fma_f32 v6, -v0, v1, 1.0
	v_fmac_f32_e32 v1, v6, v1
	v_div_scale_f32 v6, vcc_lo, v5, v4, v5
	s_delay_alu instid0(VALU_DEP_1) | instskip(NEXT) | instid1(VALU_DEP_1)
	v_mul_f32_e32 v7, v6, v1
	v_fma_f32 v8, -v0, v7, v6
	s_delay_alu instid0(VALU_DEP_1) | instskip(NEXT) | instid1(VALU_DEP_1)
	v_fmac_f32_e32 v7, v8, v1
	v_fma_f32 v0, -v0, v7, v6
	s_delay_alu instid0(VALU_DEP_1) | instskip(NEXT) | instid1(VALU_DEP_1)
	v_div_fmas_f32 v0, v0, v1, v7
	v_div_fixup_f32 v0, v0, v4, v5
	global_store_b32 v[2:3], v0, off
.LBB19_24:
	s_endpgm
	.section	.rodata,"a",@progbits
	.p2align	6, 0x0
	.amdhsa_kernel _ZL33flash_attn_stream_k_fixup_generalILi512ELi2ELi4EEvPfPK15HIP_vector_typeIfLj2EEiiiiS1_IjLj3EES5_S5_S5_
		.amdhsa_group_segment_fixed_size 0
		.amdhsa_private_segment_fixed_size 0
		.amdhsa_kernarg_size 336
		.amdhsa_user_sgpr_count 2
		.amdhsa_user_sgpr_dispatch_ptr 0
		.amdhsa_user_sgpr_queue_ptr 0
		.amdhsa_user_sgpr_kernarg_segment_ptr 1
		.amdhsa_user_sgpr_dispatch_id 0
		.amdhsa_user_sgpr_kernarg_preload_length 0
		.amdhsa_user_sgpr_kernarg_preload_offset 0
		.amdhsa_user_sgpr_private_segment_size 0
		.amdhsa_wavefront_size32 1
		.amdhsa_uses_dynamic_stack 0
		.amdhsa_enable_private_segment 0
		.amdhsa_system_sgpr_workgroup_id_x 1
		.amdhsa_system_sgpr_workgroup_id_y 1
		.amdhsa_system_sgpr_workgroup_id_z 1
		.amdhsa_system_sgpr_workgroup_info 0
		.amdhsa_system_vgpr_workitem_id 0
		.amdhsa_next_free_vgpr 12
		.amdhsa_next_free_sgpr 46
		.amdhsa_named_barrier_count 0
		.amdhsa_reserve_vcc 1
		.amdhsa_float_round_mode_32 0
		.amdhsa_float_round_mode_16_64 0
		.amdhsa_float_denorm_mode_32 3
		.amdhsa_float_denorm_mode_16_64 3
		.amdhsa_fp16_overflow 0
		.amdhsa_memory_ordered 1
		.amdhsa_forward_progress 1
		.amdhsa_inst_pref_size 27
		.amdhsa_round_robin_scheduling 0
		.amdhsa_exception_fp_ieee_invalid_op 0
		.amdhsa_exception_fp_denorm_src 0
		.amdhsa_exception_fp_ieee_div_zero 0
		.amdhsa_exception_fp_ieee_overflow 0
		.amdhsa_exception_fp_ieee_underflow 0
		.amdhsa_exception_fp_ieee_inexact 0
		.amdhsa_exception_int_div_zero 0
	.end_amdhsa_kernel
	.section	.text._ZL33flash_attn_stream_k_fixup_generalILi512ELi2ELi4EEvPfPK15HIP_vector_typeIfLj2EEiiiiS1_IjLj3EES5_S5_S5_,"axG",@progbits,_ZL33flash_attn_stream_k_fixup_generalILi512ELi2ELi4EEvPfPK15HIP_vector_typeIfLj2EEiiiiS1_IjLj3EES5_S5_S5_,comdat
.Lfunc_end19:
	.size	_ZL33flash_attn_stream_k_fixup_generalILi512ELi2ELi4EEvPfPK15HIP_vector_typeIfLj2EEiiiiS1_IjLj3EES5_S5_S5_, .Lfunc_end19-_ZL33flash_attn_stream_k_fixup_generalILi512ELi2ELi4EEvPfPK15HIP_vector_typeIfLj2EEiiiiS1_IjLj3EES5_S5_S5_
                                        ; -- End function
	.set _ZL33flash_attn_stream_k_fixup_generalILi512ELi2ELi4EEvPfPK15HIP_vector_typeIfLj2EEiiiiS1_IjLj3EES5_S5_S5_.num_vgpr, 12
	.set _ZL33flash_attn_stream_k_fixup_generalILi512ELi2ELi4EEvPfPK15HIP_vector_typeIfLj2EEiiiiS1_IjLj3EES5_S5_S5_.num_agpr, 0
	.set _ZL33flash_attn_stream_k_fixup_generalILi512ELi2ELi4EEvPfPK15HIP_vector_typeIfLj2EEiiiiS1_IjLj3EES5_S5_S5_.numbered_sgpr, 46
	.set _ZL33flash_attn_stream_k_fixup_generalILi512ELi2ELi4EEvPfPK15HIP_vector_typeIfLj2EEiiiiS1_IjLj3EES5_S5_S5_.num_named_barrier, 0
	.set _ZL33flash_attn_stream_k_fixup_generalILi512ELi2ELi4EEvPfPK15HIP_vector_typeIfLj2EEiiiiS1_IjLj3EES5_S5_S5_.private_seg_size, 0
	.set _ZL33flash_attn_stream_k_fixup_generalILi512ELi2ELi4EEvPfPK15HIP_vector_typeIfLj2EEiiiiS1_IjLj3EES5_S5_S5_.uses_vcc, 1
	.set _ZL33flash_attn_stream_k_fixup_generalILi512ELi2ELi4EEvPfPK15HIP_vector_typeIfLj2EEiiiiS1_IjLj3EES5_S5_S5_.uses_flat_scratch, 0
	.set _ZL33flash_attn_stream_k_fixup_generalILi512ELi2ELi4EEvPfPK15HIP_vector_typeIfLj2EEiiiiS1_IjLj3EES5_S5_S5_.has_dyn_sized_stack, 0
	.set _ZL33flash_attn_stream_k_fixup_generalILi512ELi2ELi4EEvPfPK15HIP_vector_typeIfLj2EEiiiiS1_IjLj3EES5_S5_S5_.has_recursion, 0
	.set _ZL33flash_attn_stream_k_fixup_generalILi512ELi2ELi4EEvPfPK15HIP_vector_typeIfLj2EEiiiiS1_IjLj3EES5_S5_S5_.has_indirect_call, 0
	.section	.AMDGPU.csdata,"",@progbits
; Kernel info:
; codeLenInByte = 3360
; TotalNumSgprs: 48
; NumVgprs: 12
; ScratchSize: 0
; MemoryBound: 0
; FloatMode: 240
; IeeeMode: 1
; LDSByteSize: 0 bytes/workgroup (compile time only)
; SGPRBlocks: 0
; VGPRBlocks: 0
; NumSGPRsForWavesPerEU: 48
; NumVGPRsForWavesPerEU: 12
; NamedBarCnt: 0
; Occupancy: 16
; WaveLimiterHint : 0
; COMPUTE_PGM_RSRC2:SCRATCH_EN: 0
; COMPUTE_PGM_RSRC2:USER_SGPR: 2
; COMPUTE_PGM_RSRC2:TRAP_HANDLER: 0
; COMPUTE_PGM_RSRC2:TGID_X_EN: 1
; COMPUTE_PGM_RSRC2:TGID_Y_EN: 1
; COMPUTE_PGM_RSRC2:TGID_Z_EN: 1
; COMPUTE_PGM_RSRC2:TIDIG_COMP_CNT: 0
	.section	.text._ZL15flash_attn_tileILi576ELi512ELi1ELi4ELb0EEvPKcS1_S1_S1_S1_PKiPfP15HIP_vector_typeIfLj2EEffffjfiS5_IjLj3EEiiiiiiiiiiiliiliiiiil,"axG",@progbits,_ZL15flash_attn_tileILi576ELi512ELi1ELi4ELb0EEvPKcS1_S1_S1_S1_PKiPfP15HIP_vector_typeIfLj2EEffffjfiS5_IjLj3EEiiiiiiiiiiiliiliiiiil,comdat
	.globl	_ZL15flash_attn_tileILi576ELi512ELi1ELi4ELb0EEvPKcS1_S1_S1_S1_PKiPfP15HIP_vector_typeIfLj2EEffffjfiS5_IjLj3EEiiiiiiiiiiiliiliiiiil ; -- Begin function _ZL15flash_attn_tileILi576ELi512ELi1ELi4ELb0EEvPKcS1_S1_S1_S1_PKiPfP15HIP_vector_typeIfLj2EEffffjfiS5_IjLj3EEiiiiiiiiiiiliiliiiiil
	.p2align	8
	.type	_ZL15flash_attn_tileILi576ELi512ELi1ELi4ELb0EEvPKcS1_S1_S1_S1_PKiPfP15HIP_vector_typeIfLj2EEffffjfiS5_IjLj3EEiiiiiiiiiiiliiliiiiil,@function
_ZL15flash_attn_tileILi576ELi512ELi1ELi4ELb0EEvPKcS1_S1_S1_S1_PKiPfP15HIP_vector_typeIfLj2EEffffjfiS5_IjLj3EEiiiiiiiiiiiliiliiiiil: ; @_ZL15flash_attn_tileILi576ELi512ELi1ELi4ELb0EEvPKcS1_S1_S1_S1_PKiPfP15HIP_vector_typeIfLj2EEffffjfiS5_IjLj3EEiiiiiiiiiiiliiliiiiil
; %bb.0:
	s_clause 0x1
	s_load_b128 s[20:23], s[0:1], 0x5c
	s_load_b64 s[30:31], s[0:1], 0x80
	s_bfe_u32 s5, ttmp6, 0x40014
	s_lshr_b32 s4, ttmp7, 16
	s_add_co_i32 s5, s5, 1
	s_bfe_u32 s6, ttmp6, 0x40008
	s_mul_i32 s5, s4, s5
	s_getreg_b32 s24, hwreg(HW_REG_IB_STS2, 6, 4)
	s_add_co_i32 s6, s6, s5
	s_load_b64 s[36:37], s[0:1], 0xb8
	s_mov_b64 s[34:35], 0
	s_wait_kmcnt 0x0
	s_ashr_i32 s2, s23, 31
	s_delay_alu instid0(SALU_CYCLE_1) | instskip(NEXT) | instid1(SALU_CYCLE_1)
	s_lshr_b32 s2, s2, 30
	s_add_co_i32 s2, s23, s2
	s_delay_alu instid0(SALU_CYCLE_1) | instskip(NEXT) | instid1(SALU_CYCLE_1)
	s_ashr_i32 s2, s2, 2
	s_cvt_f32_u32 s3, s2
	s_sub_co_i32 s7, 0, s2
	s_delay_alu instid0(SALU_CYCLE_2) | instskip(SKIP_1) | instid1(TRANS32_DEP_1)
	v_rcp_iflag_f32_e32 v1, s3
	v_nop
	v_readfirstlane_b32 s3, v1
	s_mul_f32 s3, s3, 0x4f7ffffe
	s_delay_alu instid0(SALU_CYCLE_3) | instskip(NEXT) | instid1(SALU_CYCLE_3)
	s_cvt_u32_f32 s3, s3
	s_mul_i32 s7, s7, s3
	s_delay_alu instid0(SALU_CYCLE_1) | instskip(NEXT) | instid1(SALU_CYCLE_1)
	s_mul_hi_u32 s7, s3, s7
	s_add_co_i32 s3, s3, s7
	s_cmp_eq_u32 s24, 0
	s_cselect_b32 s4, s4, s6
	s_delay_alu instid0(SALU_CYCLE_1) | instskip(NEXT) | instid1(SALU_CYCLE_1)
	s_mul_hi_u32 s3, s4, s3
	s_mul_i32 s5, s3, s2
	s_add_co_i32 s6, s3, 1
	s_sub_co_i32 s5, s4, s5
	s_delay_alu instid0(SALU_CYCLE_1)
	s_sub_co_i32 s7, s5, s2
	s_cmp_ge_u32 s5, s2
	s_cselect_b32 s3, s6, s3
	s_cselect_b32 s5, s7, s5
	s_add_co_i32 s6, s3, 1
	s_cmp_ge_u32 s5, s2
	s_cselect_b32 s28, s6, s3
	s_abs_i32 s2, s31
	s_abs_i32 s7, s23
	s_cvt_f32_u32 s3, s2
	s_sub_co_i32 s5, 0, s2
	s_lshl_b32 s4, s4, 2
	s_mul_i32 s6, s28, s23
	v_rcp_iflag_f32_e32 v1, s3
	s_sub_co_i32 s33, s4, s6
	s_xor_b32 s4, s23, s31
	s_delay_alu instid0(SALU_CYCLE_1) | instskip(SKIP_1) | instid1(TRANS32_DEP_1)
	s_ashr_i32 s25, s4, 31
	v_nop
	v_readfirstlane_b32 s3, v1
	s_mul_f32 s3, s3, 0x4f7ffffe
	s_delay_alu instid0(SALU_CYCLE_3) | instskip(NEXT) | instid1(SALU_CYCLE_3)
	s_cvt_u32_f32 s3, s3
	s_mul_i32 s5, s5, s3
	s_delay_alu instid0(SALU_CYCLE_1) | instskip(NEXT) | instid1(SALU_CYCLE_1)
	s_mul_hi_u32 s5, s3, s5
	s_add_co_i32 s3, s3, s5
	s_delay_alu instid0(SALU_CYCLE_1) | instskip(NEXT) | instid1(SALU_CYCLE_1)
	s_mul_hi_u32 s3, s7, s3
	s_mul_i32 s5, s3, s2
	s_delay_alu instid0(SALU_CYCLE_1)
	s_sub_co_i32 s4, s7, s5
	s_add_co_i32 s5, s3, 1
	s_sub_co_i32 s6, s4, s2
	s_cmp_ge_u32 s4, s2
	s_cselect_b32 s3, s5, s3
	s_cselect_b32 s4, s6, s4
	s_add_co_i32 s5, s3, 1
	s_cmp_ge_u32 s4, s2
	s_cselect_b32 s2, s5, s3
	s_load_b512 s[4:19], s[0:1], 0x0
	s_xor_b32 s2, s2, s25
	s_mov_b32 s3, 0
	s_sub_co_i32 s29, s2, s25
	s_delay_alu instid0(SALU_CYCLE_1) | instskip(NEXT) | instid1(SALU_CYCLE_1)
	s_abs_i32 s38, s29
	s_cvt_f32_u32 s2, s38
	s_delay_alu instid0(SALU_CYCLE_3) | instskip(SKIP_1) | instid1(TRANS32_DEP_1)
	v_rcp_iflag_f32_e32 v1, s2
	v_nop
	v_readfirstlane_b32 s39, v1
	s_wait_kmcnt 0x0
	s_cmp_eq_u64 s[10:11], 0
	s_cbranch_scc1 .LBB20_2
; %bb.1:
	s_abs_i32 s2, s36
	s_abs_i32 s31, s28
	s_cvt_f32_u32 s25, s2
	s_sub_co_i32 s26, 0, s2
	s_delay_alu instid0(SALU_CYCLE_2) | instskip(SKIP_1) | instid1(TRANS32_DEP_1)
	v_rcp_iflag_f32_e32 v1, s25
	v_nop
	v_readfirstlane_b32 s25, v1
	s_mul_f32 s25, s25, 0x4f7ffffe
	s_delay_alu instid0(SALU_CYCLE_3) | instskip(NEXT) | instid1(SALU_CYCLE_3)
	s_cvt_u32_f32 s25, s25
	s_mul_i32 s26, s26, s25
	s_delay_alu instid0(SALU_CYCLE_1) | instskip(NEXT) | instid1(SALU_CYCLE_1)
	s_mul_hi_u32 s26, s25, s26
	s_add_co_i32 s25, s25, s26
	s_load_b64 s[26:27], s[0:1], 0xc8
	s_mul_hi_u32 s25, s31, s25
	s_delay_alu instid0(SALU_CYCLE_1) | instskip(NEXT) | instid1(SALU_CYCLE_1)
	s_mul_i32 s25, s25, s2
	s_sub_co_i32 s25, s31, s25
	s_ashr_i32 s31, s28, 31
	s_sub_co_i32 s34, s25, s2
	s_cmp_ge_u32 s25, s2
	s_cselect_b32 s25, s34, s25
	s_delay_alu instid0(SALU_CYCLE_1) | instskip(SKIP_2) | instid1(SALU_CYCLE_1)
	s_sub_co_i32 s34, s25, s2
	s_cmp_ge_u32 s25, s2
	s_cselect_b32 s2, s34, s25
	s_xor_b32 s2, s2, s31
	s_delay_alu instid0(SALU_CYCLE_1) | instskip(NEXT) | instid1(SALU_CYCLE_1)
	s_sub_co_i32 s34, s2, s31
	s_ashr_i32 s35, s34, 31
	s_wait_kmcnt 0x0
	s_mul_u64 s[26:27], s[26:27], s[34:35]
	s_delay_alu instid0(SALU_CYCLE_1)
	s_add_nc_u64 s[34:35], s[10:11], s[26:27]
.LBB20_2:
	s_bfe_u32 s2, ttmp6, 0x4000c
	v_dual_lshrrev_b32 v1, 10, v0 :: v_dual_mov_b32 v9, 0
	s_add_co_i32 s2, s2, 1
	s_and_b32 s10, ttmp6, 15
	s_mul_i32 s2, ttmp9, s2
	s_delay_alu instid0(VALU_DEP_1)
	v_bfe_u32 v1, v1, 2, 8
	s_add_co_i32 s10, s10, s2
	s_cmp_eq_u32 s24, 0
	s_clause 0x1
	s_load_b96 s[40:42], s[0:1], 0x70
	s_load_b32 s2, s[0:1], 0x40
	s_cselect_b32 s10, ttmp9, s10
	v_bfe_u32 v8, v0, 10, 2
	v_add_nc_u32_e32 v34, s10, v1
	v_and_b32_e32 v35, 0x3ff, v0
	v_mov_b32_e32 v11, v9
	v_bfe_u32 v0, v0, 10, 10
	v_mov_b32_e32 v3, v9
	v_mul_hi_u32 v1, s20, v34
	v_dual_lshlrev_b32 v37, 3, v35 :: v_dual_lshlrev_b32 v10, 4, v35
	s_delay_alu instid0(VALU_DEP_2) | instskip(SKIP_3) | instid1(SALU_CYCLE_1)
	v_add_nc_u32_e32 v1, v34, v1
	s_wait_kmcnt 0x0
	s_mov_b32 s20, s41
	s_mul_i32 s26, s33, s41
	s_ashr_i32 s27, s26, 31
	v_lshrrev_b32_e32 v1, s21, v1
	s_ashr_i32 s21, s41, 31
	s_ashr_i32 s41, s40, 31
	s_lshr_b64 s[20:21], s[20:21], 2
	s_delay_alu instid0(VALU_DEP_1) | instskip(SKIP_2) | instid1(VALU_DEP_2)
	v_mul_lo_u32 v1, v1, s22
	v_mul_u64_e32 v[4:5], s[20:21], v[8:9]
	s_lshr_b64 s[20:21], s[40:41], 2
	v_sub_nc_u32_e32 v2, v34, v1
	s_delay_alu instid0(VALU_DEP_1) | instskip(SKIP_1) | instid1(SALU_CYCLE_1)
	v_mul_u64_e32 v[6:7], s[20:21], v[2:3]
	s_mul_i32 s20, s28, s42
	s_ashr_i32 s21, s20, 31
	s_delay_alu instid0(SALU_CYCLE_1) | instskip(NEXT) | instid1(SALU_CYCLE_1)
	s_add_nc_u64 s[4:5], s[4:5], s[20:21]
	s_add_nc_u64 s[4:5], s[4:5], s[26:27]
	s_delay_alu instid0(VALU_DEP_3) | instid1(SALU_CYCLE_1)
	v_lshl_add_u64 v[4:5], v[4:5], 2, s[4:5]
	s_movk_i32 s4, 0x480
	s_delay_alu instid0(SALU_CYCLE_1) | instskip(SKIP_1) | instid1(VALU_DEP_2)
	v_mad_u32_u24 v36, v0, s4, 0x2400
	s_mov_b32 s4, exec_lo
	v_lshl_add_u64 v[4:5], v[6:7], 2, v[4:5]
	s_delay_alu instid0(VALU_DEP_1)
	v_add_nc_u64_e32 v[4:5], v[4:5], v[10:11]
	s_clause 0x3
	global_load_b128 v[10:13], v[4:5], off
	global_load_b128 v[14:17], v[4:5], off offset:512
	global_load_b128 v[18:21], v[4:5], off offset:1024
	;; [unrolled: 1-line block ×3, first 2 shown]
	s_wait_loadcnt 0x3
	v_fma_mixlo_f16 v3, s2, v10, 0
	v_fma_mixlo_f16 v6, s2, v11, 0
	;; [unrolled: 1-line block ×4, first 2 shown]
	s_wait_loadcnt 0x2
	v_fma_mixlo_f16 v10, s2, v14, 0
	v_fma_mixlo_f16 v11, s2, v15, 0
	;; [unrolled: 1-line block ×4, first 2 shown]
	s_wait_loadcnt 0x1
	v_fma_mixlo_f16 v14, s2, v18, 0
	v_fma_mixlo_f16 v15, s2, v19, 0
	;; [unrolled: 1-line block ×3, first 2 shown]
	s_wait_loadcnt 0x0
	v_fma_mixlo_f16 v18, s2, v22, 0
	v_fma_mixlo_f16 v19, s2, v23, 0
	v_dual_add_nc_u32 v1, v36, v37 :: v_dual_lshlrev_b32 v6, 16, v6
	v_fma_mixlo_f16 v21, s2, v25, 0
	v_and_b32_e32 v3, 0xffff, v3
	v_dual_lshlrev_b32 v9, 16, v9 :: v_dual_lshlrev_b32 v11, 16, v11
	v_and_b32_e32 v7, 0xffff, v7
	v_and_b32_e32 v10, 0xffff, v10
	v_fma_mixlo_f16 v16, s2, v20, 0
	v_fma_mixlo_f16 v20, s2, v24, 0
	v_dual_lshlrev_b32 v13, 16, v13 :: v_dual_lshlrev_b32 v15, 16, v15
	v_and_b32_e32 v12, 0xffff, v12
	v_and_b32_e32 v14, 0xffff, v14
	v_dual_lshlrev_b32 v17, 16, v17 :: v_dual_lshlrev_b32 v19, 16, v19
	v_and_b32_e32 v18, 0xffff, v18
	v_dual_lshlrev_b32 v21, 16, v21 :: v_dual_bitop2_b32 v3, v6, v3 bitop3:0x54
	v_or3_b32 v7, v9, v7, 0
	v_or_b32_e32 v9, v11, v10
	v_and_b32_e32 v16, 0xffff, v16
	v_and_b32_e32 v20, 0xffff, v20
	v_or3_b32 v11, v13, v12, 0
	v_or_b32_e32 v12, v15, v14
	v_or_b32_e32 v14, v19, v18
	v_or3_b32 v6, 0, 0, v3
	v_or3_b32 v10, 0, 0, v9
	;; [unrolled: 1-line block ×6, first 2 shown]
	ds_store_2addr_b64 v1, v[6:7], v[10:11] offset1:32
	ds_store_2addr_b64 v1, v[12:13], v[14:15] offset0:64 offset1:96
	v_cmpx_gt_u32_e32 16, v35
	s_cbranch_execz .LBB20_4
; %bb.3:
	global_load_b128 v[4:7], v[4:5], off offset:2048
	s_wait_loadcnt 0x0
	v_fma_mixlo_f16 v3, s2, v4, 0
	s_delay_alu instid0(VALU_DEP_1) | instskip(SKIP_1) | instid1(VALU_DEP_1)
	v_and_b32_e32 v3, 0xffff, v3
	v_mov_b32_e32 v4, v7
	v_pk_mul_f32 v[4:5], s[2:3], v[4:5] op_sel_hi:[0,1]
	s_delay_alu instid0(VALU_DEP_1) | instskip(SKIP_1) | instid1(VALU_DEP_2)
	v_cvt_pk_f16_f32 v4, v4, v5
	v_fma_mixlo_f16 v5, s2, v6, 0
	v_and_b32_e32 v6, 0xffff0000, v4
	s_delay_alu instid0(VALU_DEP_2) | instskip(NEXT) | instid1(VALU_DEP_2)
	v_and_b32_e32 v5, 0xffff, v5
	v_dual_lshlrev_b32 v4, 16, v4 :: v_dual_bitop2_b32 v3, v6, v3 bitop3:0x54
	s_delay_alu instid0(VALU_DEP_1) | instskip(NEXT) | instid1(VALU_DEP_2)
	v_or3_b32 v5, v4, v5, 0
	v_or3_b32 v4, 0, 0, v3
	ds_store_b64 v1, v[4:5] offset:1024
.LBB20_4:
	s_or_b32 exec_lo, exec_lo, s4
	s_cmp_eq_u64 s[14:15], 0
	s_wait_dscnt 0x0
	s_barrier_signal -1
	s_barrier_wait -1
	s_cbranch_scc1 .LBB20_6
; %bb.5:
	s_load_b32 s2, s[0:1], 0xd0
	s_wait_kmcnt 0x0
	s_mul_i32 s2, s2, s28
	s_delay_alu instid0(SALU_CYCLE_1)
	s_add_co_i32 s2, s2, s10
	s_load_b32 s30, s[14:15], s2 offset:0x0 scale_offset
.LBB20_6:
	s_wait_xcnt 0x0
	s_bfe_u32 s2, ttmp6, 0x40010
	s_and_b32 s4, ttmp7, 0xffff
	s_add_co_i32 s2, s2, 1
	s_bfe_u32 s5, ttmp6, 0x40004
	s_mul_i32 s2, s4, s2
	v_lshlrev_b32_e32 v9, 2, v35
	s_add_co_i32 s5, s5, s2
	s_cmp_eq_u32 s24, 0
	v_mbcnt_lo_u32_b32 v38, -1, 0
	s_cselect_b32 s31, s4, s5
	s_mov_b32 s2, 0
	s_lshl_b32 s4, s31, 6
	s_wait_kmcnt 0x0
	s_cmp_lt_i32 s4, s30
	s_cbranch_scc1 .LBB20_9
; %bb.7:
	v_mbcnt_lo_u32_b32 v3, -1, 0
	s_delay_alu instid0(VALU_DEP_1)
	v_dual_mov_b32 v1, 32 :: v_dual_bitop2_b32 v43, 16, v3 bitop3:0x14
	v_xor_b32_e32 v42, 8, v3
	v_xor_b32_e32 v41, 4, v3
	v_xor_b32_e32 v40, 2, v3
	v_xor_b32_e32 v39, 1, v3
	s_and_not1_b32 vcc_lo, exec_lo, s2
	s_cbranch_vccz .LBB20_10
; %bb.8:
	v_dual_mov_b32 v66, 0 :: v_dual_mov_b32 v67, 0
	v_dual_mov_b32 v0, 0xfeffffff :: v_dual_mov_b32 v65, 0
	;; [unrolled: 1-line block ×5, first 2 shown]
	s_branch .LBB20_13
.LBB20_9:
                                        ; implicit-def: $vgpr3
                                        ; implicit-def: $vgpr1
                                        ; implicit-def: $vgpr43
                                        ; implicit-def: $vgpr42
                                        ; implicit-def: $vgpr41
                                        ; implicit-def: $vgpr40
                                        ; implicit-def: $vgpr39
.LBB20_10:
	s_clause 0x1
	s_load_b64 s[14:15], s[0:1], 0x8c
	s_load_b128 s[24:27], s[0:1], 0x98
	s_mul_f32 s2, s39, 0x4f7ffffe
	s_sub_co_i32 s5, 0, s38
	s_mov_b32 s11, s3
	v_dual_lshrrev_b32 v1, 3, v35 :: v_dual_bitop2_b32 v4, 28, v9 bitop3:0x40
	s_cvt_u32_f32 s10, s2
	s_abs_i32 s2, s33
	s_ashr_i32 s20, s33, 31
	s_ashr_i32 s21, s29, 31
	s_mul_i32 s5, s5, s10
	s_ashr_i32 s36, s37, 1
	s_mul_hi_u32 s5, s10, s5
	s_ashr_i32 s29, s28, 31
	s_add_co_i32 s10, s10, s5
	s_xor_b32 s5, s20, s21
	s_mul_u64 s[10:11], s[2:3], s[10:11]
	v_lshl_add_u32 v1, v0, 2, v1
	s_mul_i32 s3, s11, s38
	s_add_co_i32 s20, s11, 1
	s_sub_co_i32 s21, s2, s3
	s_load_b64 s[2:3], s[0:1], 0xa8
	s_wait_kmcnt 0x0
	s_ashr_i32 s10, s26, 2
	s_ashr_i32 s14, s14, 2
	s_sub_co_i32 s37, s21, s38
	s_cmp_ge_u32 s21, s38
	v_mul_lo_u32 v10, s14, v1
	s_cselect_b32 s11, s20, s11
	s_cselect_b32 s20, s37, s21
	s_add_co_i32 s21, s11, 1
	s_cmp_ge_u32 s20, s38
	v_mul_lo_u32 v6, s10, v0
	s_cselect_b32 s11, s21, s11
	s_mul_u64 s[20:21], s[24:25], s[28:29]
	s_xor_b32 s11, s11, s5
	s_add_nc_u64 s[6:7], s[6:7], s[20:21]
	s_sub_co_i32 s5, s11, s5
	s_lshl_b32 s11, s14, 4
	s_mul_i32 s20, s5, s15
	v_dual_lshlrev_b32 v3, 2, v4 :: v_dual_add_nc_u32 v12, s11, v10
	s_ashr_i32 s21, s20, 31
	s_mul_u64 s[2:3], s[2:3], s[28:29]
	s_add_nc_u64 s[6:7], s[6:7], s[20:21]
	s_mul_i32 s20, s5, s27
	s_add_nc_u64 s[2:3], s[8:9], s[2:3]
	s_ashr_i32 s21, s20, 31
	v_dual_mov_b32 v17, 0 :: v_dual_add_nc_u32 v14, s11, v12
	s_add_nc_u64 s[8:9], s[2:3], s[20:21]
	s_and_b32 s2, s26, -4
	v_mad_u32 v51, v2, s36, v35
	v_dual_add_nc_u32 v2, s2, v6 :: v_dual_ashrrev_i32 v7, 31, v6
	v_dual_add_nc_u32 v18, s11, v14 :: v_dual_ashrrev_i32 v15, 31, v14
	v_lshlrev_b32_e32 v20, 2, v9
	v_mad_u32_u24 v44, 0x90, v1, v3
	s_delay_alu instid0(VALU_DEP_4) | instskip(NEXT) | instid1(VALU_DEP_4)
	v_ashrrev_i32_e32 v3, 31, v2
	v_ashrrev_i32_e32 v19, 31, v18
	v_lshl_add_u32 v49, v0, 7, 0x3600
	v_lshl_add_u32 v50, v0, 10, v20
	v_mov_b32_e32 v0, 0xfeffffff
	v_lshlrev_b64_e32 v[22:23], 2, v[6:7]
	v_lshlrev_b64_e32 v[24:25], 2, v[2:3]
	v_dual_ashrrev_i32 v11, 31, v10 :: v_dual_ashrrev_i32 v13, 31, v12
	v_dual_mov_b32 v60, v17 :: v_dual_add_nc_u32 v45, 0x900, v44
	v_dual_mov_b32 v21, v17 :: v_dual_add_nc_u32 v46, 0x1200, v44
	;; [unrolled: 1-line block ×3, first 2 shown]
	v_mul_u32_u24_e32 v48, 0x90, v35
	v_lshl_add_u32 v52, v35, 1, v49
	v_dual_mov_b32 v64, v17 :: v_dual_add_nc_u32 v53, 0x200, v50
	v_dual_mov_b32 v59, v17 :: v_dual_add_nc_u32 v54, 0x1000, v50
	;; [unrolled: 1-line block ×3, first 2 shown]
	v_dual_lshlrev_b32 v16, 2, v4 :: v_dual_bitop2_b32 v43, 16, v38 bitop3:0x14
	v_dual_mov_b32 v61, v17 :: v_dual_bitop2_b32 v42, 8, v38 bitop3:0x14
	v_dual_mov_b32 v63, v17 :: v_dual_bitop2_b32 v41, 4, v38 bitop3:0x14
	;; [unrolled: 1-line block ×4, first 2 shown]
	v_add_nc_u32_e32 v56, 0x800, v37
	v_add_nc_u32_e32 v57, 0x1000, v37
	;; [unrolled: 1-line block ×3, first 2 shown]
	s_ashr_i32 s15, s14, 31
	s_ashr_i32 s11, s10, 31
	s_add_nc_u64 s[20:21], s[0:1], 0xd0
.LBB20_11:                              ; =>This Inner Loop Header: Depth=1
	v_cmp_gt_i32_e64 s2, 32, v43
	s_ashr_i32 s5, s4, 31
	v_dual_mov_b32 v68, v0 :: v_dual_add_nc_u32 v69, s4, v51
	v_dual_mov_b32 v75, 0 :: v_dual_mov_b32 v76, 0
	v_cndmask_b32_e64 v70, v38, v43, s2
	v_cmp_gt_i32_e64 s2, 32, v42
	s_mul_u64 s[44:45], s[4:5], s[10:11]
	v_cmp_gt_i32_e32 vcc_lo, 32, v39
	s_lshl_b64 s[44:45], s[44:45], 2
	v_dual_mov_b32 v77, v67 :: v_dual_cndmask_b32 v71, v38, v42, s2
	v_cmp_gt_i32_e64 s2, 32, v41
	s_add_nc_u64 s[44:45], s[8:9], s[44:45]
	v_dual_cndmask_b32 v74, v38, v39 :: v_dual_lshlrev_b32 v67, 2, v70
	v_dual_lshlrev_b32 v86, 2, v71 :: v_dual_cndmask_b32 v72, v38, v41, s2
	v_cmp_gt_i32_e64 s2, 32, v40
	v_add_nc_u64_e32 v[70:71], s[44:45], v[22:23]
	s_or_b32 s24, s4, 16
	s_or_b32 s42, s4, 56
	s_ashr_i32 s25, s24, 31
	v_cndmask_b32_e64 v73, v38, v40, s2
	s_mul_u64 s[2:3], s[4:5], s[14:15]
	v_lshlrev_b32_e32 v87, 2, v72
	s_lshl_b64 s[2:3], s[2:3], 2
	s_ashr_i32 s43, s42, 31
	s_add_nc_u64 s[2:3], s[6:7], s[2:3]
	v_lshlrev_b32_e32 v88, 2, v73
	v_lshl_add_u64 v[0:1], v[10:11], 2, s[2:3]
	v_lshl_add_u64 v[2:3], v[12:13], 2, s[2:3]
	;; [unrolled: 1-line block ×4, first 2 shown]
	s_or_b32 s2, s4, 8
	v_add_nc_u64_e32 v[30:31], v[0:1], v[16:17]
	v_add_nc_u64_e32 v[32:33], v[2:3], v[16:17]
	;; [unrolled: 1-line block ×4, first 2 shown]
	s_clause 0x2
	global_load_b128 v[0:3], v[30:31], off
	global_load_b128 v[4:7], v[32:33], off
	;; [unrolled: 1-line block ×3, first 2 shown]
	s_ashr_i32 s3, s2, 31
	s_mul_u64 s[24:25], s[24:25], s[10:11]
	s_mul_u64 s[2:3], s[2:3], s[10:11]
	;; [unrolled: 1-line block ×3, first 2 shown]
	s_lshl_b64 s[2:3], s[2:3], 2
	s_lshl_b64 s[24:25], s[24:25], 2
	;; [unrolled: 1-line block ×3, first 2 shown]
	s_add_nc_u64 s[42:43], s[8:9], s[2:3]
	s_add_nc_u64 s[2:3], s[8:9], s[24:25]
	v_add_nc_u64_e32 v[72:73], s[44:45], v[24:25]
	v_add_nc_u64_e32 v[82:83], s[2:3], v[22:23]
	s_or_b32 s26, s4, 24
	s_or_b32 s40, s4, 48
	s_ashr_i32 s27, s26, 31
	s_ashr_i32 s41, s40, 31
	s_mul_u64 s[26:27], s[26:27], s[10:11]
	s_mul_u64 s[40:41], s[40:41], s[10:11]
	s_lshl_b64 s[26:27], s[26:27], 2
	s_lshl_b64 s[48:49], s[40:41], 2
	s_add_nc_u64 s[40:41], s[8:9], s[26:27]
	s_or_b32 s36, s4, 32
	v_add_nc_u64_e32 v[84:85], s[40:41], v[22:23]
	s_or_b32 s38, s4, 40
	s_ashr_i32 s37, s36, 31
	s_ashr_i32 s39, s38, 31
	s_mul_u64 s[36:37], s[36:37], s[10:11]
	s_mul_u64 s[38:39], s[38:39], s[10:11]
	s_lshl_b64 s[36:37], s[36:37], 2
	s_lshl_b64 s[46:47], s[38:39], 2
	s_add_nc_u64 s[38:39], s[8:9], s[36:37]
	s_add_nc_u64 s[36:37], s[8:9], s[46:47]
	;; [unrolled: 1-line block ×4, first 2 shown]
	s_wait_loadcnt 0x2
	ds_store_b128 v44, v[0:3]
	global_load_b128 v[0:3], v[28:29], off
	s_wait_loadcnt 0x2
	ds_store_b128 v45, v[4:7]
	s_wait_loadcnt 0x1
	ds_store_b128 v46, v[78:81]
	;; [unrolled: 2-line block ×3, first 2 shown]
	s_wait_dscnt 0x0
	s_barrier_signal -1
	s_barrier_wait -1
	ds_load_b128 v[0:3], v48
	ds_load_b128 v[4:7], v36
	ds_load_b128 v[78:81], v48 offset:4608
	s_wait_dscnt 0x1
	;;#ASMSTART
	v_dot2_f32_f16 v75, v0, v4, v75
	;;#ASMEND
	;;#ASMSTART
	v_dot2_f32_f16 v75, v1, v5, v75
	;;#ASMEND
	;;#ASMSTART
	v_dot2_f32_f16 v75, v2, v6, v75
	;;#ASMEND
	;;#ASMSTART
	v_dot2_f32_f16 v75, v3, v7, v75
	;;#ASMEND
	s_wait_dscnt 0x0
	;;#ASMSTART
	v_dot2_f32_f16 v76, v78, v4, v76
	;;#ASMEND
	;;#ASMSTART
	v_dot2_f32_f16 v76, v79, v5, v76
	;;#ASMEND
	;;#ASMSTART
	v_dot2_f32_f16 v76, v80, v6, v76
	;;#ASMEND
	;;#ASMSTART
	v_dot2_f32_f16 v76, v81, v7, v76
	;;#ASMEND
	ds_load_b128 v[0:3], v48 offset:16
	ds_load_b128 v[4:7], v36 offset:16
	ds_load_b128 v[78:81], v48 offset:4624
	s_wait_dscnt 0x1
	;;#ASMSTART
	v_dot2_f32_f16 v75, v0, v4, v75
	;;#ASMEND
	;;#ASMSTART
	v_dot2_f32_f16 v75, v1, v5, v75
	;;#ASMEND
	;;#ASMSTART
	v_dot2_f32_f16 v75, v2, v6, v75
	;;#ASMEND
	;;#ASMSTART
	v_dot2_f32_f16 v75, v3, v7, v75
	;;#ASMEND
	s_wait_dscnt 0x0
	;;#ASMSTART
	v_dot2_f32_f16 v76, v78, v4, v76
	;;#ASMEND
	;;#ASMSTART
	v_dot2_f32_f16 v76, v79, v5, v76
	;;#ASMEND
	;;#ASMSTART
	v_dot2_f32_f16 v76, v80, v6, v76
	;;#ASMEND
	;;#ASMSTART
	v_dot2_f32_f16 v76, v81, v7, v76
	;;#ASMEND
	ds_load_b128 v[0:3], v48 offset:32
	ds_load_b128 v[4:7], v36 offset:32
	;; [unrolled: 29-line block ×7, first 2 shown]
	ds_load_b128 v[78:81], v48 offset:4720
	s_wait_dscnt 0x1
	;;#ASMSTART
	v_dot2_f32_f16 v75, v0, v4, v75
	;;#ASMEND
	;;#ASMSTART
	v_dot2_f32_f16 v75, v1, v5, v75
	;;#ASMEND
	;; [unrolled: 3-line block ×4, first 2 shown]
	s_wait_dscnt 0x0
	;;#ASMSTART
	v_dot2_f32_f16 v76, v78, v4, v76
	;;#ASMEND
	;;#ASMSTART
	v_dot2_f32_f16 v76, v79, v5, v76
	;;#ASMEND
	;; [unrolled: 3-line block ×4, first 2 shown]
	s_barrier_signal -1
	s_barrier_wait -1
	s_clause 0x2
	global_load_b128 v[0:3], v[30:31], off offset:128
	global_load_b128 v[4:7], v[32:33], off offset:128
	global_load_b128 v[78:81], v[26:27], off offset:128
	s_wait_loadcnt 0x2
	ds_store_b128 v44, v[0:3]
	global_load_b128 v[0:3], v[28:29], off offset:128
	s_wait_loadcnt 0x2
	ds_store_b128 v45, v[4:7]
	s_wait_loadcnt 0x1
	ds_store_b128 v46, v[78:81]
	;; [unrolled: 2-line block ×3, first 2 shown]
	s_wait_dscnt 0x0
	s_barrier_signal -1
	s_barrier_wait -1
	ds_load_b128 v[0:3], v48
	ds_load_b128 v[4:7], v36 offset:128
	ds_load_b128 v[78:81], v48 offset:4608
	s_wait_dscnt 0x1
	;;#ASMSTART
	v_dot2_f32_f16 v75, v0, v4, v75
	;;#ASMEND
	;;#ASMSTART
	v_dot2_f32_f16 v75, v1, v5, v75
	;;#ASMEND
	;;#ASMSTART
	v_dot2_f32_f16 v75, v2, v6, v75
	;;#ASMEND
	;;#ASMSTART
	v_dot2_f32_f16 v75, v3, v7, v75
	;;#ASMEND
	s_wait_dscnt 0x0
	;;#ASMSTART
	v_dot2_f32_f16 v76, v78, v4, v76
	;;#ASMEND
	;;#ASMSTART
	v_dot2_f32_f16 v76, v79, v5, v76
	;;#ASMEND
	;;#ASMSTART
	v_dot2_f32_f16 v76, v80, v6, v76
	;;#ASMEND
	;;#ASMSTART
	v_dot2_f32_f16 v76, v81, v7, v76
	;;#ASMEND
	ds_load_b128 v[0:3], v48 offset:16
	ds_load_b128 v[4:7], v36 offset:144
	ds_load_b128 v[78:81], v48 offset:4624
	s_wait_dscnt 0x1
	;;#ASMSTART
	v_dot2_f32_f16 v75, v0, v4, v75
	;;#ASMEND
	;;#ASMSTART
	v_dot2_f32_f16 v75, v1, v5, v75
	;;#ASMEND
	;;#ASMSTART
	v_dot2_f32_f16 v75, v2, v6, v75
	;;#ASMEND
	;;#ASMSTART
	v_dot2_f32_f16 v75, v3, v7, v75
	;;#ASMEND
	s_wait_dscnt 0x0
	;;#ASMSTART
	v_dot2_f32_f16 v76, v78, v4, v76
	;;#ASMEND
	;;#ASMSTART
	v_dot2_f32_f16 v76, v79, v5, v76
	;;#ASMEND
	;;#ASMSTART
	v_dot2_f32_f16 v76, v80, v6, v76
	;;#ASMEND
	;;#ASMSTART
	v_dot2_f32_f16 v76, v81, v7, v76
	;;#ASMEND
	ds_load_b128 v[0:3], v48 offset:32
	;; [unrolled: 29-line block ×7, first 2 shown]
	ds_load_b128 v[4:7], v36 offset:240
	ds_load_b128 v[78:81], v48 offset:4720
	s_wait_dscnt 0x1
	;;#ASMSTART
	v_dot2_f32_f16 v75, v0, v4, v75
	;;#ASMEND
	;;#ASMSTART
	v_dot2_f32_f16 v75, v1, v5, v75
	;;#ASMEND
	;; [unrolled: 3-line block ×4, first 2 shown]
	s_wait_dscnt 0x0
	;;#ASMSTART
	v_dot2_f32_f16 v76, v78, v4, v76
	;;#ASMEND
	;;#ASMSTART
	v_dot2_f32_f16 v76, v79, v5, v76
	;;#ASMEND
	;; [unrolled: 3-line block ×4, first 2 shown]
	s_barrier_signal -1
	s_barrier_wait -1
	s_clause 0x2
	global_load_b128 v[0:3], v[30:31], off offset:256
	global_load_b128 v[4:7], v[32:33], off offset:256
	;; [unrolled: 1-line block ×3, first 2 shown]
	s_wait_loadcnt 0x2
	ds_store_b128 v44, v[0:3]
	global_load_b128 v[0:3], v[28:29], off offset:256
	s_wait_loadcnt 0x2
	ds_store_b128 v45, v[4:7]
	s_wait_loadcnt 0x1
	ds_store_b128 v46, v[78:81]
	;; [unrolled: 2-line block ×3, first 2 shown]
	s_wait_dscnt 0x0
	s_barrier_signal -1
	s_barrier_wait -1
	ds_load_b128 v[0:3], v48
	ds_load_b128 v[4:7], v36 offset:256
	ds_load_b128 v[78:81], v48 offset:4608
	s_wait_dscnt 0x1
	;;#ASMSTART
	v_dot2_f32_f16 v75, v0, v4, v75
	;;#ASMEND
	;;#ASMSTART
	v_dot2_f32_f16 v75, v1, v5, v75
	;;#ASMEND
	;;#ASMSTART
	v_dot2_f32_f16 v75, v2, v6, v75
	;;#ASMEND
	;;#ASMSTART
	v_dot2_f32_f16 v75, v3, v7, v75
	;;#ASMEND
	s_wait_dscnt 0x0
	;;#ASMSTART
	v_dot2_f32_f16 v76, v78, v4, v76
	;;#ASMEND
	;;#ASMSTART
	v_dot2_f32_f16 v76, v79, v5, v76
	;;#ASMEND
	;;#ASMSTART
	v_dot2_f32_f16 v76, v80, v6, v76
	;;#ASMEND
	;;#ASMSTART
	v_dot2_f32_f16 v76, v81, v7, v76
	;;#ASMEND
	ds_load_b128 v[0:3], v48 offset:16
	ds_load_b128 v[4:7], v36 offset:272
	ds_load_b128 v[78:81], v48 offset:4624
	s_wait_dscnt 0x1
	;;#ASMSTART
	v_dot2_f32_f16 v75, v0, v4, v75
	;;#ASMEND
	;;#ASMSTART
	v_dot2_f32_f16 v75, v1, v5, v75
	;;#ASMEND
	;;#ASMSTART
	v_dot2_f32_f16 v75, v2, v6, v75
	;;#ASMEND
	;;#ASMSTART
	v_dot2_f32_f16 v75, v3, v7, v75
	;;#ASMEND
	s_wait_dscnt 0x0
	;;#ASMSTART
	v_dot2_f32_f16 v76, v78, v4, v76
	;;#ASMEND
	;;#ASMSTART
	v_dot2_f32_f16 v76, v79, v5, v76
	;;#ASMEND
	;;#ASMSTART
	v_dot2_f32_f16 v76, v80, v6, v76
	;;#ASMEND
	;;#ASMSTART
	v_dot2_f32_f16 v76, v81, v7, v76
	;;#ASMEND
	ds_load_b128 v[0:3], v48 offset:32
	;; [unrolled: 29-line block ×7, first 2 shown]
	ds_load_b128 v[4:7], v36 offset:368
	ds_load_b128 v[78:81], v48 offset:4720
	s_wait_dscnt 0x1
	;;#ASMSTART
	v_dot2_f32_f16 v75, v0, v4, v75
	;;#ASMEND
	;;#ASMSTART
	v_dot2_f32_f16 v75, v1, v5, v75
	;;#ASMEND
	;; [unrolled: 3-line block ×4, first 2 shown]
	s_wait_dscnt 0x0
	;;#ASMSTART
	v_dot2_f32_f16 v76, v78, v4, v76
	;;#ASMEND
	;;#ASMSTART
	v_dot2_f32_f16 v76, v79, v5, v76
	;;#ASMEND
	;; [unrolled: 3-line block ×4, first 2 shown]
	s_barrier_signal -1
	s_barrier_wait -1
	s_clause 0x2
	global_load_b128 v[0:3], v[30:31], off offset:384
	global_load_b128 v[4:7], v[32:33], off offset:384
	;; [unrolled: 1-line block ×3, first 2 shown]
	s_wait_loadcnt 0x2
	ds_store_b128 v44, v[0:3]
	global_load_b128 v[0:3], v[28:29], off offset:384
	s_wait_loadcnt 0x2
	ds_store_b128 v45, v[4:7]
	s_wait_loadcnt 0x1
	ds_store_b128 v46, v[78:81]
	s_wait_loadcnt 0x0
	ds_store_b128 v47, v[0:3]
	s_wait_dscnt 0x0
	s_barrier_signal -1
	s_barrier_wait -1
	ds_load_b128 v[0:3], v48
	ds_load_b128 v[4:7], v36 offset:384
	ds_load_b128 v[78:81], v48 offset:4608
	s_wait_dscnt 0x1
	;;#ASMSTART
	v_dot2_f32_f16 v75, v0, v4, v75
	;;#ASMEND
	;;#ASMSTART
	v_dot2_f32_f16 v75, v1, v5, v75
	;;#ASMEND
	;;#ASMSTART
	v_dot2_f32_f16 v75, v2, v6, v75
	;;#ASMEND
	;;#ASMSTART
	v_dot2_f32_f16 v75, v3, v7, v75
	;;#ASMEND
	s_wait_dscnt 0x0
	;;#ASMSTART
	v_dot2_f32_f16 v76, v78, v4, v76
	;;#ASMEND
	;;#ASMSTART
	v_dot2_f32_f16 v76, v79, v5, v76
	;;#ASMEND
	;;#ASMSTART
	v_dot2_f32_f16 v76, v80, v6, v76
	;;#ASMEND
	;;#ASMSTART
	v_dot2_f32_f16 v76, v81, v7, v76
	;;#ASMEND
	ds_load_b128 v[0:3], v48 offset:16
	ds_load_b128 v[4:7], v36 offset:400
	ds_load_b128 v[78:81], v48 offset:4624
	s_wait_dscnt 0x1
	;;#ASMSTART
	v_dot2_f32_f16 v75, v0, v4, v75
	;;#ASMEND
	;;#ASMSTART
	v_dot2_f32_f16 v75, v1, v5, v75
	;;#ASMEND
	;;#ASMSTART
	v_dot2_f32_f16 v75, v2, v6, v75
	;;#ASMEND
	;;#ASMSTART
	v_dot2_f32_f16 v75, v3, v7, v75
	;;#ASMEND
	s_wait_dscnt 0x0
	;;#ASMSTART
	v_dot2_f32_f16 v76, v78, v4, v76
	;;#ASMEND
	;;#ASMSTART
	v_dot2_f32_f16 v76, v79, v5, v76
	;;#ASMEND
	;;#ASMSTART
	v_dot2_f32_f16 v76, v80, v6, v76
	;;#ASMEND
	;;#ASMSTART
	v_dot2_f32_f16 v76, v81, v7, v76
	;;#ASMEND
	ds_load_b128 v[0:3], v48 offset:32
	;; [unrolled: 29-line block ×7, first 2 shown]
	ds_load_b128 v[4:7], v36 offset:496
	ds_load_b128 v[78:81], v48 offset:4720
	s_wait_dscnt 0x1
	;;#ASMSTART
	v_dot2_f32_f16 v75, v0, v4, v75
	;;#ASMEND
	;;#ASMSTART
	v_dot2_f32_f16 v75, v1, v5, v75
	;;#ASMEND
	;; [unrolled: 3-line block ×4, first 2 shown]
	s_wait_dscnt 0x0
	;;#ASMSTART
	v_dot2_f32_f16 v76, v78, v4, v76
	;;#ASMEND
	;;#ASMSTART
	v_dot2_f32_f16 v76, v79, v5, v76
	;;#ASMEND
	;; [unrolled: 3-line block ×4, first 2 shown]
	s_barrier_signal -1
	s_barrier_wait -1
	s_clause 0x2
	global_load_b128 v[0:3], v[30:31], off offset:512
	global_load_b128 v[4:7], v[32:33], off offset:512
	;; [unrolled: 1-line block ×3, first 2 shown]
	s_wait_loadcnt 0x2
	ds_store_b128 v44, v[0:3]
	global_load_b128 v[0:3], v[28:29], off offset:512
	s_wait_loadcnt 0x2
	ds_store_b128 v45, v[4:7]
	s_wait_loadcnt 0x1
	ds_store_b128 v46, v[78:81]
	;; [unrolled: 2-line block ×3, first 2 shown]
	s_wait_dscnt 0x0
	s_barrier_signal -1
	s_barrier_wait -1
	ds_load_b128 v[0:3], v48
	ds_load_b128 v[4:7], v36 offset:512
	ds_load_b128 v[78:81], v48 offset:4608
	s_wait_dscnt 0x1
	;;#ASMSTART
	v_dot2_f32_f16 v75, v0, v4, v75
	;;#ASMEND
	;;#ASMSTART
	v_dot2_f32_f16 v75, v1, v5, v75
	;;#ASMEND
	;;#ASMSTART
	v_dot2_f32_f16 v75, v2, v6, v75
	;;#ASMEND
	;;#ASMSTART
	v_dot2_f32_f16 v75, v3, v7, v75
	;;#ASMEND
	s_wait_dscnt 0x0
	;;#ASMSTART
	v_dot2_f32_f16 v76, v78, v4, v76
	;;#ASMEND
	;;#ASMSTART
	v_dot2_f32_f16 v76, v79, v5, v76
	;;#ASMEND
	;;#ASMSTART
	v_dot2_f32_f16 v76, v80, v6, v76
	;;#ASMEND
	;;#ASMSTART
	v_dot2_f32_f16 v76, v81, v7, v76
	;;#ASMEND
	ds_load_b128 v[0:3], v48 offset:16
	ds_load_b128 v[4:7], v36 offset:528
	ds_load_b128 v[78:81], v48 offset:4624
	s_wait_dscnt 0x1
	;;#ASMSTART
	v_dot2_f32_f16 v75, v0, v4, v75
	;;#ASMEND
	;;#ASMSTART
	v_dot2_f32_f16 v75, v1, v5, v75
	;;#ASMEND
	;;#ASMSTART
	v_dot2_f32_f16 v75, v2, v6, v75
	;;#ASMEND
	;;#ASMSTART
	v_dot2_f32_f16 v75, v3, v7, v75
	;;#ASMEND
	s_wait_dscnt 0x0
	;;#ASMSTART
	v_dot2_f32_f16 v76, v78, v4, v76
	;;#ASMEND
	;;#ASMSTART
	v_dot2_f32_f16 v76, v79, v5, v76
	;;#ASMEND
	;;#ASMSTART
	v_dot2_f32_f16 v76, v80, v6, v76
	;;#ASMEND
	;;#ASMSTART
	v_dot2_f32_f16 v76, v81, v7, v76
	;;#ASMEND
	ds_load_b128 v[0:3], v48 offset:32
	;; [unrolled: 29-line block ×7, first 2 shown]
	ds_load_b128 v[4:7], v36 offset:624
	ds_load_b128 v[78:81], v48 offset:4720
	s_wait_dscnt 0x1
	;;#ASMSTART
	v_dot2_f32_f16 v75, v0, v4, v75
	;;#ASMEND
	;;#ASMSTART
	v_dot2_f32_f16 v75, v1, v5, v75
	;;#ASMEND
	;; [unrolled: 3-line block ×4, first 2 shown]
	s_wait_dscnt 0x0
	;;#ASMSTART
	v_dot2_f32_f16 v76, v78, v4, v76
	;;#ASMEND
	;;#ASMSTART
	v_dot2_f32_f16 v76, v79, v5, v76
	;;#ASMEND
	;; [unrolled: 3-line block ×4, first 2 shown]
	s_barrier_signal -1
	s_barrier_wait -1
	s_clause 0x2
	global_load_b128 v[0:3], v[30:31], off offset:640
	global_load_b128 v[4:7], v[32:33], off offset:640
	global_load_b128 v[78:81], v[26:27], off offset:640
	s_wait_loadcnt 0x2
	ds_store_b128 v44, v[0:3]
	global_load_b128 v[0:3], v[28:29], off offset:640
	s_wait_loadcnt 0x2
	ds_store_b128 v45, v[4:7]
	s_wait_loadcnt 0x1
	ds_store_b128 v46, v[78:81]
	s_wait_loadcnt 0x0
	ds_store_b128 v47, v[0:3]
	s_wait_dscnt 0x0
	s_barrier_signal -1
	s_barrier_wait -1
	ds_load_b128 v[0:3], v48
	ds_load_b128 v[4:7], v36 offset:640
	ds_load_b128 v[78:81], v48 offset:4608
	s_wait_dscnt 0x1
	;;#ASMSTART
	v_dot2_f32_f16 v75, v0, v4, v75
	;;#ASMEND
	;;#ASMSTART
	v_dot2_f32_f16 v75, v1, v5, v75
	;;#ASMEND
	;;#ASMSTART
	v_dot2_f32_f16 v75, v2, v6, v75
	;;#ASMEND
	;;#ASMSTART
	v_dot2_f32_f16 v75, v3, v7, v75
	;;#ASMEND
	s_wait_dscnt 0x0
	;;#ASMSTART
	v_dot2_f32_f16 v76, v78, v4, v76
	;;#ASMEND
	;;#ASMSTART
	v_dot2_f32_f16 v76, v79, v5, v76
	;;#ASMEND
	;;#ASMSTART
	v_dot2_f32_f16 v76, v80, v6, v76
	;;#ASMEND
	;;#ASMSTART
	v_dot2_f32_f16 v76, v81, v7, v76
	;;#ASMEND
	ds_load_b128 v[0:3], v48 offset:16
	ds_load_b128 v[4:7], v36 offset:656
	ds_load_b128 v[78:81], v48 offset:4624
	s_wait_dscnt 0x1
	;;#ASMSTART
	v_dot2_f32_f16 v75, v0, v4, v75
	;;#ASMEND
	;;#ASMSTART
	v_dot2_f32_f16 v75, v1, v5, v75
	;;#ASMEND
	;;#ASMSTART
	v_dot2_f32_f16 v75, v2, v6, v75
	;;#ASMEND
	;;#ASMSTART
	v_dot2_f32_f16 v75, v3, v7, v75
	;;#ASMEND
	s_wait_dscnt 0x0
	;;#ASMSTART
	v_dot2_f32_f16 v76, v78, v4, v76
	;;#ASMEND
	;;#ASMSTART
	v_dot2_f32_f16 v76, v79, v5, v76
	;;#ASMEND
	;;#ASMSTART
	v_dot2_f32_f16 v76, v80, v6, v76
	;;#ASMEND
	;;#ASMSTART
	v_dot2_f32_f16 v76, v81, v7, v76
	;;#ASMEND
	ds_load_b128 v[0:3], v48 offset:32
	;; [unrolled: 29-line block ×7, first 2 shown]
	ds_load_b128 v[4:7], v36 offset:752
	ds_load_b128 v[78:81], v48 offset:4720
	s_wait_dscnt 0x1
	;;#ASMSTART
	v_dot2_f32_f16 v75, v0, v4, v75
	;;#ASMEND
	;;#ASMSTART
	v_dot2_f32_f16 v75, v1, v5, v75
	;;#ASMEND
	;; [unrolled: 3-line block ×4, first 2 shown]
	s_wait_dscnt 0x0
	;;#ASMSTART
	v_dot2_f32_f16 v76, v78, v4, v76
	;;#ASMEND
	;;#ASMSTART
	v_dot2_f32_f16 v76, v79, v5, v76
	;;#ASMEND
	;; [unrolled: 3-line block ×4, first 2 shown]
	s_barrier_signal -1
	s_barrier_wait -1
	s_clause 0x2
	global_load_b128 v[0:3], v[30:31], off offset:768
	global_load_b128 v[4:7], v[32:33], off offset:768
	;; [unrolled: 1-line block ×3, first 2 shown]
	s_wait_loadcnt 0x2
	ds_store_b128 v44, v[0:3]
	global_load_b128 v[0:3], v[28:29], off offset:768
	s_wait_loadcnt 0x2
	ds_store_b128 v45, v[4:7]
	s_wait_loadcnt 0x1
	ds_store_b128 v46, v[78:81]
	;; [unrolled: 2-line block ×3, first 2 shown]
	s_wait_dscnt 0x0
	s_barrier_signal -1
	s_barrier_wait -1
	ds_load_b128 v[0:3], v48
	ds_load_b128 v[4:7], v36 offset:768
	ds_load_b128 v[78:81], v48 offset:4608
	s_wait_dscnt 0x1
	;;#ASMSTART
	v_dot2_f32_f16 v75, v0, v4, v75
	;;#ASMEND
	;;#ASMSTART
	v_dot2_f32_f16 v75, v1, v5, v75
	;;#ASMEND
	;;#ASMSTART
	v_dot2_f32_f16 v75, v2, v6, v75
	;;#ASMEND
	;;#ASMSTART
	v_dot2_f32_f16 v75, v3, v7, v75
	;;#ASMEND
	s_wait_dscnt 0x0
	;;#ASMSTART
	v_dot2_f32_f16 v76, v78, v4, v76
	;;#ASMEND
	;;#ASMSTART
	v_dot2_f32_f16 v76, v79, v5, v76
	;;#ASMEND
	;;#ASMSTART
	v_dot2_f32_f16 v76, v80, v6, v76
	;;#ASMEND
	;;#ASMSTART
	v_dot2_f32_f16 v76, v81, v7, v76
	;;#ASMEND
	ds_load_b128 v[0:3], v48 offset:16
	ds_load_b128 v[4:7], v36 offset:784
	ds_load_b128 v[78:81], v48 offset:4624
	s_wait_dscnt 0x1
	;;#ASMSTART
	v_dot2_f32_f16 v75, v0, v4, v75
	;;#ASMEND
	;;#ASMSTART
	v_dot2_f32_f16 v75, v1, v5, v75
	;;#ASMEND
	;;#ASMSTART
	v_dot2_f32_f16 v75, v2, v6, v75
	;;#ASMEND
	;;#ASMSTART
	v_dot2_f32_f16 v75, v3, v7, v75
	;;#ASMEND
	s_wait_dscnt 0x0
	;;#ASMSTART
	v_dot2_f32_f16 v76, v78, v4, v76
	;;#ASMEND
	;;#ASMSTART
	v_dot2_f32_f16 v76, v79, v5, v76
	;;#ASMEND
	;;#ASMSTART
	v_dot2_f32_f16 v76, v80, v6, v76
	;;#ASMEND
	;;#ASMSTART
	v_dot2_f32_f16 v76, v81, v7, v76
	;;#ASMEND
	ds_load_b128 v[0:3], v48 offset:32
	;; [unrolled: 29-line block ×7, first 2 shown]
	ds_load_b128 v[4:7], v36 offset:880
	ds_load_b128 v[78:81], v48 offset:4720
	s_wait_dscnt 0x1
	;;#ASMSTART
	v_dot2_f32_f16 v75, v0, v4, v75
	;;#ASMEND
	;;#ASMSTART
	v_dot2_f32_f16 v75, v1, v5, v75
	;;#ASMEND
	;; [unrolled: 3-line block ×4, first 2 shown]
	s_wait_dscnt 0x0
	;;#ASMSTART
	v_dot2_f32_f16 v76, v78, v4, v76
	;;#ASMEND
	;;#ASMSTART
	v_dot2_f32_f16 v76, v79, v5, v76
	;;#ASMEND
	;; [unrolled: 3-line block ×4, first 2 shown]
	s_barrier_signal -1
	s_barrier_wait -1
	s_clause 0x2
	global_load_b128 v[0:3], v[30:31], off offset:896
	global_load_b128 v[4:7], v[32:33], off offset:896
	;; [unrolled: 1-line block ×3, first 2 shown]
	s_wait_loadcnt 0x2
	ds_store_b128 v44, v[0:3]
	global_load_b128 v[0:3], v[28:29], off offset:896
	s_wait_loadcnt 0x2
	ds_store_b128 v45, v[4:7]
	s_wait_loadcnt 0x1
	ds_store_b128 v46, v[78:81]
	;; [unrolled: 2-line block ×3, first 2 shown]
	s_wait_dscnt 0x0
	s_barrier_signal -1
	s_barrier_wait -1
	ds_load_b128 v[0:3], v48
	ds_load_b128 v[4:7], v36 offset:896
	ds_load_b128 v[78:81], v48 offset:4608
	s_wait_dscnt 0x1
	;;#ASMSTART
	v_dot2_f32_f16 v75, v0, v4, v75
	;;#ASMEND
	;;#ASMSTART
	v_dot2_f32_f16 v75, v1, v5, v75
	;;#ASMEND
	;;#ASMSTART
	v_dot2_f32_f16 v75, v2, v6, v75
	;;#ASMEND
	;;#ASMSTART
	v_dot2_f32_f16 v75, v3, v7, v75
	;;#ASMEND
	s_wait_dscnt 0x0
	;;#ASMSTART
	v_dot2_f32_f16 v76, v78, v4, v76
	;;#ASMEND
	;;#ASMSTART
	v_dot2_f32_f16 v76, v79, v5, v76
	;;#ASMEND
	;;#ASMSTART
	v_dot2_f32_f16 v76, v80, v6, v76
	;;#ASMEND
	;;#ASMSTART
	v_dot2_f32_f16 v76, v81, v7, v76
	;;#ASMEND
	ds_load_b128 v[0:3], v48 offset:16
	ds_load_b128 v[4:7], v36 offset:912
	ds_load_b128 v[78:81], v48 offset:4624
	s_wait_dscnt 0x1
	;;#ASMSTART
	v_dot2_f32_f16 v75, v0, v4, v75
	;;#ASMEND
	;;#ASMSTART
	v_dot2_f32_f16 v75, v1, v5, v75
	;;#ASMEND
	;;#ASMSTART
	v_dot2_f32_f16 v75, v2, v6, v75
	;;#ASMEND
	;;#ASMSTART
	v_dot2_f32_f16 v75, v3, v7, v75
	;;#ASMEND
	s_wait_dscnt 0x0
	;;#ASMSTART
	v_dot2_f32_f16 v76, v78, v4, v76
	;;#ASMEND
	;;#ASMSTART
	v_dot2_f32_f16 v76, v79, v5, v76
	;;#ASMEND
	;;#ASMSTART
	v_dot2_f32_f16 v76, v80, v6, v76
	;;#ASMEND
	;;#ASMSTART
	v_dot2_f32_f16 v76, v81, v7, v76
	;;#ASMEND
	ds_load_b128 v[0:3], v48 offset:32
	;; [unrolled: 29-line block ×7, first 2 shown]
	ds_load_b128 v[0:3], v36 offset:1008
	ds_load_b128 v[4:7], v48 offset:4720
	s_wait_dscnt 0x1
	;;#ASMSTART
	v_dot2_f32_f16 v75, v78, v0, v75
	;;#ASMEND
	;;#ASMSTART
	v_dot2_f32_f16 v75, v79, v1, v75
	;;#ASMEND
	;; [unrolled: 3-line block ×4, first 2 shown]
	s_wait_dscnt 0x0
	;;#ASMSTART
	v_dot2_f32_f16 v76, v4, v0, v76
	;;#ASMEND
	;;#ASMSTART
	v_dot2_f32_f16 v76, v5, v1, v76
	;;#ASMEND
	;; [unrolled: 3-line block ×4, first 2 shown]
	s_barrier_signal -1
	s_barrier_wait -1
	s_clause 0x1
	global_load_b128 v[0:3], v[30:31], off offset:1024
	global_load_b128 v[4:7], v[32:33], off offset:1024
	v_add_nc_u64_e32 v[78:79], s[42:43], v[22:23]
	v_add_nc_u64_e32 v[80:81], s[42:43], v[24:25]
	s_wait_loadcnt 0x1
	ds_store_b128 v44, v[0:3]
	s_clause 0x1
	global_load_b128 v[0:3], v[26:27], off offset:1024
	global_load_b128 v[30:33], v[28:29], off offset:1024
	s_wait_loadcnt 0x2
	ds_store_b128 v45, v[4:7]
	s_wait_loadcnt 0x1
	ds_store_b128 v46, v[0:3]
	;; [unrolled: 2-line block ×3, first 2 shown]
	s_wait_dscnt 0x0
	s_barrier_signal -1
	s_barrier_wait -1
	ds_load_b128 v[0:3], v48
	ds_load_b128 v[4:7], v36 offset:1024
	ds_load_b128 v[26:29], v48 offset:4608
	s_wait_dscnt 0x1
	;;#ASMSTART
	v_dot2_f32_f16 v75, v0, v4, v75
	;;#ASMEND
	;;#ASMSTART
	v_dot2_f32_f16 v75, v1, v5, v75
	;;#ASMEND
	;;#ASMSTART
	v_dot2_f32_f16 v75, v2, v6, v75
	;;#ASMEND
	;;#ASMSTART
	v_dot2_f32_f16 v75, v3, v7, v75
	;;#ASMEND
	s_wait_dscnt 0x0
	;;#ASMSTART
	v_dot2_f32_f16 v76, v26, v4, v76
	;;#ASMEND
	;;#ASMSTART
	v_dot2_f32_f16 v76, v27, v5, v76
	;;#ASMEND
	;;#ASMSTART
	v_dot2_f32_f16 v76, v28, v6, v76
	;;#ASMEND
	;;#ASMSTART
	v_dot2_f32_f16 v76, v29, v7, v76
	;;#ASMEND
	ds_load_b128 v[0:3], v48 offset:16
	ds_load_b128 v[4:7], v36 offset:1040
	ds_load_b128 v[26:29], v48 offset:4624
	s_wait_dscnt 0x1
	;;#ASMSTART
	v_dot2_f32_f16 v75, v0, v4, v75
	;;#ASMEND
	;;#ASMSTART
	v_dot2_f32_f16 v75, v1, v5, v75
	;;#ASMEND
	;;#ASMSTART
	v_dot2_f32_f16 v75, v2, v6, v75
	;;#ASMEND
	;;#ASMSTART
	v_dot2_f32_f16 v75, v3, v7, v75
	;;#ASMEND
	s_wait_dscnt 0x0
	;;#ASMSTART
	v_dot2_f32_f16 v76, v26, v4, v76
	;;#ASMEND
	;;#ASMSTART
	v_dot2_f32_f16 v76, v27, v5, v76
	;;#ASMEND
	;;#ASMSTART
	v_dot2_f32_f16 v76, v28, v6, v76
	;;#ASMEND
	;;#ASMSTART
	v_dot2_f32_f16 v76, v29, v7, v76
	;;#ASMEND
	ds_load_b128 v[0:3], v48 offset:32
	;; [unrolled: 29-line block ×7, first 2 shown]
	ds_load_b128 v[4:7], v36 offset:1136
	ds_load_b128 v[26:29], v48 offset:4720
	s_wait_dscnt 0x1
	;;#ASMSTART
	v_dot2_f32_f16 v75, v0, v4, v75
	;;#ASMEND
	;;#ASMSTART
	v_dot2_f32_f16 v75, v1, v5, v75
	;;#ASMEND
	;;#ASMSTART
	v_dot2_f32_f16 v75, v2, v6, v75
	;;#ASMEND
	;;#ASMSTART
	v_dot2_f32_f16 v75, v3, v7, v75
	;;#ASMEND
	s_wait_dscnt 0x0
	;;#ASMSTART
	v_dot2_f32_f16 v76, v26, v4, v76
	;;#ASMEND
	;;#ASMSTART
	v_dot2_f32_f16 v76, v27, v5, v76
	;;#ASMEND
	;; [unrolled: 3-line block ×4, first 2 shown]
	s_clause 0x1
	global_load_u16 v0, v69, s[34:35] scale_offset
	global_load_u16 v1, v69, s[34:35] offset:64 scale_offset
	v_add_nc_u64_e32 v[26:27], v[70:71], v[20:21]
	s_wait_loadcnt 0x0
	s_barrier_signal -1
	s_barrier_wait -1
	v_add_nc_u64_e32 v[6:7], s[2:3], v[24:25]
	v_add_nc_u64_e32 v[30:31], v[72:73], v[20:21]
	global_load_b128 v[2:5], v[26:27], off
	v_add_nc_u64_e32 v[6:7], v[6:7], v[20:21]
	v_cvt_f32_f16_e32 v0, v0
	v_cvt_f32_f16_e32 v1, v1
	s_delay_alu instid0(VALU_DEP_2) | instskip(NEXT) | instid1(VALU_DEP_1)
	v_dual_lshlrev_b32 v74, 2, v74 :: v_dual_add_f32 v28, v75, v0
	v_dual_add_f32 v1, v76, v1 :: v_dual_add_f32 v0, 0x40051340, v28
	s_delay_alu instid0(VALU_DEP_1) | instskip(NEXT) | instid1(VALU_DEP_1)
	v_add_f32_e32 v29, 0x40051340, v1
	v_max3_num_f32 v0, v68, v0, v29
	ds_bpermute_b32 v29, v67, v0
	s_wait_dscnt 0x0
	v_max_num_f32_e32 v29, v29, v29
	s_delay_alu instid0(VALU_DEP_1) | instskip(SKIP_3) | instid1(VALU_DEP_1)
	v_max_num_f32_e32 v0, v0, v29
	ds_bpermute_b32 v29, v86, v0
	s_wait_dscnt 0x0
	v_max_num_f32_e32 v29, v29, v29
	v_max_num_f32_e32 v0, v0, v29
	ds_bpermute_b32 v29, v87, v0
	s_wait_dscnt 0x0
	v_max_num_f32_e32 v29, v29, v29
	s_delay_alu instid0(VALU_DEP_1) | instskip(SKIP_3) | instid1(VALU_DEP_1)
	v_max_num_f32_e32 v0, v0, v29
	ds_bpermute_b32 v29, v88, v0
	s_wait_dscnt 0x0
	v_max_num_f32_e32 v29, v29, v29
	v_max_num_f32_e32 v0, v0, v29
	ds_bpermute_b32 v29, v74, v0
	s_wait_dscnt 0x0
	v_max_num_f32_e32 v29, v29, v29
	s_delay_alu instid0(VALU_DEP_1) | instskip(NEXT) | instid1(VALU_DEP_1)
	v_max_num_f32_e32 v0, v0, v29
	v_sub_f32_e32 v32, v28, v0
	s_delay_alu instid0(VALU_DEP_1) | instskip(SKIP_1) | instid1(VALU_DEP_2)
	v_mul_f32_e32 v28, 0x3fb8aa3b, v32
	v_cmp_ngt_f32_e64 s2, 0xc2ce8ed0, v32
	v_fma_f32 v33, 0x3fb8aa3b, v32, -v28
	v_rndne_f32_e32 v67, v28
	s_delay_alu instid0(VALU_DEP_2) | instskip(NEXT) | instid1(VALU_DEP_2)
	v_fmac_f32_e32 v33, 0x32a5705f, v32
	v_dual_sub_f32 v1, v1, v0 :: v_dual_sub_f32 v28, v28, v67
	v_cvt_i32_f32_e32 v67, v67
	s_delay_alu instid0(VALU_DEP_2) | instskip(NEXT) | instid1(VALU_DEP_3)
	v_mul_f32_e32 v29, 0x3fb8aa3b, v1
	v_add_f32_e32 v28, v28, v33
	v_cmp_ngt_f32_e32 vcc_lo, 0xc2ce8ed0, v1
	s_delay_alu instid0(VALU_DEP_3) | instskip(SKIP_2) | instid1(VALU_DEP_2)
	v_rndne_f32_e32 v33, v29
	s_wait_xcnt 0x1
	v_fma_f32 v69, 0x3fb8aa3b, v1, -v29
	v_sub_f32_e32 v29, v29, v33
	v_exp_f32_e32 v28, v28
	s_delay_alu instid0(VALU_DEP_2) | instskip(SKIP_1) | instid1(TRANS32_DEP_1)
	v_fmac_f32_e32 v69, 0x32a5705f, v1
	v_cvt_i32_f32_e32 v33, v33
	v_ldexp_f32 v67, v28, v67
	s_delay_alu instid0(VALU_DEP_3) | instskip(SKIP_4) | instid1(TRANS32_DEP_1)
	v_add_f32_e32 v69, v29, v69
	global_load_b128 v[26:29], v[26:27], off offset:512
	v_cndmask_b32_e64 v67, 0, v67, s2
	v_exp_f32_e32 v69, v69
	v_cmp_nlt_f32_e64 s2, 0x42b17218, v32
	v_ldexp_f32 v33, v69, v33
	s_delay_alu instid0(VALU_DEP_1) | instskip(SKIP_1) | instid1(VALU_DEP_4)
	v_cndmask_b32_e32 v33, 0, v33, vcc_lo
	v_cmp_nlt_f32_e32 vcc_lo, 0x42b17218, v1
	v_cndmask_b32_e64 v1, 0x7f800000, v67, s2
	s_delay_alu instid0(VALU_DEP_3) | instskip(NEXT) | instid1(VALU_DEP_2)
	v_dual_sub_f32 v67, v68, v0 :: v_dual_cndmask_b32 v74, 0x7f800000, v33
	v_cvt_f16_f32_e32 v32, v1
	s_delay_alu instid0(VALU_DEP_2) | instskip(NEXT) | instid1(VALU_DEP_3)
	v_cmp_ngt_f32_e32 vcc_lo, 0xc2ce8ed0, v67
	v_cvt_f16_f32_e32 v33, v74
	ds_store_b16 v52, v32
	ds_store_b16 v52, v33 offset:64
	s_wait_loadcnt 0x1
	ds_store_b128 v50, v[2:5]
	v_mul_f32_e32 v32, 0x3fb8aa3b, v67
	global_load_b128 v[2:5], v[30:31], off
	v_fma_f32 v33, 0x3fb8aa3b, v67, -v32
	v_rndne_f32_e32 v68, v32
	s_delay_alu instid0(VALU_DEP_1) | instskip(SKIP_1) | instid1(VALU_DEP_2)
	v_dual_fmac_f32 v33, 0x32a5705f, v67 :: v_dual_sub_f32 v32, v32, v68
	v_cvt_i32_f32_e32 v68, v68
	v_add_f32_e32 v32, v32, v33
	s_delay_alu instid0(VALU_DEP_1) | instskip(SKIP_1) | instid1(TRANS32_DEP_1)
	v_exp_f32_e32 v32, v32
	v_nop
	v_ldexp_f32 v68, v32, v68
	global_load_b128 v[30:33], v[30:31], off offset:512
	s_wait_loadcnt 0x2
	ds_store_b128 v53, v[26:29]
	s_wait_loadcnt 0x1
	ds_store_b128 v54, v[2:5]
	;; [unrolled: 2-line block ×3, first 2 shown]
	v_cndmask_b32_e32 v68, 0, v68, vcc_lo
	v_cmp_nlt_f32_e32 vcc_lo, 0x42b17218, v67
	s_wait_dscnt 0x0
	s_barrier_signal -1
	s_barrier_wait -1
	v_cndmask_b32_e32 v75, 0x7f800000, v68, vcc_lo
	ds_load_b128 v[2:5], v49
	ds_load_2addr_b64 v[26:29], v37 offset0:64 offset1:96
	v_cvt_f16_f32_e32 v67, v75
	s_delay_alu instid0(VALU_DEP_1) | instskip(NEXT) | instid1(VALU_DEP_1)
	v_and_b32_e32 v30, 0xffff, v67
	v_mul_u32_u24_e32 v67, 0x10001, v30
	s_delay_alu instid0(VALU_DEP_1)
	v_pk_mul_f16 v33, v59, v67
	s_wait_dscnt 0x1
	v_and_b32_e32 v59, 0xffff, v2
	v_pk_mul_f16 v30, v62, v67
	v_pk_mul_f16 v31, v61, v67
	;; [unrolled: 1-line block ×4, first 2 shown]
	v_mul_u32_u24_e32 v59, 0x10001, v59
	v_pk_mul_f16 v61, v63, v67
	v_lshrrev_b32_e32 v2, 16, v2
	s_wait_dscnt 0x0
	s_delay_alu instid0(VALU_DEP_3)
	v_pk_fma_f16 v30, v26, v59, v30
	v_pk_fma_f16 v31, v27, v59, v31
	;; [unrolled: 1-line block ×4, first 2 shown]
	ds_load_2addr_b64 v[26:29], v37 offset1:32
	s_wait_dscnt 0x0
	v_pk_fma_f16 v60, v28, v59, v60
	v_pk_fma_f16 v61, v29, v59, v61
	v_pk_mul_f16 v62, v26, v59
	v_pk_mul_f16 v59, v27, v59
	ds_load_2addr_b64 v[26:29], v37 offset0:192 offset1:224
	v_pk_fma_f16 v62, v66, v67, v62
	v_pk_fma_f16 v59, v64, v67, v59
	v_lshrrev_b32_e32 v67, 16, v4
	v_mul_u32_u24_e32 v2, 0x10001, v2
	s_delay_alu instid0(VALU_DEP_2) | instskip(SKIP_1) | instid1(VALU_DEP_2)
	v_mul_u32_u24_e32 v67, 0x10001, v67
	s_wait_dscnt 0x0
	v_pk_fma_f16 v63, v26, v2, v30
	v_pk_fma_f16 v65, v27, v2, v31
	;; [unrolled: 1-line block ×4, first 2 shown]
	ds_load_2addr_b64 v[26:29], v37 offset0:128 offset1:160
	v_add_nc_u64_e32 v[30:31], s[40:41], v[24:25]
	v_add_nc_u64_e32 v[32:33], s[38:39], v[22:23]
	s_delay_alu instid0(VALU_DEP_2) | instskip(NEXT) | instid1(VALU_DEP_2)
	v_add_nc_u64_e32 v[30:31], v[30:31], v[20:21]
	v_add_nc_u64_e32 v[32:33], v[32:33], v[20:21]
	s_wait_dscnt 0x0
	v_pk_fma_f16 v60, v28, v2, v60
	v_pk_fma_f16 v61, v29, v2, v61
	;; [unrolled: 1-line block ×4, first 2 shown]
	ds_load_2addr_b64 v[26:29], v56 offset0:64 offset1:96
	v_and_b32_e32 v59, 0xffff, v3
	v_lshrrev_b32_e32 v3, 16, v3
	s_delay_alu instid0(VALU_DEP_2) | instskip(NEXT) | instid1(VALU_DEP_2)
	v_mul_u32_u24_e32 v59, 0x10001, v59
	v_mul_u32_u24_e32 v3, 0x10001, v3
	s_wait_dscnt 0x0
	s_delay_alu instid0(VALU_DEP_2)
	v_pk_fma_f16 v63, v26, v59, v63
	v_pk_fma_f16 v64, v27, v59, v65
	v_pk_fma_f16 v65, v28, v59, v68
	v_pk_fma_f16 v66, v29, v59, v69
	ds_load_2addr_b64 v[26:29], v56 offset1:32
	v_and_b32_e32 v68, 0xffff, v5
	v_lshrrev_b32_e32 v69, 16, v5
	s_wait_dscnt 0x0
	v_pk_fma_f16 v60, v28, v59, v60
	v_pk_fma_f16 v61, v29, v59, v61
	v_pk_fma_f16 v62, v26, v59, v62
	v_pk_fma_f16 v2, v27, v59, v2
	ds_load_2addr_b64 v[26:29], v56 offset0:192 offset1:224
	s_wait_dscnt 0x0
	v_pk_fma_f16 v59, v26, v3, v63
	v_pk_fma_f16 v63, v27, v3, v64
	v_pk_fma_f16 v64, v28, v3, v65
	v_pk_fma_f16 v65, v29, v3, v66
	ds_load_2addr_b64 v[26:29], v56 offset0:128 offset1:160
	s_wait_dscnt 0x0
	v_pk_fma_f16 v60, v28, v3, v60
	v_pk_fma_f16 v61, v29, v3, v61
	v_pk_fma_f16 v62, v26, v3, v62
	v_pk_fma_f16 v2, v27, v3, v2
	ds_load_2addr_b64 v[26:29], v57 offset0:64 offset1:96
	v_and_b32_e32 v3, 0xffff, v4
	s_delay_alu instid0(VALU_DEP_1) | instskip(SKIP_1) | instid1(VALU_DEP_1)
	v_mul_u32_u24_e32 v3, 0x10001, v3
	s_wait_dscnt 0x0
	v_pk_fma_f16 v59, v26, v3, v59
	v_pk_fma_f16 v66, v27, v3, v63
	v_pk_fma_f16 v64, v28, v3, v64
	v_pk_fma_f16 v65, v29, v3, v65
	ds_load_2addr_b64 v[26:29], v57 offset1:32
	s_wait_dscnt 0x0
	v_pk_fma_f16 v28, v28, v3, v60
	v_pk_fma_f16 v29, v29, v3, v61
	;; [unrolled: 1-line block ×4, first 2 shown]
	ds_load_2addr_b64 v[2:5], v57 offset0:192 offset1:224
	v_add_nc_u64_e32 v[62:63], v[78:79], v[20:21]
	v_add_nc_u64_e32 v[60:61], s[38:39], v[24:25]
	s_delay_alu instid0(VALU_DEP_1)
	v_add_nc_u64_e32 v[60:61], v[60:61], v[20:21]
	s_wait_dscnt 0x0
	v_pk_fma_f16 v59, v2, v67, v59
	v_pk_fma_f16 v66, v3, v67, v66
	;; [unrolled: 1-line block ×4, first 2 shown]
	ds_load_2addr_b64 v[2:5], v57 offset0:128 offset1:160
	s_wait_dscnt 0x0
	v_pk_fma_f16 v28, v4, v67, v28
	v_pk_fma_f16 v29, v5, v67, v29
	;; [unrolled: 1-line block ×4, first 2 shown]
	ds_load_2addr_b64 v[2:5], v58 offset0:64 offset1:96
	v_mul_u32_u24_e32 v67, 0x10001, v68
	s_wait_dscnt 0x0
	s_delay_alu instid0(VALU_DEP_1)
	v_pk_fma_f16 v59, v2, v67, v59
	v_pk_fma_f16 v66, v3, v67, v66
	;; [unrolled: 1-line block ×4, first 2 shown]
	ds_load_2addr_b64 v[2:5], v58 offset1:32
	s_wait_dscnt 0x0
	v_pk_fma_f16 v28, v4, v67, v28
	v_pk_fma_f16 v29, v5, v67, v29
	;; [unrolled: 1-line block ×4, first 2 shown]
	ds_load_2addr_b64 v[2:5], v58 offset0:192 offset1:224
	v_mul_u32_u24_e32 v67, 0x10001, v69
	s_wait_dscnt 0x0
	s_delay_alu instid0(VALU_DEP_1)
	v_pk_fma_f16 v59, v2, v67, v59
	v_pk_fma_f16 v66, v3, v67, v66
	;; [unrolled: 1-line block ×4, first 2 shown]
	ds_load_2addr_b64 v[2:5], v58 offset0:128 offset1:160
	s_wait_dscnt 0x0
	s_barrier_signal -1
	s_barrier_wait -1
	v_add_nc_u64_e32 v[64:65], v[80:81], v[20:21]
	v_pk_fma_f16 v70, v4, v67, v28
	v_pk_fma_f16 v71, v5, v67, v29
	;; [unrolled: 1-line block ×4, first 2 shown]
	s_clause 0x1
	global_load_b128 v[2:5], v[62:63], off
	global_load_b128 v[26:29], v[62:63], off offset:512
	s_wait_xcnt 0x0
	v_add_nc_u64_e32 v[62:63], s[36:37], v[22:23]
	s_delay_alu instid0(VALU_DEP_1)
	v_add_nc_u64_e32 v[62:63], v[62:63], v[20:21]
	s_wait_loadcnt 0x1
	ds_store_b128 v50, v[2:5]
	s_wait_loadcnt 0x0
	ds_store_b128 v53, v[26:29]
	s_clause 0x1
	global_load_b128 v[2:5], v[64:65], off
	global_load_b128 v[26:29], v[64:65], off offset:512
	s_wait_loadcnt 0x1
	ds_store_b128 v54, v[2:5]
	s_wait_loadcnt 0x0
	ds_store_b128 v55, v[26:29]
	s_wait_dscnt 0x0
	s_barrier_signal -1
	s_barrier_wait -1
	ds_load_b128 v[2:5], v49 offset:16
	ds_load_2addr_b64 v[26:29], v37 offset1:32
	s_wait_dscnt 0x1
	v_and_b32_e32 v64, 0xffff, v2
	v_dual_lshrrev_b32 v2, 16, v2 :: v_dual_lshrrev_b32 v73, 16, v5
	s_delay_alu instid0(VALU_DEP_2) | instskip(NEXT) | instid1(VALU_DEP_2)
	v_mul_u32_u24_e32 v64, 0x10001, v64
	v_mul_u32_u24_e32 v2, 0x10001, v2
	s_wait_dscnt 0x0
	s_delay_alu instid0(VALU_DEP_2)
	v_pk_fma_f16 v65, v26, v64, v72
	v_pk_fma_f16 v67, v27, v64, v67
	v_pk_fma_f16 v70, v28, v64, v70
	v_pk_fma_f16 v71, v29, v64, v71
	ds_load_2addr_b64 v[26:29], v37 offset0:64 offset1:96
	s_wait_dscnt 0x0
	v_pk_fma_f16 v59, v26, v64, v59
	v_pk_fma_f16 v66, v27, v64, v66
	v_pk_fma_f16 v68, v28, v64, v68
	v_pk_fma_f16 v64, v29, v64, v69
	ds_load_2addr_b64 v[26:29], v37 offset0:128 offset1:160
	s_wait_dscnt 0x0
	;; [unrolled: 6-line block ×3, first 2 shown]
	v_pk_fma_f16 v59, v26, v2, v59
	v_pk_fma_f16 v66, v27, v2, v66
	;; [unrolled: 1-line block ×4, first 2 shown]
	ds_load_2addr_b64 v[26:29], v56 offset1:32
	v_and_b32_e32 v64, 0xffff, v3
	v_lshrrev_b32_e32 v3, 16, v3
	s_delay_alu instid0(VALU_DEP_2) | instskip(NEXT) | instid1(VALU_DEP_2)
	v_mul_u32_u24_e32 v64, 0x10001, v64
	v_mul_u32_u24_e32 v3, 0x10001, v3
	s_wait_dscnt 0x0
	s_delay_alu instid0(VALU_DEP_2)
	v_pk_fma_f16 v65, v26, v64, v65
	v_pk_fma_f16 v67, v27, v64, v67
	v_pk_fma_f16 v69, v28, v64, v69
	v_pk_fma_f16 v70, v29, v64, v70
	ds_load_2addr_b64 v[26:29], v56 offset0:64 offset1:96
	s_wait_dscnt 0x0
	v_pk_fma_f16 v59, v26, v64, v59
	v_pk_fma_f16 v66, v27, v64, v66
	v_pk_fma_f16 v68, v28, v64, v68
	v_pk_fma_f16 v2, v29, v64, v2
	ds_load_2addr_b64 v[26:29], v56 offset0:128 offset1:160
	s_wait_dscnt 0x0
	;; [unrolled: 6-line block ×3, first 2 shown]
	v_pk_fma_f16 v59, v26, v3, v59
	v_pk_fma_f16 v66, v27, v3, v66
	;; [unrolled: 1-line block ×4, first 2 shown]
	ds_load_2addr_b64 v[26:29], v57 offset1:32
	v_and_b32_e32 v3, 0xffff, v4
	s_delay_alu instid0(VALU_DEP_1) | instskip(SKIP_1) | instid1(VALU_DEP_1)
	v_mul_u32_u24_e32 v3, 0x10001, v3
	s_wait_dscnt 0x0
	v_pk_fma_f16 v70, v26, v3, v64
	v_pk_fma_f16 v71, v27, v3, v65
	;; [unrolled: 1-line block ×4, first 2 shown]
	ds_load_2addr_b64 v[26:29], v57 offset0:64 offset1:96
	v_add_nc_u64_e32 v[64:65], s[36:37], v[24:25]
	s_delay_alu instid0(VALU_DEP_1)
	v_add_nc_u64_e32 v[64:65], v[64:65], v[20:21]
	s_wait_dscnt 0x0
	v_pk_fma_f16 v26, v26, v3, v59
	v_pk_fma_f16 v27, v27, v3, v66
	;; [unrolled: 1-line block ×4, first 2 shown]
	v_lshrrev_b32_e32 v59, 16, v4
	v_and_b32_e32 v68, 0xffff, v5
	ds_load_2addr_b64 v[2:5], v57 offset0:128 offset1:160
	v_add_nc_u64_e32 v[66:67], v[82:83], v[20:21]
	v_mul_u32_u24_e32 v59, 0x10001, v59
	s_wait_dscnt 0x0
	s_delay_alu instid0(VALU_DEP_1)
	v_pk_fma_f16 v70, v2, v59, v70
	v_pk_fma_f16 v71, v3, v59, v71
	v_pk_fma_f16 v72, v4, v59, v72
	v_pk_fma_f16 v69, v5, v59, v69
	ds_load_2addr_b64 v[2:5], v57 offset0:192 offset1:224
	s_wait_dscnt 0x0
	v_pk_fma_f16 v26, v2, v59, v26
	v_pk_fma_f16 v27, v3, v59, v27
	;; [unrolled: 1-line block ×4, first 2 shown]
	ds_load_2addr_b64 v[2:5], v58 offset1:32
	v_mul_u32_u24_e32 v59, 0x10001, v68
	s_wait_dscnt 0x0
	s_delay_alu instid0(VALU_DEP_1)
	v_pk_fma_f16 v68, v2, v59, v70
	v_pk_fma_f16 v70, v3, v59, v71
	;; [unrolled: 1-line block ×4, first 2 shown]
	ds_load_2addr_b64 v[2:5], v58 offset0:64 offset1:96
	s_wait_dscnt 0x0
	v_pk_fma_f16 v26, v2, v59, v26
	v_pk_fma_f16 v27, v3, v59, v27
	;; [unrolled: 1-line block ×4, first 2 shown]
	ds_load_2addr_b64 v[2:5], v58 offset0:128 offset1:160
	v_mul_u32_u24_e32 v59, 0x10001, v73
	s_wait_dscnt 0x0
	s_delay_alu instid0(VALU_DEP_1)
	v_pk_fma_f16 v68, v2, v59, v68
	v_pk_fma_f16 v70, v3, v59, v70
	;; [unrolled: 1-line block ×4, first 2 shown]
	ds_load_2addr_b64 v[2:5], v58 offset0:192 offset1:224
	s_wait_dscnt 0x0
	s_barrier_signal -1
	s_barrier_wait -1
	v_pk_fma_f16 v72, v2, v59, v26
	v_pk_fma_f16 v73, v3, v59, v27
	;; [unrolled: 1-line block ×4, first 2 shown]
	s_clause 0x1
	global_load_b128 v[2:5], v[66:67], off
	global_load_b128 v[26:29], v[66:67], off offset:512
	s_wait_xcnt 0x0
	v_add_nc_u64_e32 v[66:67], s[26:27], v[22:23]
	s_delay_alu instid0(VALU_DEP_1)
	v_add_nc_u64_e32 v[66:67], v[66:67], v[20:21]
	s_wait_loadcnt 0x1
	ds_store_b128 v50, v[2:5]
	s_wait_loadcnt 0x0
	ds_store_b128 v53, v[26:29]
	s_clause 0x1
	global_load_b128 v[2:5], v[6:7], off
	global_load_b128 v[26:29], v[6:7], off offset:512
	s_wait_loadcnt 0x1
	ds_store_b128 v54, v[2:5]
	s_wait_loadcnt 0x0
	ds_store_b128 v55, v[26:29]
	s_wait_dscnt 0x0
	s_barrier_signal -1
	s_barrier_wait -1
	ds_load_b128 v[2:5], v49 offset:32
	ds_load_2addr_b64 v[26:29], v37 offset1:32
	s_wait_dscnt 0x1
	v_and_b32_e32 v6, 0xffff, v2
	v_dual_lshrrev_b32 v2, 16, v2 :: v_dual_lshrrev_b32 v78, 16, v5
	s_delay_alu instid0(VALU_DEP_2) | instskip(NEXT) | instid1(VALU_DEP_2)
	v_mul_u32_u24_e32 v6, 0x10001, v6
	v_mul_u32_u24_e32 v2, 0x10001, v2
	s_wait_dscnt 0x0
	s_delay_alu instid0(VALU_DEP_2)
	v_pk_fma_f16 v7, v26, v6, v68
	v_pk_fma_f16 v68, v27, v6, v70
	v_pk_fma_f16 v70, v28, v6, v71
	v_pk_fma_f16 v69, v29, v6, v69
	ds_load_2addr_b64 v[26:29], v37 offset0:64 offset1:96
	s_wait_dscnt 0x0
	v_pk_fma_f16 v71, v26, v6, v72
	v_pk_fma_f16 v72, v27, v6, v73
	v_pk_fma_f16 v73, v28, v6, v76
	v_pk_fma_f16 v6, v29, v6, v59
	ds_load_2addr_b64 v[26:29], v37 offset0:128 offset1:160
	s_wait_dscnt 0x0
	;; [unrolled: 6-line block ×3, first 2 shown]
	v_pk_fma_f16 v70, v26, v2, v71
	v_pk_fma_f16 v71, v27, v2, v72
	v_pk_fma_f16 v72, v28, v2, v73
	v_pk_fma_f16 v2, v29, v2, v6
	ds_load_2addr_b64 v[26:29], v56 offset1:32
	v_and_b32_e32 v6, 0xffff, v3
	v_lshrrev_b32_e32 v3, 16, v3
	s_delay_alu instid0(VALU_DEP_2) | instskip(NEXT) | instid1(VALU_DEP_2)
	v_mul_u32_u24_e32 v6, 0x10001, v6
	v_mul_u32_u24_e32 v3, 0x10001, v3
	s_wait_dscnt 0x0
	s_delay_alu instid0(VALU_DEP_2)
	v_pk_fma_f16 v7, v26, v6, v7
	v_pk_fma_f16 v59, v27, v6, v59
	v_pk_fma_f16 v68, v28, v6, v68
	v_pk_fma_f16 v69, v29, v6, v69
	ds_load_2addr_b64 v[26:29], v56 offset0:64 offset1:96
	s_wait_dscnt 0x0
	v_pk_fma_f16 v70, v26, v6, v70
	v_pk_fma_f16 v71, v27, v6, v71
	v_pk_fma_f16 v72, v28, v6, v72
	v_pk_fma_f16 v2, v29, v6, v2
	ds_load_2addr_b64 v[26:29], v56 offset0:128 offset1:160
	s_wait_dscnt 0x0
	;; [unrolled: 6-line block ×3, first 2 shown]
	v_pk_fma_f16 v69, v26, v3, v70
	v_pk_fma_f16 v70, v27, v3, v71
	;; [unrolled: 1-line block ×4, first 2 shown]
	ds_load_2addr_b64 v[26:29], v57 offset1:32
	v_and_b32_e32 v3, 0xffff, v4
	s_delay_alu instid0(VALU_DEP_1) | instskip(SKIP_1) | instid1(VALU_DEP_1)
	v_mul_u32_u24_e32 v3, 0x10001, v3
	s_wait_dscnt 0x0
	v_pk_fma_f16 v72, v26, v3, v6
	v_pk_fma_f16 v73, v27, v3, v7
	;; [unrolled: 1-line block ×4, first 2 shown]
	ds_load_2addr_b64 v[26:29], v57 offset0:64 offset1:96
	v_add_nc_u64_e32 v[6:7], s[26:27], v[24:25]
	s_delay_alu instid0(VALU_DEP_1)
	v_add_nc_u64_e32 v[6:7], v[6:7], v[20:21]
	s_wait_dscnt 0x0
	v_pk_fma_f16 v26, v26, v3, v69
	v_pk_fma_f16 v27, v27, v3, v70
	;; [unrolled: 1-line block ×4, first 2 shown]
	v_lshrrev_b32_e32 v70, 16, v4
	v_and_b32_e32 v71, 0xffff, v5
	ds_load_2addr_b64 v[2:5], v57 offset0:128 offset1:160
	v_add_nc_u64_e32 v[68:69], v[84:85], v[20:21]
	v_mul_u32_u24_e32 v70, 0x10001, v70
	s_wait_dscnt 0x0
	s_delay_alu instid0(VALU_DEP_1)
	v_pk_fma_f16 v72, v2, v70, v72
	v_pk_fma_f16 v73, v3, v70, v73
	v_pk_fma_f16 v59, v4, v70, v59
	v_pk_fma_f16 v76, v5, v70, v76
	ds_load_2addr_b64 v[2:5], v57 offset0:192 offset1:224
	s_wait_dscnt 0x0
	v_pk_fma_f16 v26, v2, v70, v26
	v_pk_fma_f16 v27, v3, v70, v27
	;; [unrolled: 1-line block ×4, first 2 shown]
	ds_load_2addr_b64 v[2:5], v58 offset1:32
	v_mul_u32_u24_e32 v70, 0x10001, v71
	s_wait_dscnt 0x0
	s_delay_alu instid0(VALU_DEP_1)
	v_pk_fma_f16 v71, v2, v70, v72
	v_pk_fma_f16 v72, v3, v70, v73
	;; [unrolled: 1-line block ×4, first 2 shown]
	ds_load_2addr_b64 v[2:5], v58 offset0:64 offset1:96
	s_wait_dscnt 0x0
	v_pk_fma_f16 v26, v2, v70, v26
	v_pk_fma_f16 v27, v3, v70, v27
	;; [unrolled: 1-line block ×4, first 2 shown]
	ds_load_2addr_b64 v[2:5], v58 offset0:128 offset1:160
	v_mul_u32_u24_e32 v70, 0x10001, v78
	s_wait_dscnt 0x0
	s_delay_alu instid0(VALU_DEP_1)
	v_pk_fma_f16 v71, v2, v70, v71
	v_pk_fma_f16 v76, v3, v70, v72
	;; [unrolled: 1-line block ×4, first 2 shown]
	ds_load_2addr_b64 v[2:5], v58 offset0:192 offset1:224
	s_wait_dscnt 0x0
	s_barrier_signal -1
	s_barrier_wait -1
	v_add_nc_u64_e32 v[72:73], s[24:25], v[22:23]
	v_pk_fma_f16 v79, v2, v70, v26
	v_pk_fma_f16 v80, v3, v70, v27
	;; [unrolled: 1-line block ×4, first 2 shown]
	s_clause 0x1
	global_load_b128 v[2:5], v[68:69], off
	global_load_b128 v[26:29], v[68:69], off offset:512
	s_wait_loadcnt 0x1
	ds_store_b128 v50, v[2:5]
	s_wait_loadcnt 0x0
	ds_store_b128 v53, v[26:29]
	s_clause 0x1
	global_load_b128 v[2:5], v[30:31], off
	global_load_b128 v[26:29], v[30:31], off offset:512
	s_wait_loadcnt 0x1
	ds_store_b128 v54, v[2:5]
	s_wait_loadcnt 0x0
	ds_store_b128 v55, v[26:29]
	s_wait_dscnt 0x0
	s_barrier_signal -1
	s_barrier_wait -1
	ds_load_b128 v[2:5], v49 offset:48
	ds_load_2addr_b64 v[26:29], v37 offset1:32
	s_wait_dscnt 0x1
	v_and_b32_e32 v30, 0xffff, v2
	v_lshrrev_b32_e32 v2, 16, v2
	s_delay_alu instid0(VALU_DEP_2) | instskip(NEXT) | instid1(VALU_DEP_2)
	v_mul_u32_u24_e32 v30, 0x10001, v30
	v_mul_u32_u24_e32 v2, 0x10001, v2
	s_wait_dscnt 0x0
	s_delay_alu instid0(VALU_DEP_2)
	v_pk_fma_f16 v31, v26, v30, v71
	v_pk_fma_f16 v68, v27, v30, v76
	v_pk_fma_f16 v59, v28, v30, v59
	v_pk_fma_f16 v69, v29, v30, v78
	ds_load_2addr_b64 v[26:29], v37 offset0:64 offset1:96
	s_wait_dscnt 0x0
	v_pk_fma_f16 v71, v26, v30, v79
	v_pk_fma_f16 v76, v27, v30, v80
	v_pk_fma_f16 v78, v28, v30, v81
	v_pk_fma_f16 v30, v29, v30, v70
	ds_load_2addr_b64 v[26:29], v37 offset0:128 offset1:160
	s_wait_dscnt 0x0
	v_pk_fma_f16 v31, v26, v2, v31
	v_pk_fma_f16 v68, v27, v2, v68
	v_pk_fma_f16 v59, v28, v2, v59
	v_pk_fma_f16 v69, v29, v2, v69
	ds_load_2addr_b64 v[26:29], v37 offset0:192 offset1:224
	s_wait_dscnt 0x0
	v_pk_fma_f16 v70, v26, v2, v71
	v_pk_fma_f16 v71, v27, v2, v76
	;; [unrolled: 1-line block ×4, first 2 shown]
	ds_load_2addr_b64 v[26:29], v56 offset1:32
	v_and_b32_e32 v30, 0xffff, v3
	v_dual_lshrrev_b32 v3, 16, v3 :: v_dual_lshrrev_b32 v78, 16, v5
	s_delay_alu instid0(VALU_DEP_2) | instskip(NEXT) | instid1(VALU_DEP_2)
	v_mul_u32_u24_e32 v30, 0x10001, v30
	v_mul_u32_u24_e32 v3, 0x10001, v3
	s_delay_alu instid0(VALU_DEP_3) | instskip(SKIP_1) | instid1(VALU_DEP_3)
	v_mul_u32_u24_e32 v78, 0x10001, v78
	s_wait_dscnt 0x0
	v_pk_fma_f16 v31, v26, v30, v31
	v_pk_fma_f16 v68, v27, v30, v68
	v_pk_fma_f16 v59, v28, v30, v59
	v_pk_fma_f16 v69, v29, v30, v69
	ds_load_2addr_b64 v[26:29], v56 offset0:64 offset1:96
	s_wait_dscnt 0x0
	v_pk_fma_f16 v70, v26, v30, v70
	v_pk_fma_f16 v71, v27, v30, v71
	v_pk_fma_f16 v76, v28, v30, v76
	v_pk_fma_f16 v2, v29, v30, v2
	ds_load_2addr_b64 v[26:29], v56 offset0:128 offset1:160
	;; [unrolled: 6-line block ×3, first 2 shown]
	s_wait_dscnt 0x0
	v_pk_fma_f16 v69, v26, v3, v70
	v_pk_fma_f16 v70, v27, v3, v71
	v_pk_fma_f16 v71, v28, v3, v76
	v_pk_fma_f16 v2, v29, v3, v2
	ds_load_2addr_b64 v[26:29], v57 offset1:32
	v_and_b32_e32 v3, 0xffff, v4
	s_delay_alu instid0(VALU_DEP_1) | instskip(SKIP_1) | instid1(VALU_DEP_1)
	v_mul_u32_u24_e32 v3, 0x10001, v3
	s_wait_dscnt 0x0
	v_pk_fma_f16 v30, v26, v3, v30
	v_pk_fma_f16 v31, v27, v3, v31
	;; [unrolled: 1-line block ×4, first 2 shown]
	ds_load_2addr_b64 v[26:29], v57 offset0:64 offset1:96
	s_wait_dscnt 0x0
	v_pk_fma_f16 v69, v26, v3, v69
	v_pk_fma_f16 v70, v27, v3, v70
	;; [unrolled: 1-line block ×4, first 2 shown]
	ds_load_2addr_b64 v[26:29], v57 offset0:128 offset1:160
	v_lshrrev_b32_e32 v3, 16, v4
	s_delay_alu instid0(VALU_DEP_1) | instskip(SKIP_1) | instid1(VALU_DEP_1)
	v_mul_u32_u24_e32 v3, 0x10001, v3
	s_wait_dscnt 0x0
	v_pk_fma_f16 v4, v26, v3, v30
	v_pk_fma_f16 v30, v27, v3, v31
	;; [unrolled: 1-line block ×4, first 2 shown]
	ds_load_2addr_b64 v[26:29], v57 offset0:192 offset1:224
	s_wait_dscnt 0x0
	v_pk_fma_f16 v68, v26, v3, v69
	v_pk_fma_f16 v69, v27, v3, v70
	;; [unrolled: 1-line block ×4, first 2 shown]
	ds_load_2addr_b64 v[26:29], v58 offset1:32
	v_and_b32_e32 v3, 0xffff, v5
	s_delay_alu instid0(VALU_DEP_1) | instskip(SKIP_1) | instid1(VALU_DEP_1)
	v_mul_u32_u24_e32 v3, 0x10001, v3
	s_wait_dscnt 0x0
	v_pk_fma_f16 v71, v26, v3, v4
	v_pk_fma_f16 v30, v27, v3, v30
	;; [unrolled: 1-line block ×4, first 2 shown]
	ds_load_2addr_b64 v[26:29], v58 offset0:64 offset1:96
	s_wait_dscnt 0x0
	v_pk_fma_f16 v68, v26, v3, v68
	v_pk_fma_f16 v69, v27, v3, v69
	;; [unrolled: 1-line block ×4, first 2 shown]
	ds_load_2addr_b64 v[26:29], v58 offset0:128 offset1:160
	ds_load_2addr_b64 v[2:5], v58 offset0:192 offset1:224
	s_wait_dscnt 0x0
	s_barrier_signal -1
	s_barrier_wait -1
	v_pk_fma_f16 v71, v26, v78, v71
	v_pk_fma_f16 v79, v27, v78, v30
	;; [unrolled: 1-line block ×4, first 2 shown]
	global_load_b128 v[26:29], v[32:33], off
	v_pk_fma_f16 v68, v2, v78, v68
	v_pk_fma_f16 v69, v3, v78, v69
	;; [unrolled: 1-line block ×4, first 2 shown]
	global_load_b128 v[2:5], v[32:33], off offset:512
	s_wait_loadcnt 0x1
	ds_store_b128 v50, v[26:29]
	s_clause 0x1
	global_load_b128 v[26:29], v[60:61], off
	global_load_b128 v[30:33], v[60:61], off offset:512
	s_wait_loadcnt 0x2
	ds_store_b128 v53, v[2:5]
	s_wait_loadcnt 0x1
	ds_store_b128 v54, v[26:29]
	;; [unrolled: 2-line block ×3, first 2 shown]
	s_wait_dscnt 0x0
	s_barrier_signal -1
	s_barrier_wait -1
	ds_load_b128 v[2:5], v49 offset:64
	ds_load_2addr_b64 v[26:29], v37 offset1:32
	ds_load_2addr_b64 v[30:33], v37 offset0:64 offset1:96
	s_wait_dscnt 0x2
	v_and_b32_e32 v60, 0xffff, v2
	v_lshrrev_b32_e32 v2, 16, v2
	s_delay_alu instid0(VALU_DEP_2) | instskip(NEXT) | instid1(VALU_DEP_2)
	v_mul_u32_u24_e32 v60, 0x10001, v60
	v_mul_u32_u24_e32 v2, 0x10001, v2
	s_wait_dscnt 0x1
	s_delay_alu instid0(VALU_DEP_2)
	v_pk_fma_f16 v61, v26, v60, v71
	v_pk_fma_f16 v71, v27, v60, v79
	;; [unrolled: 1-line block ×4, first 2 shown]
	ds_load_2addr_b64 v[26:29], v37 offset0:128 offset1:160
	s_wait_dscnt 0x1
	v_pk_fma_f16 v68, v30, v60, v68
	v_pk_fma_f16 v69, v31, v60, v69
	;; [unrolled: 1-line block ×4, first 2 shown]
	ds_load_2addr_b64 v[30:33], v37 offset0:192 offset1:224
	s_wait_dscnt 0x1
	v_pk_fma_f16 v61, v26, v2, v61
	v_pk_fma_f16 v71, v27, v2, v71
	;; [unrolled: 1-line block ×4, first 2 shown]
	ds_load_2addr_b64 v[26:29], v56 offset1:32
	s_wait_dscnt 0x1
	v_pk_fma_f16 v68, v30, v2, v68
	v_pk_fma_f16 v69, v31, v2, v69
	;; [unrolled: 1-line block ×4, first 2 shown]
	ds_load_2addr_b64 v[30:33], v56 offset0:64 offset1:96
	v_and_b32_e32 v60, 0xffff, v3
	v_dual_lshrrev_b32 v3, 16, v3 :: v_dual_lshrrev_b32 v78, 16, v5
	s_delay_alu instid0(VALU_DEP_2) | instskip(NEXT) | instid1(VALU_DEP_2)
	v_mul_u32_u24_e32 v60, 0x10001, v60
	v_mul_u32_u24_e32 v3, 0x10001, v3
	s_delay_alu instid0(VALU_DEP_3) | instskip(SKIP_1) | instid1(VALU_DEP_3)
	v_mul_u32_u24_e32 v78, 0x10001, v78
	s_wait_dscnt 0x1
	v_pk_fma_f16 v61, v26, v60, v61
	v_pk_fma_f16 v71, v27, v60, v71
	;; [unrolled: 1-line block ×4, first 2 shown]
	ds_load_2addr_b64 v[26:29], v56 offset0:128 offset1:160
	s_wait_dscnt 0x1
	v_pk_fma_f16 v68, v30, v60, v68
	v_pk_fma_f16 v69, v31, v60, v69
	v_pk_fma_f16 v70, v32, v60, v70
	v_pk_fma_f16 v2, v33, v60, v2
	ds_load_2addr_b64 v[30:33], v56 offset0:192 offset1:224
	s_wait_dscnt 0x1
	v_pk_fma_f16 v60, v26, v3, v61
	v_pk_fma_f16 v61, v27, v3, v71
	;; [unrolled: 1-line block ×4, first 2 shown]
	ds_load_2addr_b64 v[26:29], v57 offset1:32
	s_wait_dscnt 0x1
	v_pk_fma_f16 v68, v30, v3, v68
	v_pk_fma_f16 v69, v31, v3, v69
	;; [unrolled: 1-line block ×4, first 2 shown]
	ds_load_2addr_b64 v[30:33], v57 offset0:64 offset1:96
	v_and_b32_e32 v3, 0xffff, v4
	s_delay_alu instid0(VALU_DEP_1) | instskip(SKIP_1) | instid1(VALU_DEP_1)
	v_mul_u32_u24_e32 v3, 0x10001, v3
	s_wait_dscnt 0x1
	v_pk_fma_f16 v60, v26, v3, v60
	v_pk_fma_f16 v61, v27, v3, v61
	;; [unrolled: 1-line block ×4, first 2 shown]
	ds_load_2addr_b64 v[26:29], v57 offset0:128 offset1:160
	s_wait_dscnt 0x1
	v_pk_fma_f16 v68, v30, v3, v68
	v_pk_fma_f16 v69, v31, v3, v69
	;; [unrolled: 1-line block ×4, first 2 shown]
	ds_load_2addr_b64 v[30:33], v57 offset0:192 offset1:224
	v_lshrrev_b32_e32 v3, 16, v4
	s_delay_alu instid0(VALU_DEP_1) | instskip(SKIP_1) | instid1(VALU_DEP_1)
	v_mul_u32_u24_e32 v3, 0x10001, v3
	s_wait_dscnt 0x1
	v_pk_fma_f16 v4, v26, v3, v60
	v_pk_fma_f16 v60, v27, v3, v61
	;; [unrolled: 1-line block ×4, first 2 shown]
	ds_load_2addr_b64 v[26:29], v58 offset1:32
	s_wait_dscnt 0x1
	v_pk_fma_f16 v68, v30, v3, v68
	v_pk_fma_f16 v69, v31, v3, v69
	;; [unrolled: 1-line block ×4, first 2 shown]
	ds_load_2addr_b64 v[30:33], v58 offset0:64 offset1:96
	v_and_b32_e32 v3, 0xffff, v5
	s_delay_alu instid0(VALU_DEP_1) | instskip(SKIP_1) | instid1(VALU_DEP_1)
	v_mul_u32_u24_e32 v3, 0x10001, v3
	s_wait_dscnt 0x1
	v_pk_fma_f16 v71, v26, v3, v4
	v_pk_fma_f16 v60, v27, v3, v60
	;; [unrolled: 1-line block ×4, first 2 shown]
	ds_load_2addr_b64 v[26:29], v58 offset0:128 offset1:160
	s_wait_dscnt 0x1
	v_pk_fma_f16 v68, v30, v3, v68
	v_pk_fma_f16 v69, v31, v3, v69
	;; [unrolled: 1-line block ×4, first 2 shown]
	ds_load_2addr_b64 v[30:33], v58 offset0:192 offset1:224
	s_wait_dscnt 0x0
	s_barrier_signal -1
	s_barrier_wait -1
	global_load_b128 v[2:5], v[62:63], off
	v_pk_fma_f16 v71, v26, v78, v71
	v_pk_fma_f16 v79, v27, v78, v60
	;; [unrolled: 1-line block ×4, first 2 shown]
	global_load_b128 v[26:29], v[62:63], off offset:512
	v_pk_fma_f16 v68, v30, v78, v68
	v_pk_fma_f16 v69, v31, v78, v69
	;; [unrolled: 1-line block ×4, first 2 shown]
	s_clause 0x1
	global_load_b128 v[30:33], v[64:65], off
	global_load_b128 v[60:63], v[64:65], off offset:512
	s_wait_loadcnt 0x3
	ds_store_b128 v50, v[2:5]
	s_wait_loadcnt 0x2
	ds_store_b128 v53, v[26:29]
	;; [unrolled: 2-line block ×4, first 2 shown]
	s_wait_dscnt 0x0
	s_barrier_signal -1
	s_barrier_wait -1
	ds_load_b128 v[2:5], v49 offset:80
	ds_load_2addr_b64 v[26:29], v37 offset1:32
	ds_load_2addr_b64 v[30:33], v37 offset0:64 offset1:96
	ds_load_2addr_b64 v[60:63], v37 offset0:128 offset1:160
	s_wait_dscnt 0x3
	v_and_b32_e32 v64, 0xffff, v2
	v_lshrrev_b32_e32 v2, 16, v2
	s_delay_alu instid0(VALU_DEP_2) | instskip(NEXT) | instid1(VALU_DEP_2)
	v_mul_u32_u24_e32 v64, 0x10001, v64
	v_mul_u32_u24_e32 v2, 0x10001, v2
	s_wait_dscnt 0x2
	s_delay_alu instid0(VALU_DEP_2)
	v_pk_fma_f16 v65, v26, v64, v71
	v_pk_fma_f16 v71, v27, v64, v79
	;; [unrolled: 1-line block ×4, first 2 shown]
	ds_load_2addr_b64 v[26:29], v37 offset0:192 offset1:224
	s_wait_dscnt 0x2
	v_pk_fma_f16 v68, v30, v64, v68
	v_pk_fma_f16 v69, v31, v64, v69
	v_pk_fma_f16 v70, v32, v64, v70
	v_pk_fma_f16 v64, v33, v64, v76
	ds_load_2addr_b64 v[30:33], v56 offset1:32
	s_wait_dscnt 0x2
	v_pk_fma_f16 v65, v60, v2, v65
	v_pk_fma_f16 v71, v61, v2, v71
	;; [unrolled: 1-line block ×4, first 2 shown]
	ds_load_2addr_b64 v[60:63], v56 offset0:64 offset1:96
	s_wait_dscnt 0x2
	v_pk_fma_f16 v68, v26, v2, v68
	v_pk_fma_f16 v69, v27, v2, v69
	;; [unrolled: 1-line block ×4, first 2 shown]
	ds_load_2addr_b64 v[26:29], v56 offset0:128 offset1:160
	v_and_b32_e32 v64, 0xffff, v3
	v_lshrrev_b32_e32 v3, 16, v3
	s_delay_alu instid0(VALU_DEP_2) | instskip(NEXT) | instid1(VALU_DEP_2)
	v_mul_u32_u24_e32 v64, 0x10001, v64
	v_mul_u32_u24_e32 v3, 0x10001, v3
	s_wait_dscnt 0x2
	s_delay_alu instid0(VALU_DEP_2)
	v_pk_fma_f16 v65, v30, v64, v65
	v_pk_fma_f16 v71, v31, v64, v71
	;; [unrolled: 1-line block ×4, first 2 shown]
	ds_load_2addr_b64 v[30:33], v56 offset0:192 offset1:224
	s_wait_dscnt 0x2
	v_pk_fma_f16 v68, v60, v64, v68
	v_pk_fma_f16 v69, v61, v64, v69
	;; [unrolled: 1-line block ×4, first 2 shown]
	ds_load_2addr_b64 v[60:63], v57 offset1:32
	s_wait_dscnt 0x2
	v_pk_fma_f16 v64, v26, v3, v65
	v_pk_fma_f16 v65, v27, v3, v71
	;; [unrolled: 1-line block ×4, first 2 shown]
	ds_load_2addr_b64 v[26:29], v57 offset0:64 offset1:96
	s_wait_dscnt 0x2
	v_pk_fma_f16 v68, v30, v3, v68
	v_pk_fma_f16 v69, v31, v3, v69
	;; [unrolled: 1-line block ×4, first 2 shown]
	ds_load_2addr_b64 v[30:33], v57 offset0:128 offset1:160
	v_and_b32_e32 v3, 0xffff, v4
	s_delay_alu instid0(VALU_DEP_1) | instskip(SKIP_1) | instid1(VALU_DEP_1)
	v_mul_u32_u24_e32 v3, 0x10001, v3
	s_wait_dscnt 0x2
	v_pk_fma_f16 v64, v60, v3, v64
	v_pk_fma_f16 v65, v61, v3, v65
	;; [unrolled: 1-line block ×4, first 2 shown]
	ds_load_2addr_b64 v[60:63], v57 offset0:192 offset1:224
	s_wait_dscnt 0x2
	v_pk_fma_f16 v68, v26, v3, v68
	v_pk_fma_f16 v69, v27, v3, v69
	;; [unrolled: 1-line block ×4, first 2 shown]
	v_lshrrev_b32_e32 v3, 16, v4
	ds_load_2addr_b64 v[26:29], v58 offset1:32
	v_mul_u32_u24_e32 v3, 0x10001, v3
	s_wait_dscnt 0x2
	s_delay_alu instid0(VALU_DEP_1)
	v_pk_fma_f16 v4, v30, v3, v64
	v_pk_fma_f16 v64, v31, v3, v65
	;; [unrolled: 1-line block ×4, first 2 shown]
	ds_load_2addr_b64 v[30:33], v58 offset0:64 offset1:96
	s_wait_dscnt 0x2
	v_pk_fma_f16 v68, v60, v3, v68
	v_pk_fma_f16 v69, v61, v3, v69
	;; [unrolled: 1-line block ×4, first 2 shown]
	ds_load_2addr_b64 v[60:63], v58 offset0:128 offset1:160
	v_and_b32_e32 v3, 0xffff, v5
	s_delay_alu instid0(VALU_DEP_1) | instskip(SKIP_1) | instid1(VALU_DEP_1)
	v_mul_u32_u24_e32 v3, 0x10001, v3
	s_wait_dscnt 0x2
	v_pk_fma_f16 v71, v26, v3, v4
	v_pk_fma_f16 v64, v27, v3, v64
	;; [unrolled: 1-line block ×4, first 2 shown]
	s_wait_dscnt 0x1
	v_pk_fma_f16 v76, v30, v3, v68
	v_lshrrev_b32_e32 v68, 16, v5
	ds_load_2addr_b64 v[26:29], v58 offset0:192 offset1:224
	s_wait_dscnt 0x0
	s_barrier_signal -1
	s_barrier_wait -1
	v_pk_fma_f16 v78, v31, v3, v69
	v_pk_fma_f16 v79, v32, v3, v70
	;; [unrolled: 1-line block ×3, first 2 shown]
	s_clause 0x1
	global_load_b128 v[30:33], v[66:67], off
	global_load_b128 v[2:5], v[66:67], off offset:512
	s_wait_xcnt 0x0
	v_mul_u32_u24_e32 v66, 0x10001, v68
	v_add_f32_e32 v67, v1, v74
	s_delay_alu instid0(VALU_DEP_2)
	v_pk_fma_f16 v81, v60, v66, v71
	v_pk_fma_f16 v82, v61, v66, v64
	;; [unrolled: 1-line block ×4, first 2 shown]
	s_clause 0x1
	global_load_b128 v[60:63], v[6:7], off
	global_load_b128 v[68:71], v[6:7], off offset:512
	v_add_nc_u64_e32 v[64:65], v[72:73], v[20:21]
	v_pk_fma_f16 v1, v26, v66, v76
	v_pk_fma_f16 v72, v27, v66, v78
	;; [unrolled: 1-line block ×4, first 2 shown]
	s_wait_loadcnt 0x3
	ds_store_b128 v50, v[30:33]
	s_wait_loadcnt 0x2
	ds_store_b128 v53, v[2:5]
	;; [unrolled: 2-line block ×4, first 2 shown]
	s_wait_dscnt 0x0
	s_barrier_signal -1
	s_barrier_wait -1
	ds_load_b128 v[2:5], v49 offset:96
	ds_load_2addr_b64 v[26:29], v37 offset1:32
	ds_load_2addr_b64 v[30:33], v37 offset0:64 offset1:96
	ds_load_2addr_b64 v[60:63], v37 offset0:128 offset1:160
	;; [unrolled: 1-line block ×3, first 2 shown]
	v_fmac_f32_e32 v67, v77, v75
	v_add_nc_u64_e32 v[6:7], s[24:25], v[24:25]
	s_delay_alu instid0(VALU_DEP_1) | instskip(SKIP_3) | instid1(VALU_DEP_2)
	v_add_nc_u64_e32 v[6:7], v[6:7], v[20:21]
	s_wait_dscnt 0x4
	v_and_b32_e32 v74, 0xffff, v2
	v_lshrrev_b32_e32 v2, 16, v2
	v_mul_u32_u24_e32 v74, 0x10001, v74
	s_delay_alu instid0(VALU_DEP_2) | instskip(SKIP_1) | instid1(VALU_DEP_2)
	v_mul_u32_u24_e32 v2, 0x10001, v2
	s_wait_dscnt 0x3
	v_pk_fma_f16 v75, v26, v74, v81
	v_pk_fma_f16 v76, v27, v74, v82
	;; [unrolled: 1-line block ×4, first 2 shown]
	ds_load_2addr_b64 v[26:29], v56 offset1:32
	s_wait_dscnt 0x3
	v_pk_fma_f16 v1, v30, v74, v1
	v_pk_fma_f16 v72, v31, v74, v72
	v_pk_fma_f16 v73, v32, v74, v73
	v_pk_fma_f16 v66, v33, v74, v66
	ds_load_2addr_b64 v[30:33], v56 offset0:64 offset1:96
	s_wait_dscnt 0x3
	v_pk_fma_f16 v74, v60, v2, v75
	v_pk_fma_f16 v75, v61, v2, v76
	v_pk_fma_f16 v76, v62, v2, v77
	v_pk_fma_f16 v59, v63, v2, v59
	ds_load_2addr_b64 v[60:63], v56 offset0:128 offset1:160
	;; [unrolled: 6-line block ×3, first 2 shown]
	v_and_b32_e32 v66, 0xffff, v3
	v_lshrrev_b32_e32 v3, 16, v3
	s_delay_alu instid0(VALU_DEP_2) | instskip(NEXT) | instid1(VALU_DEP_2)
	v_mul_u32_u24_e32 v66, 0x10001, v66
	v_mul_u32_u24_e32 v3, 0x10001, v3
	s_wait_dscnt 0x3
	s_delay_alu instid0(VALU_DEP_2)
	v_pk_fma_f16 v74, v26, v66, v74
	v_pk_fma_f16 v75, v27, v66, v75
	;; [unrolled: 1-line block ×4, first 2 shown]
	ds_load_2addr_b64 v[26:29], v57 offset1:32
	s_wait_dscnt 0x3
	v_pk_fma_f16 v1, v30, v66, v1
	v_pk_fma_f16 v72, v31, v66, v72
	v_pk_fma_f16 v73, v32, v66, v73
	v_pk_fma_f16 v2, v33, v66, v2
	ds_load_2addr_b64 v[30:33], v57 offset0:64 offset1:96
	s_wait_dscnt 0x3
	v_pk_fma_f16 v66, v60, v3, v74
	v_pk_fma_f16 v74, v61, v3, v75
	v_pk_fma_f16 v75, v62, v3, v76
	v_pk_fma_f16 v59, v63, v3, v59
	ds_load_2addr_b64 v[60:63], v57 offset0:128 offset1:160
	;; [unrolled: 6-line block ×3, first 2 shown]
	v_and_b32_e32 v3, 0xffff, v4
	s_delay_alu instid0(VALU_DEP_1) | instskip(SKIP_1) | instid1(VALU_DEP_1)
	v_mul_u32_u24_e32 v3, 0x10001, v3
	s_wait_dscnt 0x3
	v_pk_fma_f16 v66, v26, v3, v66
	v_pk_fma_f16 v74, v27, v3, v74
	;; [unrolled: 1-line block ×4, first 2 shown]
	ds_load_2addr_b64 v[26:29], v58 offset1:32
	s_wait_dscnt 0x3
	v_pk_fma_f16 v1, v30, v3, v1
	v_pk_fma_f16 v72, v31, v3, v72
	;; [unrolled: 1-line block ×4, first 2 shown]
	ds_load_2addr_b64 v[30:33], v58 offset0:64 offset1:96
	v_lshrrev_b32_e32 v3, 16, v4
	s_delay_alu instid0(VALU_DEP_1) | instskip(SKIP_1) | instid1(VALU_DEP_1)
	v_mul_u32_u24_e32 v3, 0x10001, v3
	s_wait_dscnt 0x3
	v_pk_fma_f16 v4, v60, v3, v66
	v_pk_fma_f16 v66, v61, v3, v74
	;; [unrolled: 1-line block ×4, first 2 shown]
	s_wait_dscnt 0x2
	v_pk_fma_f16 v1, v68, v3, v1
	v_pk_fma_f16 v72, v69, v3, v72
	;; [unrolled: 1-line block ×4, first 2 shown]
	v_and_b32_e32 v3, 0xffff, v5
	ds_load_2addr_b64 v[60:63], v58 offset0:128 offset1:160
	ds_load_2addr_b64 v[68:71], v58 offset0:192 offset1:224
	s_wait_dscnt 0x0
	s_barrier_signal -1
	v_mul_u32_u24_e32 v3, 0x10001, v3
	s_barrier_wait -1
	s_delay_alu instid0(VALU_DEP_1)
	v_pk_fma_f16 v76, v26, v3, v4
	v_pk_fma_f16 v66, v27, v3, v66
	;; [unrolled: 1-line block ×4, first 2 shown]
	global_load_b128 v[26:29], v[64:65], off
	v_pk_fma_f16 v1, v30, v3, v1
	v_pk_fma_f16 v78, v31, v3, v72
	v_pk_fma_f16 v79, v32, v3, v73
	v_pk_fma_f16 v80, v33, v3, v2
	s_clause 0x1
	global_load_b128 v[30:33], v[64:65], off offset:512
	global_load_b128 v[72:75], v[6:7], off
	s_wait_xcnt 0x1
	v_lshrrev_b32_e32 v64, 16, v5
	global_load_b128 v[2:5], v[6:7], off offset:512
	s_wait_loadcnt 0x3
	ds_store_b128 v50, v[26:29]
	s_wait_loadcnt 0x2
	ds_store_b128 v53, v[30:33]
	;; [unrolled: 2-line block ×4, first 2 shown]
	v_mul_u32_u24_e32 v6, 0x10001, v64
	s_wait_dscnt 0x0
	s_barrier_signal -1
	s_barrier_wait -1
	s_delay_alu instid0(VALU_DEP_1)
	v_pk_fma_f16 v7, v60, v6, v76
	v_pk_fma_f16 v64, v61, v6, v66
	;; [unrolled: 1-line block ×8, first 2 shown]
	ds_load_b128 v[2:5], v49 offset:112
	ds_load_2addr_b64 v[26:29], v37 offset1:32
	ds_load_2addr_b64 v[30:33], v37 offset0:64 offset1:96
	ds_load_2addr_b64 v[60:63], v37 offset0:128 offset1:160
	;; [unrolled: 1-line block ×3, first 2 shown]
	ds_load_2addr_b64 v[72:75], v56 offset1:32
	s_wait_dscnt 0x5
	v_and_b32_e32 v77, 0xffff, v2
	v_lshrrev_b32_e32 v2, 16, v2
	s_delay_alu instid0(VALU_DEP_2) | instskip(NEXT) | instid1(VALU_DEP_2)
	v_mul_u32_u24_e32 v77, 0x10001, v77
	v_mul_u32_u24_e32 v2, 0x10001, v2
	s_wait_dscnt 0x4
	s_delay_alu instid0(VALU_DEP_2)
	v_pk_fma_f16 v7, v26, v77, v7
	v_pk_fma_f16 v64, v27, v77, v64
	v_pk_fma_f16 v65, v28, v77, v65
	v_pk_fma_f16 v59, v29, v77, v59
	ds_load_2addr_b64 v[26:29], v56 offset0:64 offset1:96
	s_wait_dscnt 0x4
	v_pk_fma_f16 v1, v30, v77, v1
	v_pk_fma_f16 v66, v31, v77, v66
	v_pk_fma_f16 v76, v32, v77, v76
	v_pk_fma_f16 v6, v33, v77, v6
	ds_load_2addr_b64 v[30:33], v56 offset0:128 offset1:160
	s_wait_dscnt 0x4
	;; [unrolled: 6-line block ×3, first 2 shown]
	v_pk_fma_f16 v1, v68, v2, v1
	v_pk_fma_f16 v66, v69, v2, v66
	;; [unrolled: 1-line block ×4, first 2 shown]
	v_and_b32_e32 v6, 0xffff, v3
	ds_load_2addr_b64 v[68:71], v57 offset1:32
	v_lshrrev_b32_e32 v3, 16, v3
	v_mul_u32_u24_e32 v6, 0x10001, v6
	s_delay_alu instid0(VALU_DEP_2) | instskip(SKIP_1) | instid1(VALU_DEP_2)
	v_mul_u32_u24_e32 v3, 0x10001, v3
	s_wait_dscnt 0x4
	v_pk_fma_f16 v7, v72, v6, v7
	v_pk_fma_f16 v64, v73, v6, v64
	;; [unrolled: 1-line block ×4, first 2 shown]
	ds_load_2addr_b64 v[72:75], v57 offset0:64 offset1:96
	s_wait_dscnt 0x4
	v_pk_fma_f16 v1, v26, v6, v1
	v_pk_fma_f16 v66, v27, v6, v66
	;; [unrolled: 1-line block ×4, first 2 shown]
	ds_load_2addr_b64 v[26:29], v57 offset0:128 offset1:160
	s_wait_dscnt 0x4
	v_pk_fma_f16 v6, v30, v3, v7
	v_pk_fma_f16 v7, v31, v3, v64
	;; [unrolled: 1-line block ×4, first 2 shown]
	s_wait_dscnt 0x3
	v_pk_fma_f16 v1, v60, v3, v1
	v_pk_fma_f16 v65, v61, v3, v66
	;; [unrolled: 1-line block ×4, first 2 shown]
	v_and_b32_e32 v3, 0xffff, v4
	ds_load_2addr_b64 v[30:33], v57 offset0:192 offset1:224
	ds_load_2addr_b64 v[60:63], v58 offset1:32
	v_mul_u32_u24_e32 v3, 0x10001, v3
	s_wait_dscnt 0x4
	s_delay_alu instid0(VALU_DEP_1)
	v_pk_fma_f16 v6, v68, v3, v6
	v_pk_fma_f16 v7, v69, v3, v7
	;; [unrolled: 1-line block ×4, first 2 shown]
	s_wait_dscnt 0x3
	v_pk_fma_f16 v1, v72, v3, v1
	v_pk_fma_f16 v65, v73, v3, v65
	v_pk_fma_f16 v66, v74, v3, v66
	v_pk_fma_f16 v2, v75, v3, v2
	v_lshrrev_b32_e32 v3, 16, v4
	ds_load_2addr_b64 v[68:71], v58 offset0:64 offset1:96
	ds_load_2addr_b64 v[72:75], v58 offset0:128 offset1:160
	v_mul_u32_u24_e32 v3, 0x10001, v3
	s_wait_dscnt 0x4
	s_delay_alu instid0(VALU_DEP_1)
	v_pk_fma_f16 v4, v26, v3, v6
	v_pk_fma_f16 v6, v27, v3, v7
	;; [unrolled: 1-line block ×4, first 2 shown]
	ds_load_2addr_b64 v[26:29], v58 offset0:192 offset1:224
	s_wait_dscnt 0x0
	s_barrier_signal -1
	s_barrier_wait -1
	s_load_b32 s2, s[20:21], 0x4
	v_and_b32_e32 v64, 0xffff, v5
	v_lshrrev_b32_e32 v5, 16, v5
	v_pk_fma_f16 v1, v30, v3, v1
	v_pk_fma_f16 v30, v31, v3, v65
	;; [unrolled: 1-line block ×3, first 2 shown]
	v_mul_u32_u24_e32 v64, 0x10001, v64
	v_pk_fma_f16 v2, v33, v3, v2
	v_mul_u32_u24_e32 v5, 0x10001, v5
	s_delay_alu instid0(VALU_DEP_3)
	v_pk_fma_f16 v3, v60, v64, v4
	v_pk_fma_f16 v4, v61, v64, v6
	;; [unrolled: 1-line block ×9, first 2 shown]
	s_wait_kmcnt 0x0
	s_lshl_b32 s2, s2, 6
	v_pk_fma_f16 v64, v73, v5, v4
	v_pk_fma_f16 v65, v74, v5, v6
	;; [unrolled: 1-line block ×7, first 2 shown]
	s_add_co_i32 s4, s2, s4
	s_delay_alu instid0(SALU_CYCLE_1)
	s_cmp_ge_i32 s4, s30
	s_cbranch_scc0 .LBB20_11
; %bb.12:
	v_dual_mov_b32 v1, 32 :: v_dual_mov_b32 v3, v38
.LBB20_13:
	s_delay_alu instid0(VALU_DEP_1)
	v_cmp_lt_i32_e32 vcc_lo, v43, v1
	s_cmp_lg_u64 s[12:13], 0
	s_cselect_b32 s2, -1, 0
	s_cmp_eq_u32 s31, 0
	v_cndmask_b32_e32 v2, v3, v43, vcc_lo
	v_cmp_lt_i32_e32 vcc_lo, v42, v1
	s_cselect_b32 s3, -1, 0
	s_delay_alu instid0(SALU_CYCLE_1) | instskip(SKIP_3) | instid1(VALU_DEP_3)
	s_and_b32 s2, s3, s2
	v_cndmask_b32_e32 v4, v3, v42, vcc_lo
	v_lshlrev_b32_e32 v2, 2, v2
	v_cmp_lt_i32_e32 vcc_lo, v41, v1
	v_lshlrev_b32_e32 v4, 2, v4
	ds_bpermute_b32 v2, v2, v67
	v_cndmask_b32_e32 v5, v3, v41, vcc_lo
	v_cmp_lt_i32_e32 vcc_lo, v40, v1
	s_wait_dscnt 0x0
	s_delay_alu instid0(VALU_DEP_2)
	v_dual_add_f32 v2, v67, v2 :: v_dual_lshlrev_b32 v5, 2, v5
	ds_bpermute_b32 v4, v4, v2
	s_wait_dscnt 0x0
	v_add_f32_e32 v2, v2, v4
	ds_bpermute_b32 v4, v5, v2
	v_cndmask_b32_e32 v5, v3, v40, vcc_lo
	v_cmp_lt_i32_e32 vcc_lo, v39, v1
	s_delay_alu instid0(VALU_DEP_2)
	v_dual_cndmask_b32 v1, v3, v39, vcc_lo :: v_dual_lshlrev_b32 v5, 2, v5
	s_and_b32 vcc_lo, exec_lo, s2
	s_wait_dscnt 0x0
	v_add_f32_e32 v2, v2, v4
	ds_bpermute_b32 v4, v5, v2
	s_wait_dscnt 0x0
	v_dual_add_f32 v2, v2, v4 :: v_dual_lshlrev_b32 v1, 2, v1
	ds_bpermute_b32 v1, v1, v2
	s_wait_dscnt 0x0
	v_dual_add_f32 v1, v2, v1 :: v_dual_add_nc_u32 v4, s33, v8
	s_cbranch_vccz .LBB20_15
; %bb.14:
	global_load_b32 v3, v4, s[12:13] scale_offset
	s_wait_loadcnt 0x0
	v_dual_max_num_f32 v2, v0, v0 :: v_dual_max_num_f32 v5, v3, v3
	s_delay_alu instid0(VALU_DEP_1) | instskip(NEXT) | instid1(VALU_DEP_1)
	v_max_num_f32_e32 v2, v2, v5
	v_sub_f32_e32 v0, v0, v2
	s_delay_alu instid0(VALU_DEP_1) | instskip(SKIP_2) | instid1(VALU_DEP_3)
	v_mul_f32_e32 v5, 0x3fb8aa3b, v0
	v_sub_f32_e32 v3, v3, v2
	v_cmp_ngt_f32_e32 vcc_lo, 0xc2ce8ed0, v0
	v_fma_f32 v6, 0x3fb8aa3b, v0, -v5
	v_rndne_f32_e32 v7, v5
	s_delay_alu instid0(VALU_DEP_1) | instskip(SKIP_2) | instid1(VALU_DEP_3)
	v_dual_fmac_f32 v6, 0x32a5705f, v0 :: v_dual_sub_f32 v5, v5, v7
	v_mul_f32_e32 v8, 0x3fb8aa3b, v3
	v_cvt_i32_f32_e32 v7, v7
	v_add_f32_e32 v5, v5, v6
	s_delay_alu instid0(VALU_DEP_3) | instskip(SKIP_1) | instid1(VALU_DEP_3)
	v_fma_f32 v6, 0x3fb8aa3b, v3, -v8
	v_rndne_f32_e32 v10, v8
	v_exp_f32_e32 v5, v5
	v_nop
	s_delay_alu instid0(TRANS32_DEP_1) | instskip(SKIP_2) | instid1(VALU_DEP_3)
	v_ldexp_f32 v5, v5, v7
	v_fmac_f32_e32 v6, 0x32a5705f, v3
	v_cvt_i32_f32_e32 v7, v10
	v_cndmask_b32_e32 v5, 0, v5, vcc_lo
	v_cmp_nlt_f32_e32 vcc_lo, 0x42b17218, v0
	s_delay_alu instid0(VALU_DEP_2) | instskip(SKIP_2) | instid1(VALU_DEP_1)
	v_cndmask_b32_e32 v0, 0x7f800000, v5, vcc_lo
	v_cmp_ngt_f32_e32 vcc_lo, 0xc2ce8ed0, v3
	v_sub_f32_e32 v8, v8, v10
	v_add_f32_e32 v6, v8, v6
	s_delay_alu instid0(VALU_DEP_1) | instskip(SKIP_1) | instid1(TRANS32_DEP_1)
	v_exp_f32_e32 v6, v6
	v_nop
	v_ldexp_f32 v5, v6, v7
	v_cvt_f16_f32_e32 v6, v0
	s_delay_alu instid0(VALU_DEP_2) | instskip(SKIP_1) | instid1(VALU_DEP_3)
	v_cndmask_b32_e32 v5, 0, v5, vcc_lo
	v_cmp_nlt_f32_e32 vcc_lo, 0x42b17218, v3
	v_and_b32_e32 v6, 0xffff, v6
	s_delay_alu instid0(VALU_DEP_3) | instskip(NEXT) | instid1(VALU_DEP_2)
	v_cndmask_b32_e32 v3, 0x7f800000, v5, vcc_lo
	v_mul_u32_u24_e32 v5, 0x10001, v6
	s_delay_alu instid0(VALU_DEP_2) | instskip(NEXT) | instid1(VALU_DEP_2)
	v_fmac_f32_e32 v3, v1, v0
	v_pk_mul_f16 v66, v66, v5
	v_pk_mul_f16 v64, v64, v5
	;; [unrolled: 1-line block ×4, first 2 shown]
	v_mov_b64_e32 v[0:1], v[2:3]
	v_pk_mul_f16 v62, v62, v5
	v_pk_mul_f16 v61, v61, v5
	v_pk_mul_f16 v60, v60, v5
	v_pk_mul_f16 v59, v59, v5
	s_branch .LBB20_16
.LBB20_15:
	s_delay_alu instid0(VALU_DEP_1)
	v_mov_b32_e32 v3, v1
.LBB20_16:
	s_delay_alu instid0(VALU_DEP_1) | instskip(SKIP_3) | instid1(VALU_DEP_3)
	v_div_scale_f32 v8, null, v3, v3, 1.0
	v_mad_u32 v2, s28, s22, v34
	s_load_b32 s1, s[0:1], 0xd4
	v_div_scale_f32 v15, vcc_lo, 1.0, v3, 1.0
	v_rcp_f32_e32 v16, v8
	v_dual_mov_b32 v17, 0 :: v_dual_lshrrev_b32 v5, 16, v66
	v_dual_lshrrev_b32 v11, 16, v64 :: v_dual_lshrrev_b32 v13, 16, v65
	v_dual_lshrrev_b32 v26, 16, v60 :: v_dual_lshrrev_b32 v27, 16, v59
	s_delay_alu instid0(TRANS32_DEP_1) | instskip(SKIP_3) | instid1(VALU_DEP_4)
	v_fma_f32 v7, -v8, v16, 1.0
	v_mad_u32 v2, v2, s23, v4
	v_cvt_f32_f16_e32 v6, v66
	v_cvt_f32_f16_e32 v10, v64
	v_dual_fmac_f32 v16, v7, v16 :: v_dual_lshrrev_b32 v19, 16, v63
	v_cvt_f32_f16_e32 v7, v5
	v_cvt_f32_f16_e32 v12, v65
	;; [unrolled: 1-line block ×3, first 2 shown]
	s_delay_alu instid0(VALU_DEP_4)
	v_dual_mul_f32 v4, v15, v16 :: v_dual_lshrrev_b32 v21, 16, v62
	v_lshrrev_b32_e32 v23, 16, v61
	s_wait_kmcnt 0x0
	v_mad_u32 v2, s1, v2, s31
	s_cmp_lg_u32 s1, 1
	v_cvt_f32_f16_e32 v18, v62
	v_fma_f32 v24, -v8, v4, v15
	s_cselect_b32 s1, -1, 0
	v_cvt_f32_f16_e32 v20, v61
	v_cvt_f32_f16_e32 v11, v11
	s_delay_alu instid0(VALU_DEP_3) | instskip(SKIP_3) | instid1(VALU_DEP_4)
	v_dual_mov_b32 v5, v17 :: v_dual_fmac_f32 v4, v24, v16
	v_cvt_f32_f16_e32 v13, v13
	v_cvt_f32_f16_e32 v22, v60
	;; [unrolled: 1-line block ×3, first 2 shown]
	v_dual_mov_b32 v25, v17 :: v_dual_fma_f32 v8, -v8, v4, v15
	v_cvt_f32_f16_e32 v15, v19
	v_cvt_f32_f16_e32 v19, v21
	;; [unrolled: 1-line block ×4, first 2 shown]
	v_div_fmas_f32 v4, v8, v16, v4
	v_lshl_add_u32 v16, v2, 9, v9
	v_cvt_f32_f16_e32 v32, v59
	v_cmp_eq_u32_e64 s0, 0, v35
	s_delay_alu instid0(VALU_DEP_4) | instskip(NEXT) | instid1(VALU_DEP_4)
	v_div_fixup_f32 v3, v4, v3, 1.0
	v_add_nc_u32_e32 v4, 0x80, v16
	v_add_nc_u32_e32 v24, 0x100, v16
	v_lshl_add_u64 v[28:29], v[16:17], 2, s[16:17]
	v_add_nc_u32_e32 v16, 0x180, v16
	v_cndmask_b32_e64 v26, v3, 1.0, s1
	v_lshl_add_u64 v[30:31], v[4:5], 2, s[16:17]
	v_lshl_add_u64 v[24:25], v[24:25], 2, s[16:17]
	s_and_b32 s0, s0, s1
	s_delay_alu instid0(VALU_DEP_3)
	v_pk_mul_f32 v[4:5], v[26:27], v[6:7] op_sel_hi:[0,1]
	v_pk_mul_f32 v[6:7], v[26:27], v[10:11] op_sel_hi:[0,1]
	v_pk_mul_f32 v[8:9], v[26:27], v[12:13] op_sel_hi:[0,1]
	v_pk_mul_f32 v[10:11], v[26:27], v[14:15] op_sel_hi:[0,1]
	v_pk_mul_f32 v[12:13], v[26:27], v[18:19] op_sel_hi:[0,1]
	v_pk_mul_f32 v[14:15], v[26:27], v[20:21] op_sel_hi:[0,1]
	v_lshl_add_u64 v[20:21], v[16:17], 2, s[16:17]
	v_pk_mul_f32 v[16:17], v[26:27], v[22:23] op_sel_hi:[0,1]
	v_pk_mul_f32 v[18:19], v[26:27], v[32:33] op_sel_hi:[0,1]
	s_clause 0x3
	global_store_b128 v[28:29], v[4:7], off
	global_store_b128 v[30:31], v[8:11], off
	;; [unrolled: 1-line block ×4, first 2 shown]
	s_wait_xcnt 0x0
	s_and_saveexec_b32 s1, s0
	s_cbranch_execz .LBB20_18
; %bb.17:
	global_store_b64 v2, v[0:1], s[18:19] scale_offset
.LBB20_18:
	s_sendmsg sendmsg(MSG_DEALLOC_VGPRS)
	s_endpgm
	.section	.rodata,"a",@progbits
	.p2align	6, 0x0
	.amdhsa_kernel _ZL15flash_attn_tileILi576ELi512ELi1ELi4ELb0EEvPKcS1_S1_S1_S1_PKiPfP15HIP_vector_typeIfLj2EEffffjfiS5_IjLj3EEiiiiiiiiiiiliiliiiiil
		.amdhsa_group_segment_fixed_size 14336
		.amdhsa_private_segment_fixed_size 0
		.amdhsa_kernarg_size 464
		.amdhsa_user_sgpr_count 2
		.amdhsa_user_sgpr_dispatch_ptr 0
		.amdhsa_user_sgpr_queue_ptr 0
		.amdhsa_user_sgpr_kernarg_segment_ptr 1
		.amdhsa_user_sgpr_dispatch_id 0
		.amdhsa_user_sgpr_kernarg_preload_length 0
		.amdhsa_user_sgpr_kernarg_preload_offset 0
		.amdhsa_user_sgpr_private_segment_size 0
		.amdhsa_wavefront_size32 1
		.amdhsa_uses_dynamic_stack 0
		.amdhsa_enable_private_segment 0
		.amdhsa_system_sgpr_workgroup_id_x 1
		.amdhsa_system_sgpr_workgroup_id_y 1
		.amdhsa_system_sgpr_workgroup_id_z 1
		.amdhsa_system_sgpr_workgroup_info 0
		.amdhsa_system_vgpr_workitem_id 1
		.amdhsa_next_free_vgpr 89
		.amdhsa_next_free_sgpr 52
		.amdhsa_named_barrier_count 0
		.amdhsa_reserve_vcc 1
		.amdhsa_float_round_mode_32 0
		.amdhsa_float_round_mode_16_64 0
		.amdhsa_float_denorm_mode_32 3
		.amdhsa_float_denorm_mode_16_64 3
		.amdhsa_fp16_overflow 0
		.amdhsa_memory_ordered 1
		.amdhsa_forward_progress 1
		.amdhsa_inst_pref_size 122
		.amdhsa_round_robin_scheduling 0
		.amdhsa_exception_fp_ieee_invalid_op 0
		.amdhsa_exception_fp_denorm_src 0
		.amdhsa_exception_fp_ieee_div_zero 0
		.amdhsa_exception_fp_ieee_overflow 0
		.amdhsa_exception_fp_ieee_underflow 0
		.amdhsa_exception_fp_ieee_inexact 0
		.amdhsa_exception_int_div_zero 0
	.end_amdhsa_kernel
	.section	.text._ZL15flash_attn_tileILi576ELi512ELi1ELi4ELb0EEvPKcS1_S1_S1_S1_PKiPfP15HIP_vector_typeIfLj2EEffffjfiS5_IjLj3EEiiiiiiiiiiiliiliiiiil,"axG",@progbits,_ZL15flash_attn_tileILi576ELi512ELi1ELi4ELb0EEvPKcS1_S1_S1_S1_PKiPfP15HIP_vector_typeIfLj2EEffffjfiS5_IjLj3EEiiiiiiiiiiiliiliiiiil,comdat
.Lfunc_end20:
	.size	_ZL15flash_attn_tileILi576ELi512ELi1ELi4ELb0EEvPKcS1_S1_S1_S1_PKiPfP15HIP_vector_typeIfLj2EEffffjfiS5_IjLj3EEiiiiiiiiiiiliiliiiiil, .Lfunc_end20-_ZL15flash_attn_tileILi576ELi512ELi1ELi4ELb0EEvPKcS1_S1_S1_S1_PKiPfP15HIP_vector_typeIfLj2EEffffjfiS5_IjLj3EEiiiiiiiiiiiliiliiiiil
                                        ; -- End function
	.set _ZL15flash_attn_tileILi576ELi512ELi1ELi4ELb0EEvPKcS1_S1_S1_S1_PKiPfP15HIP_vector_typeIfLj2EEffffjfiS5_IjLj3EEiiiiiiiiiiiliiliiiiil.num_vgpr, 89
	.set _ZL15flash_attn_tileILi576ELi512ELi1ELi4ELb0EEvPKcS1_S1_S1_S1_PKiPfP15HIP_vector_typeIfLj2EEffffjfiS5_IjLj3EEiiiiiiiiiiiliiliiiiil.num_agpr, 0
	.set _ZL15flash_attn_tileILi576ELi512ELi1ELi4ELb0EEvPKcS1_S1_S1_S1_PKiPfP15HIP_vector_typeIfLj2EEffffjfiS5_IjLj3EEiiiiiiiiiiiliiliiiiil.numbered_sgpr, 52
	.set _ZL15flash_attn_tileILi576ELi512ELi1ELi4ELb0EEvPKcS1_S1_S1_S1_PKiPfP15HIP_vector_typeIfLj2EEffffjfiS5_IjLj3EEiiiiiiiiiiiliiliiiiil.num_named_barrier, 0
	.set _ZL15flash_attn_tileILi576ELi512ELi1ELi4ELb0EEvPKcS1_S1_S1_S1_PKiPfP15HIP_vector_typeIfLj2EEffffjfiS5_IjLj3EEiiiiiiiiiiiliiliiiiil.private_seg_size, 0
	.set _ZL15flash_attn_tileILi576ELi512ELi1ELi4ELb0EEvPKcS1_S1_S1_S1_PKiPfP15HIP_vector_typeIfLj2EEffffjfiS5_IjLj3EEiiiiiiiiiiiliiliiiiil.uses_vcc, 1
	.set _ZL15flash_attn_tileILi576ELi512ELi1ELi4ELb0EEvPKcS1_S1_S1_S1_PKiPfP15HIP_vector_typeIfLj2EEffffjfiS5_IjLj3EEiiiiiiiiiiiliiliiiiil.uses_flat_scratch, 0
	.set _ZL15flash_attn_tileILi576ELi512ELi1ELi4ELb0EEvPKcS1_S1_S1_S1_PKiPfP15HIP_vector_typeIfLj2EEffffjfiS5_IjLj3EEiiiiiiiiiiiliiliiiiil.has_dyn_sized_stack, 0
	.set _ZL15flash_attn_tileILi576ELi512ELi1ELi4ELb0EEvPKcS1_S1_S1_S1_PKiPfP15HIP_vector_typeIfLj2EEffffjfiS5_IjLj3EEiiiiiiiiiiiliiliiiiil.has_recursion, 0
	.set _ZL15flash_attn_tileILi576ELi512ELi1ELi4ELb0EEvPKcS1_S1_S1_S1_PKiPfP15HIP_vector_typeIfLj2EEffffjfiS5_IjLj3EEiiiiiiiiiiiliiliiiiil.has_indirect_call, 0
	.section	.AMDGPU.csdata,"",@progbits
; Kernel info:
; codeLenInByte = 15592
; TotalNumSgprs: 54
; NumVgprs: 89
; ScratchSize: 0
; MemoryBound: 0
; FloatMode: 240
; IeeeMode: 1
; LDSByteSize: 14336 bytes/workgroup (compile time only)
; SGPRBlocks: 0
; VGPRBlocks: 5
; NumSGPRsForWavesPerEU: 54
; NumVGPRsForWavesPerEU: 89
; NamedBarCnt: 0
; Occupancy: 10
; WaveLimiterHint : 1
; COMPUTE_PGM_RSRC2:SCRATCH_EN: 0
; COMPUTE_PGM_RSRC2:USER_SGPR: 2
; COMPUTE_PGM_RSRC2:TRAP_HANDLER: 0
; COMPUTE_PGM_RSRC2:TGID_X_EN: 1
; COMPUTE_PGM_RSRC2:TGID_Y_EN: 1
; COMPUTE_PGM_RSRC2:TGID_Z_EN: 1
; COMPUTE_PGM_RSRC2:TIDIG_COMP_CNT: 1
	.section	.text._ZL33flash_attn_stream_k_fixup_uniformILi512ELi1ELi4EEvPfPK15HIP_vector_typeIfLj2EEiiiiiiS1_IjLj3EES5_S5_,"axG",@progbits,_ZL33flash_attn_stream_k_fixup_uniformILi512ELi1ELi4EEvPfPK15HIP_vector_typeIfLj2EEiiiiiiS1_IjLj3EES5_S5_,comdat
	.globl	_ZL33flash_attn_stream_k_fixup_uniformILi512ELi1ELi4EEvPfPK15HIP_vector_typeIfLj2EEiiiiiiS1_IjLj3EES5_S5_ ; -- Begin function _ZL33flash_attn_stream_k_fixup_uniformILi512ELi1ELi4EEvPfPK15HIP_vector_typeIfLj2EEiiiiiiS1_IjLj3EES5_S5_
	.p2align	8
	.type	_ZL33flash_attn_stream_k_fixup_uniformILi512ELi1ELi4EEvPfPK15HIP_vector_typeIfLj2EEiiiiiiS1_IjLj3EES5_S5_,@function
_ZL33flash_attn_stream_k_fixup_uniformILi512ELi1ELi4EEvPfPK15HIP_vector_typeIfLj2EEiiiiiiS1_IjLj3EES5_S5_: ; @_ZL33flash_attn_stream_k_fixup_uniformILi512ELi1ELi4EEvPfPK15HIP_vector_typeIfLj2EEiiiiiiS1_IjLj3EES5_S5_
; %bb.0:
	s_load_b256 s[4:11], s[0:1], 0x1c
	s_bfe_u32 s2, ttmp6, 0x40014
	s_lshr_b32 s3, ttmp7, 16
	s_add_co_i32 s2, s2, 1
	s_bfe_u32 s13, ttmp6, 0x40010
	s_mul_i32 s2, s3, s2
	s_bfe_u32 s12, ttmp6, 0x40008
	s_and_b32 s15, ttmp7, 0xffff
	s_add_co_i32 s13, s13, 1
	s_bfe_u32 s14, ttmp6, 0x4000c
	s_add_co_i32 s12, s12, s2
	s_mul_i32 s2, s15, s13
	s_bfe_u32 s13, ttmp6, 0x40004
	s_add_co_i32 s14, s14, 1
	s_add_co_i32 s13, s13, s2
	s_and_b32 s2, ttmp6, 15
	s_mul_i32 s14, ttmp9, s14
	s_getreg_b32 s20, hwreg(HW_REG_IB_STS2, 6, 4)
	s_add_co_i32 s2, s2, s14
	s_load_b128 s[16:19], s[0:1], 0x3c
	s_cmp_eq_u32 s20, 0
	s_cselect_b32 s14, ttmp9, s2
	s_cselect_b32 s13, s15, s13
	s_wait_kmcnt 0x0
	s_mul_hi_u32 s2, s7, s14
	s_cselect_b32 s12, s3, s12
	s_add_co_i32 s2, s14, s2
	s_delay_alu instid0(SALU_CYCLE_1) | instskip(NEXT) | instid1(SALU_CYCLE_1)
	s_lshr_b32 s7, s2, s8
	s_mul_i32 s2, s7, s9
	s_delay_alu instid0(SALU_CYCLE_1) | instskip(SKIP_2) | instid1(SALU_CYCLE_1)
	s_sub_co_i32 s8, s14, s2
	s_load_b64 s[2:3], s[0:1], 0x10
	s_mul_hi_u32 s9, s8, s10
	s_add_co_i32 s9, s8, s9
	s_delay_alu instid0(SALU_CYCLE_1) | instskip(NEXT) | instid1(SALU_CYCLE_1)
	s_lshr_b32 s15, s9, s11
	s_mul_i32 s9, s15, s16
	s_delay_alu instid0(SALU_CYCLE_1) | instskip(NEXT) | instid1(SALU_CYCLE_1)
	s_sub_co_i32 s8, s8, s9
	s_mul_hi_u32 s9, s8, s17
	s_delay_alu instid0(SALU_CYCLE_1) | instskip(NEXT) | instid1(SALU_CYCLE_1)
	s_add_co_i32 s9, s8, s9
	s_lshr_b32 s9, s9, s18
	s_delay_alu instid0(SALU_CYCLE_1) | instskip(SKIP_2) | instid1(SALU_CYCLE_1)
	s_mul_i32 s10, s9, s19
	s_lshl_b32 s17, s9, 2
	s_sub_co_i32 s16, s8, s10
	s_add_co_i32 s16, s16, s13
	s_wait_kmcnt 0x0
	s_cmp_lt_i32 s16, s2
	s_cselect_b32 s8, -1, 0
	s_add_co_i32 s17, s17, s12
	s_delay_alu instid0(SALU_CYCLE_1) | instskip(SKIP_1) | instid1(SALU_CYCLE_1)
	s_cmp_lt_i32 s17, s5
	s_cselect_b32 s9, -1, 0
	s_and_b32 s8, s8, s9
	s_delay_alu instid0(SALU_CYCLE_1)
	s_and_not1_b32 vcc_lo, exec_lo, s8
	s_cbranch_vccnz .LBB21_6
; %bb.1:
	s_load_b128 s[8:11], s[0:1], 0x0
	s_mul_i32 s7, s7, s2
	s_mul_i32 s15, s15, s5
	s_wait_xcnt 0x0
	s_add_co_i32 s0, s16, s7
	s_add_co_i32 s1, s17, s15
	s_mul_i32 s0, s0, s3
	s_mul_i32 s7, s6, s14
	s_add_co_i32 s1, s1, s0
	s_add_co_i32 s5, s7, s6
	v_lshl_or_b32 v4, s1, 9, v0
	s_add_co_i32 s0, s13, s5
	s_add_co_i32 s2, s5, -2
	s_lshl_b32 s0, s0, 2
	s_delay_alu instid0(SALU_CYCLE_1) | instskip(SKIP_2) | instid1(SALU_CYCLE_1)
	s_add_co_i32 s0, s0, s12
	v_ashrrev_i32_e32 v5, 31, v4
	s_add_co_i32 s0, s0, -4
	s_ashr_i32 s1, s0, 31
	s_delay_alu instid0(SALU_CYCLE_1)
	s_lshl_b64 s[0:1], s[0:1], 3
	s_wait_kmcnt 0x0
	global_load_b32 v3, v4, s[8:9] scale_offset
	s_add_nc_u64 s[0:1], s[10:11], s[0:1]
	s_cmp_lt_i32 s2, s7
	s_load_b32 s15, s[0:1], 0x4
	s_cbranch_scc1 .LBB21_4
; %bb.2:
	s_wait_xcnt 0x0
	s_load_b32 s0, s[0:1], 0x0
	s_add_co_i32 s14, s14, 1
	s_wait_xcnt 0x0
	s_lshl_b32 s1, s12, 9
	s_mul_i32 s3, s6, s14
	s_lshl_b32 s6, s13, 11
	s_lshl_b32 s14, s3, 11
	s_add_co_i32 s1, s1, s6
	s_lshl_b32 s2, s4, 4
	s_add_co_i32 s1, s1, s14
	s_add_co_i32 s4, s13, s4
	s_wait_kmcnt 0x0
	v_dual_mov_b32 v2, s15 :: v_dual_bitop2_b32 v0, s1, v0 bitop3:0x54
	s_add_co_i32 s4, s4, s5
	s_ashr_i32 s3, s2, 31
	s_lshl_b32 s1, s4, 2
	s_delay_alu instid0(VALU_DEP_1)
	v_add_nc_u32_e32 v0, 0xfffff000, v0
	s_lshl_b64 s[2:3], s[2:3], 2
	s_add_co_i32 s4, s12, s1
	s_add_nc_u64 s[2:3], s[10:11], s[2:3]
	s_add_co_i32 s1, s5, -1
	s_add_co_i32 s4, s4, -8
.LBB21_3:                               ; =>This Inner Loop Header: Depth=1
	global_load_b32 v7, v0, s[2:3] scale_offset
	s_ashr_i32 s5, s4, 31
	v_max_num_f32_e64 v1, s0, s0
	s_lshl_b64 s[12:13], s[4:5], 3
	s_delay_alu instid0(SALU_CYCLE_1) | instskip(SKIP_1) | instid1(VALU_DEP_1)
	s_add_nc_u64 s[12:13], s[10:11], s[12:13]
	s_load_b64 s[12:13], s[12:13], 0x0
	v_readfirstlane_b32 s5, v1
	v_add_nc_u32_e32 v0, 0xfffff800, v0
	s_wait_kmcnt 0x0
	v_max_num_f32_e64 v1, s12, s12
	s_delay_alu instid0(VALU_DEP_1) | instskip(SKIP_1) | instid1(SALU_CYCLE_3)
	v_readfirstlane_b32 s6, v1
	s_max_num_f32 s5, s5, s6
	s_sub_f32 s0, s0, s5
	s_sub_f32 s6, s12, s5
	s_delay_alu instid0(SALU_CYCLE_2) | instskip(NEXT) | instid1(SALU_CYCLE_2)
	s_mul_f32 s12, s0, 0x3fb8aa3b
	s_mul_f32 s14, s6, 0x3fb8aa3b
	s_delay_alu instid0(SALU_CYCLE_2)
	s_xor_b32 s15, s12, 0x80000000
	s_rndne_f32 s16, s12
	s_fmamk_f32 s15, s0, 0x3fb8aa3b, s15
	s_cmp_nlt_f32 s0, 0xc2ce8ed0
	s_rndne_f32 s17, s14
	s_sub_f32 s12, s12, s16
	s_fmamk_f32 s15, s0, 0x32a5705f, s15
	s_cselect_b32 vcc_lo, -1, 0
	s_cmp_ngt_f32 s0, 0x42b17218
	s_delay_alu instid0(SALU_CYCLE_1) | instskip(SKIP_2) | instid1(SALU_CYCLE_1)
	s_add_f32 s12, s12, s15
	s_cvt_i32_f32 s15, s16
	s_sub_f32 s16, s14, s17
	v_s_exp_f32 s12, s12
	v_nop
	s_delay_alu instid0(TRANS32_DEP_1) | instskip(SKIP_1) | instid1(VALU_DEP_1)
	v_ldexp_f32 v1, s12, s15
	s_cvt_i32_f32 s12, s17
	v_cndmask_b32_e32 v1, 0, v1, vcc_lo
	s_cselect_b32 vcc_lo, -1, 0
	s_cmp_ge_f32 s0, 0xc1a00000
	s_delay_alu instid0(VALU_DEP_1)
	v_cndmask_b32_e32 v1, 0x7f800000, v1, vcc_lo
	s_cselect_b32 vcc_lo, -1, 0
	s_xor_b32 s0, s14, 0x80000000
	s_cmp_nlt_f32 s6, 0xc2ce8ed0
	s_fmamk_f32 s0, s6, 0x3fb8aa3b, s0
	v_cndmask_b32_e32 v10, 0, v1, vcc_lo
	s_delay_alu instid0(SALU_CYCLE_2) | instskip(NEXT) | instid1(SALU_CYCLE_3)
	s_fmamk_f32 s0, s6, 0x32a5705f, s0
	s_add_f32 s0, s16, s0
	s_delay_alu instid0(SALU_CYCLE_3) | instskip(SKIP_1) | instid1(TRANS32_DEP_1)
	v_s_exp_f32 s0, s0
	v_nop
	v_ldexp_f32 v6, s0, s12
	s_cselect_b32 s0, -1, 0
	s_cmp_ngt_f32 s6, 0x42b17218
	s_delay_alu instid0(VALU_DEP_1) | instskip(SKIP_2) | instid1(VALU_DEP_1)
	v_cndmask_b32_e64 v6, 0, v6, s0
	s_cselect_b32 s0, -1, 0
	s_cmp_ge_f32 s6, 0xc1a00000
	v_cndmask_b32_e64 v8, 0x7f800000, v6, s0
	s_cselect_b32 s0, -1, 0
	v_mov_b32_e32 v6, s13
	s_add_co_i32 s1, s1, -1
	s_add_co_i32 s4, s4, -4
	v_cndmask_b32_e64 v8, 0, v8, s0
	s_cmp_le_i32 s1, s7
	s_mov_b32 s0, s5
	s_wait_loadcnt 0x0
	s_delay_alu instid0(VALU_DEP_1) | instskip(NEXT) | instid1(VALU_DEP_1)
	v_pk_mul_f32 v[6:7], v[6:7], v[8:9] op_sel_hi:[1,0]
	v_pk_fma_f32 v[2:3], v[2:3], v[10:11], v[6:7] op_sel_hi:[1,0,1]
	s_cbranch_scc0 .LBB21_3
	s_branch .LBB21_5
.LBB21_4:
	s_wait_kmcnt 0x0
	v_mov_b32_e32 v2, s15
.LBB21_5:
	v_lshl_add_u64 v[0:1], v[4:5], 2, s[8:9]
	s_wait_loadcnt 0x0
	s_delay_alu instid0(VALU_DEP_2) | instskip(NEXT) | instid1(VALU_DEP_1)
	v_div_scale_f32 v4, null, v2, v2, v3
	v_rcp_f32_e32 v5, v4
	v_nop
	s_delay_alu instid0(TRANS32_DEP_1) | instskip(NEXT) | instid1(VALU_DEP_1)
	v_fma_f32 v6, -v4, v5, 1.0
	v_fmac_f32_e32 v5, v6, v5
	v_div_scale_f32 v6, vcc_lo, v3, v2, v3
	s_delay_alu instid0(VALU_DEP_1) | instskip(NEXT) | instid1(VALU_DEP_1)
	v_mul_f32_e32 v7, v6, v5
	v_fma_f32 v8, -v4, v7, v6
	s_delay_alu instid0(VALU_DEP_1) | instskip(NEXT) | instid1(VALU_DEP_1)
	v_fmac_f32_e32 v7, v8, v5
	v_fma_f32 v4, -v4, v7, v6
	s_delay_alu instid0(VALU_DEP_1) | instskip(NEXT) | instid1(VALU_DEP_1)
	v_div_fmas_f32 v4, v4, v5, v7
	v_div_fixup_f32 v2, v4, v2, v3
	global_store_b32 v[0:1], v2, off
.LBB21_6:
	s_endpgm
	.section	.rodata,"a",@progbits
	.p2align	6, 0x0
	.amdhsa_kernel _ZL33flash_attn_stream_k_fixup_uniformILi512ELi1ELi4EEvPfPK15HIP_vector_typeIfLj2EEiiiiiiS1_IjLj3EES5_S5_
		.amdhsa_group_segment_fixed_size 0
		.amdhsa_private_segment_fixed_size 0
		.amdhsa_kernarg_size 76
		.amdhsa_user_sgpr_count 2
		.amdhsa_user_sgpr_dispatch_ptr 0
		.amdhsa_user_sgpr_queue_ptr 0
		.amdhsa_user_sgpr_kernarg_segment_ptr 1
		.amdhsa_user_sgpr_dispatch_id 0
		.amdhsa_user_sgpr_kernarg_preload_length 0
		.amdhsa_user_sgpr_kernarg_preload_offset 0
		.amdhsa_user_sgpr_private_segment_size 0
		.amdhsa_wavefront_size32 1
		.amdhsa_uses_dynamic_stack 0
		.amdhsa_enable_private_segment 0
		.amdhsa_system_sgpr_workgroup_id_x 1
		.amdhsa_system_sgpr_workgroup_id_y 1
		.amdhsa_system_sgpr_workgroup_id_z 1
		.amdhsa_system_sgpr_workgroup_info 0
		.amdhsa_system_vgpr_workitem_id 0
		.amdhsa_next_free_vgpr 12
		.amdhsa_next_free_sgpr 21
		.amdhsa_named_barrier_count 0
		.amdhsa_reserve_vcc 1
		.amdhsa_float_round_mode_32 0
		.amdhsa_float_round_mode_16_64 0
		.amdhsa_float_denorm_mode_32 3
		.amdhsa_float_denorm_mode_16_64 3
		.amdhsa_fp16_overflow 0
		.amdhsa_memory_ordered 1
		.amdhsa_forward_progress 1
		.amdhsa_inst_pref_size 9
		.amdhsa_round_robin_scheduling 0
		.amdhsa_exception_fp_ieee_invalid_op 0
		.amdhsa_exception_fp_denorm_src 0
		.amdhsa_exception_fp_ieee_div_zero 0
		.amdhsa_exception_fp_ieee_overflow 0
		.amdhsa_exception_fp_ieee_underflow 0
		.amdhsa_exception_fp_ieee_inexact 0
		.amdhsa_exception_int_div_zero 0
	.end_amdhsa_kernel
	.section	.text._ZL33flash_attn_stream_k_fixup_uniformILi512ELi1ELi4EEvPfPK15HIP_vector_typeIfLj2EEiiiiiiS1_IjLj3EES5_S5_,"axG",@progbits,_ZL33flash_attn_stream_k_fixup_uniformILi512ELi1ELi4EEvPfPK15HIP_vector_typeIfLj2EEiiiiiiS1_IjLj3EES5_S5_,comdat
.Lfunc_end21:
	.size	_ZL33flash_attn_stream_k_fixup_uniformILi512ELi1ELi4EEvPfPK15HIP_vector_typeIfLj2EEiiiiiiS1_IjLj3EES5_S5_, .Lfunc_end21-_ZL33flash_attn_stream_k_fixup_uniformILi512ELi1ELi4EEvPfPK15HIP_vector_typeIfLj2EEiiiiiiS1_IjLj3EES5_S5_
                                        ; -- End function
	.set _ZL33flash_attn_stream_k_fixup_uniformILi512ELi1ELi4EEvPfPK15HIP_vector_typeIfLj2EEiiiiiiS1_IjLj3EES5_S5_.num_vgpr, 12
	.set _ZL33flash_attn_stream_k_fixup_uniformILi512ELi1ELi4EEvPfPK15HIP_vector_typeIfLj2EEiiiiiiS1_IjLj3EES5_S5_.num_agpr, 0
	.set _ZL33flash_attn_stream_k_fixup_uniformILi512ELi1ELi4EEvPfPK15HIP_vector_typeIfLj2EEiiiiiiS1_IjLj3EES5_S5_.numbered_sgpr, 21
	.set _ZL33flash_attn_stream_k_fixup_uniformILi512ELi1ELi4EEvPfPK15HIP_vector_typeIfLj2EEiiiiiiS1_IjLj3EES5_S5_.num_named_barrier, 0
	.set _ZL33flash_attn_stream_k_fixup_uniformILi512ELi1ELi4EEvPfPK15HIP_vector_typeIfLj2EEiiiiiiS1_IjLj3EES5_S5_.private_seg_size, 0
	.set _ZL33flash_attn_stream_k_fixup_uniformILi512ELi1ELi4EEvPfPK15HIP_vector_typeIfLj2EEiiiiiiS1_IjLj3EES5_S5_.uses_vcc, 1
	.set _ZL33flash_attn_stream_k_fixup_uniformILi512ELi1ELi4EEvPfPK15HIP_vector_typeIfLj2EEiiiiiiS1_IjLj3EES5_S5_.uses_flat_scratch, 0
	.set _ZL33flash_attn_stream_k_fixup_uniformILi512ELi1ELi4EEvPfPK15HIP_vector_typeIfLj2EEiiiiiiS1_IjLj3EES5_S5_.has_dyn_sized_stack, 0
	.set _ZL33flash_attn_stream_k_fixup_uniformILi512ELi1ELi4EEvPfPK15HIP_vector_typeIfLj2EEiiiiiiS1_IjLj3EES5_S5_.has_recursion, 0
	.set _ZL33flash_attn_stream_k_fixup_uniformILi512ELi1ELi4EEvPfPK15HIP_vector_typeIfLj2EEiiiiiiS1_IjLj3EES5_S5_.has_indirect_call, 0
	.section	.AMDGPU.csdata,"",@progbits
; Kernel info:
; codeLenInByte = 1072
; TotalNumSgprs: 23
; NumVgprs: 12
; ScratchSize: 0
; MemoryBound: 0
; FloatMode: 240
; IeeeMode: 1
; LDSByteSize: 0 bytes/workgroup (compile time only)
; SGPRBlocks: 0
; VGPRBlocks: 0
; NumSGPRsForWavesPerEU: 23
; NumVGPRsForWavesPerEU: 12
; NamedBarCnt: 0
; Occupancy: 16
; WaveLimiterHint : 0
; COMPUTE_PGM_RSRC2:SCRATCH_EN: 0
; COMPUTE_PGM_RSRC2:USER_SGPR: 2
; COMPUTE_PGM_RSRC2:TRAP_HANDLER: 0
; COMPUTE_PGM_RSRC2:TGID_X_EN: 1
; COMPUTE_PGM_RSRC2:TGID_Y_EN: 1
; COMPUTE_PGM_RSRC2:TGID_Z_EN: 1
; COMPUTE_PGM_RSRC2:TIDIG_COMP_CNT: 0
	.section	.text._ZL33flash_attn_stream_k_fixup_generalILi512ELi1ELi4EEvPfPK15HIP_vector_typeIfLj2EEiiiiS1_IjLj3EES5_S5_S5_,"axG",@progbits,_ZL33flash_attn_stream_k_fixup_generalILi512ELi1ELi4EEvPfPK15HIP_vector_typeIfLj2EEiiiiS1_IjLj3EES5_S5_S5_,comdat
	.globl	_ZL33flash_attn_stream_k_fixup_generalILi512ELi1ELi4EEvPfPK15HIP_vector_typeIfLj2EEiiiiS1_IjLj3EES5_S5_S5_ ; -- Begin function _ZL33flash_attn_stream_k_fixup_generalILi512ELi1ELi4EEvPfPK15HIP_vector_typeIfLj2EEiiiiS1_IjLj3EES5_S5_S5_
	.p2align	8
	.type	_ZL33flash_attn_stream_k_fixup_generalILi512ELi1ELi4EEvPfPK15HIP_vector_typeIfLj2EEiiiiS1_IjLj3EES5_S5_S5_,@function
_ZL33flash_attn_stream_k_fixup_generalILi512ELi1ELi4EEvPfPK15HIP_vector_typeIfLj2EEiiiiS1_IjLj3EES5_S5_S5_: ; @_ZL33flash_attn_stream_k_fixup_generalILi512ELi1ELi4EEvPfPK15HIP_vector_typeIfLj2EEiiiiS1_IjLj3EES5_S5_S5_
; %bb.0:
	s_clause 0x1
	s_load_b128 s[4:7], s[0:1], 0x10
	s_load_b32 s16, s[0:1], 0x50
	s_bfe_u32 s2, ttmp6, 0x4000c
	s_and_b32 s3, ttmp6, 15
	s_add_co_i32 s2, s2, 1
	s_getreg_b32 s15, hwreg(HW_REG_IB_STS2, 6, 4)
	s_mul_i32 s2, ttmp9, s2
	s_mov_b32 s17, 0
	s_add_co_i32 s3, s3, s2
	s_cmp_eq_u32 s15, 0
	s_cselect_b32 s2, ttmp9, s3
	s_delay_alu instid0(SALU_CYCLE_1) | instskip(SKIP_3) | instid1(SALU_CYCLE_1)
	s_ashr_i32 s3, s2, 31
	s_wait_kmcnt 0x0
	s_ashr_i32 s19, s7, 31
	s_mov_b32 s18, s7
	s_mul_u64 s[8:9], s[18:19], s[2:3]
	s_delay_alu instid0(SALU_CYCLE_1) | instskip(NEXT) | instid1(SALU_CYCLE_1)
	s_and_b64 s[10:11], s[8:9], 0xffffffff00000000
	s_cmp_lg_u64 s[10:11], 0
	s_cbranch_scc0 .LBB22_21
; %bb.1:
	s_add_nc_u64 s[10:11], s[16:17], 0
	s_mov_b32 s23, s17
	s_xor_b64 s[10:11], s[10:11], 0
	s_mov_b32 s27, s17
	s_cvt_f32_u32 s3, s10
	s_cvt_f32_u32 s7, s11
	s_sub_nc_u64 s[20:21], 0, s[10:11]
	s_delay_alu instid0(SALU_CYCLE_2) | instskip(NEXT) | instid1(SALU_CYCLE_3)
	s_fmamk_f32 s3, s7, 0x4f800000, s3
	v_s_rcp_f32 s3, s3
	s_delay_alu instid0(TRANS32_DEP_1) | instskip(NEXT) | instid1(SALU_CYCLE_3)
	s_mul_f32 s3, s3, 0x5f7ffffc
	s_mul_f32 s7, s3, 0x2f800000
	s_delay_alu instid0(SALU_CYCLE_3) | instskip(NEXT) | instid1(SALU_CYCLE_3)
	s_trunc_f32 s7, s7
	s_fmamk_f32 s3, s7, 0xcf800000, s3
	s_cvt_u32_f32 s13, s7
	s_delay_alu instid0(SALU_CYCLE_2) | instskip(NEXT) | instid1(SALU_CYCLE_3)
	s_cvt_u32_f32 s12, s3
	s_mul_u64 s[24:25], s[20:21], s[12:13]
	s_delay_alu instid0(SALU_CYCLE_1)
	s_mul_hi_u32 s29, s12, s25
	s_mul_i32 s28, s12, s25
	s_mul_hi_u32 s22, s12, s24
	s_mul_i32 s7, s13, s24
	s_add_nc_u64 s[22:23], s[22:23], s[28:29]
	s_mul_hi_u32 s3, s13, s24
	s_mul_hi_u32 s14, s13, s25
	s_add_co_u32 s7, s22, s7
	s_add_co_ci_u32 s26, s23, s3
	s_mul_i32 s24, s13, s25
	s_add_co_ci_u32 s25, s14, 0
	s_delay_alu instid0(SALU_CYCLE_1) | instskip(SKIP_3) | instid1(SALU_CYCLE_1)
	s_add_nc_u64 s[22:23], s[26:27], s[24:25]
	s_mov_b32 s25, s17
	s_add_co_u32 s12, s12, s22
	s_cselect_b32 s3, -1, 0
	s_cmp_lg_u32 s3, 0
	s_add_co_ci_u32 s13, s13, s23
	s_mov_b32 s23, s17
	s_mul_u64 s[20:21], s[20:21], s[12:13]
	s_delay_alu instid0(SALU_CYCLE_1)
	s_mul_hi_u32 s27, s12, s21
	s_mul_i32 s26, s12, s21
	s_mul_hi_u32 s22, s12, s20
	s_mul_i32 s7, s13, s20
	s_add_nc_u64 s[22:23], s[22:23], s[26:27]
	s_mul_hi_u32 s3, s13, s20
	s_mul_hi_u32 s14, s13, s21
	s_add_co_u32 s7, s22, s7
	s_add_co_ci_u32 s24, s23, s3
	s_mul_i32 s20, s13, s21
	s_add_co_ci_u32 s21, s14, 0
	s_mov_b32 s23, s17
	s_add_nc_u64 s[20:21], s[24:25], s[20:21]
	s_delay_alu instid0(SALU_CYCLE_1) | instskip(SKIP_1) | instid1(SALU_CYCLE_1)
	s_add_co_u32 s3, s12, s20
	s_cselect_b32 s7, -1, 0
	s_cmp_lg_u32 s7, 0
	s_add_co_ci_u32 s7, s13, s21
	s_ashr_i32 s12, s9, 31
	s_delay_alu instid0(SALU_CYCLE_1) | instskip(NEXT) | instid1(SALU_CYCLE_1)
	s_mov_b32 s13, s12
	s_add_nc_u64 s[20:21], s[8:9], s[12:13]
	s_delay_alu instid0(SALU_CYCLE_1) | instskip(NEXT) | instid1(SALU_CYCLE_1)
	s_xor_b64 s[20:21], s[20:21], s[12:13]
	s_mul_hi_u32 s27, s20, s7
	s_mul_i32 s26, s20, s7
	s_mul_hi_u32 s22, s20, s3
	s_mul_hi_u32 s14, s21, s3
	s_mul_i32 s3, s21, s3
	s_add_nc_u64 s[22:23], s[22:23], s[26:27]
	s_mul_hi_u32 s9, s21, s7
	s_add_co_u32 s3, s22, s3
	s_add_co_ci_u32 s24, s23, s14
	s_mul_i32 s26, s21, s7
	s_add_co_ci_u32 s27, s9, 0
	s_delay_alu instid0(SALU_CYCLE_1) | instskip(NEXT) | instid1(SALU_CYCLE_1)
	s_add_nc_u64 s[22:23], s[24:25], s[26:27]
	s_and_b64 s[24:25], s[22:23], 0xffffffff00000000
	s_delay_alu instid0(SALU_CYCLE_1) | instskip(NEXT) | instid1(SALU_CYCLE_1)
	s_or_b32 s24, s24, s22
	s_mul_u64 s[22:23], s[10:11], s[24:25]
	s_add_nc_u64 s[26:27], s[24:25], 1
	s_sub_co_u32 s3, s20, s22
	s_cselect_b32 s7, -1, 0
	s_sub_co_i32 s9, s21, s23
	s_cmp_lg_u32 s7, 0
	s_add_nc_u64 s[28:29], s[24:25], 2
	s_sub_co_ci_u32 s9, s9, s11
	s_sub_co_u32 s14, s3, s10
	s_cselect_b32 s20, -1, 0
	s_delay_alu instid0(SALU_CYCLE_1) | instskip(SKIP_1) | instid1(SALU_CYCLE_1)
	s_cmp_lg_u32 s20, 0
	s_sub_co_ci_u32 s9, s9, 0
	s_cmp_ge_u32 s9, s11
	s_cselect_b32 s20, -1, 0
	s_cmp_ge_u32 s14, s10
	s_cselect_b32 s14, -1, 0
	s_cmp_eq_u32 s9, s11
	s_cselect_b32 s9, s14, s20
	s_delay_alu instid0(SALU_CYCLE_1) | instskip(SKIP_4) | instid1(SALU_CYCLE_1)
	s_cmp_lg_u32 s9, 0
	s_cselect_b32 s9, s28, s26
	s_cselect_b32 s14, s29, s27
	s_cmp_lg_u32 s7, 0
	s_sub_co_ci_u32 s7, s21, s23
	s_cmp_ge_u32 s7, s11
	s_cselect_b32 s20, -1, 0
	s_cmp_ge_u32 s3, s10
	s_cselect_b32 s3, -1, 0
	s_cmp_eq_u32 s7, s11
	s_cselect_b32 s3, s3, s20
	s_delay_alu instid0(SALU_CYCLE_1) | instskip(SKIP_4) | instid1(SALU_CYCLE_1)
	s_cmp_lg_u32 s3, 0
	s_mov_b32 s3, s17
	s_cselect_b32 s11, s14, s25
	s_cselect_b32 s10, s9, s24
	s_xor_b64 s[12:13], s[12:13], 0
	s_xor_b64 s[10:11], s[10:11], s[12:13]
	s_delay_alu instid0(SALU_CYCLE_1)
	s_sub_nc_u64 s[20:21], s[10:11], s[12:13]
	s_and_not1_b32 vcc_lo, exec_lo, s3
	s_cbranch_vccnz .LBB22_3
.LBB22_2:
	v_cvt_f32_u32_e32 v1, s16
	s_sub_co_i32 s7, 0, s16
	s_mov_b32 s21, 0
	s_delay_alu instid0(VALU_DEP_1) | instskip(SKIP_1) | instid1(TRANS32_DEP_1)
	v_rcp_iflag_f32_e32 v1, v1
	v_nop
	v_mul_f32_e32 v1, 0x4f7ffffe, v1
	s_delay_alu instid0(VALU_DEP_1) | instskip(NEXT) | instid1(VALU_DEP_1)
	v_cvt_u32_f32_e32 v1, v1
	v_readfirstlane_b32 s3, v1
	s_mul_i32 s7, s7, s3
	s_delay_alu instid0(SALU_CYCLE_1) | instskip(NEXT) | instid1(SALU_CYCLE_1)
	s_mul_hi_u32 s7, s3, s7
	s_add_co_i32 s3, s3, s7
	s_delay_alu instid0(SALU_CYCLE_1) | instskip(NEXT) | instid1(SALU_CYCLE_1)
	s_mul_hi_u32 s3, s8, s3
	s_mul_i32 s7, s3, s16
	s_delay_alu instid0(SALU_CYCLE_1)
	s_sub_co_i32 s7, s8, s7
	s_add_co_i32 s8, s3, 1
	s_sub_co_i32 s9, s7, s16
	s_cmp_ge_u32 s7, s16
	s_cselect_b32 s3, s8, s3
	s_cselect_b32 s7, s9, s7
	s_add_co_i32 s8, s3, 1
	s_cmp_ge_u32 s7, s16
	s_cselect_b32 s20, s8, s3
.LBB22_3:
	s_add_co_i32 s8, s2, 1
	s_delay_alu instid0(SALU_CYCLE_1) | instskip(NEXT) | instid1(SALU_CYCLE_1)
	s_ashr_i32 s9, s8, 31
	s_mul_u64 s[8:9], s[18:19], s[8:9]
	s_delay_alu instid0(SALU_CYCLE_1) | instskip(NEXT) | instid1(SALU_CYCLE_1)
	s_and_b64 s[10:11], s[8:9], 0xffffffff00000000
	s_cmp_lg_u64 s[10:11], 0
	s_cbranch_scc0 .LBB22_22
; %bb.4:
	s_add_nc_u64 s[10:11], s[16:17], 0
	s_delay_alu instid0(SALU_CYCLE_1) | instskip(SKIP_4) | instid1(SALU_CYCLE_2)
	s_xor_b64 s[12:13], s[10:11], 0
	s_mov_b32 s11, 0
	s_cvt_f32_u32 s3, s12
	s_cvt_f32_u32 s7, s13
	s_sub_nc_u64 s[24:25], 0, s[12:13]
	s_fmamk_f32 s3, s7, 0x4f800000, s3
	s_delay_alu instid0(SALU_CYCLE_3) | instskip(NEXT) | instid1(TRANS32_DEP_1)
	v_s_rcp_f32 s3, s3
	s_mul_f32 s3, s3, 0x5f7ffffc
	s_delay_alu instid0(SALU_CYCLE_3) | instskip(NEXT) | instid1(SALU_CYCLE_3)
	s_mul_f32 s7, s3, 0x2f800000
	s_trunc_f32 s7, s7
	s_delay_alu instid0(SALU_CYCLE_3) | instskip(SKIP_1) | instid1(SALU_CYCLE_2)
	s_fmamk_f32 s3, s7, 0xcf800000, s3
	s_cvt_u32_f32 s23, s7
	s_cvt_u32_f32 s22, s3
	s_delay_alu instid0(SALU_CYCLE_3) | instskip(NEXT) | instid1(SALU_CYCLE_1)
	s_mul_u64 s[26:27], s[24:25], s[22:23]
	s_mul_hi_u32 s29, s22, s27
	s_mul_i32 s28, s22, s27
	s_mul_hi_u32 s10, s22, s26
	s_mul_i32 s7, s23, s26
	s_add_nc_u64 s[28:29], s[10:11], s[28:29]
	s_mul_hi_u32 s3, s23, s26
	s_mul_hi_u32 s14, s23, s27
	s_add_co_u32 s7, s28, s7
	s_add_co_ci_u32 s10, s29, s3
	s_mul_i32 s26, s23, s27
	s_add_co_ci_u32 s27, s14, 0
	s_delay_alu instid0(SALU_CYCLE_1) | instskip(NEXT) | instid1(SALU_CYCLE_1)
	s_add_nc_u64 s[26:27], s[10:11], s[26:27]
	s_add_co_u32 s22, s22, s26
	s_cselect_b32 s3, -1, 0
	s_delay_alu instid0(SALU_CYCLE_1) | instskip(SKIP_1) | instid1(SALU_CYCLE_1)
	s_cmp_lg_u32 s3, 0
	s_add_co_ci_u32 s23, s23, s27
	s_mul_u64 s[24:25], s[24:25], s[22:23]
	s_delay_alu instid0(SALU_CYCLE_1)
	s_mul_hi_u32 s27, s22, s25
	s_mul_i32 s26, s22, s25
	s_mul_hi_u32 s10, s22, s24
	s_mul_i32 s7, s23, s24
	s_add_nc_u64 s[26:27], s[10:11], s[26:27]
	s_mul_hi_u32 s3, s23, s24
	s_mul_hi_u32 s14, s23, s25
	s_add_co_u32 s7, s26, s7
	s_add_co_ci_u32 s10, s27, s3
	s_mul_i32 s24, s23, s25
	s_add_co_ci_u32 s25, s14, 0
	s_delay_alu instid0(SALU_CYCLE_1) | instskip(NEXT) | instid1(SALU_CYCLE_1)
	s_add_nc_u64 s[24:25], s[10:11], s[24:25]
	s_add_co_u32 s3, s22, s24
	s_cselect_b32 s7, -1, 0
	s_delay_alu instid0(SALU_CYCLE_1) | instskip(SKIP_2) | instid1(SALU_CYCLE_1)
	s_cmp_lg_u32 s7, 0
	s_add_co_ci_u32 s7, s23, s25
	s_ashr_i32 s22, s9, 31
	s_mov_b32 s23, s22
	s_delay_alu instid0(SALU_CYCLE_1) | instskip(NEXT) | instid1(SALU_CYCLE_1)
	s_add_nc_u64 s[24:25], s[8:9], s[22:23]
	s_xor_b64 s[24:25], s[24:25], s[22:23]
	s_delay_alu instid0(SALU_CYCLE_1)
	s_mul_hi_u32 s27, s24, s7
	s_mul_i32 s26, s24, s7
	s_mul_hi_u32 s10, s24, s3
	s_mul_hi_u32 s14, s25, s3
	s_mul_i32 s3, s25, s3
	s_add_nc_u64 s[26:27], s[10:11], s[26:27]
	s_mul_hi_u32 s9, s25, s7
	s_add_co_u32 s3, s26, s3
	s_add_co_ci_u32 s10, s27, s14
	s_mul_i32 s28, s25, s7
	s_add_co_ci_u32 s29, s9, 0
	s_delay_alu instid0(SALU_CYCLE_1) | instskip(NEXT) | instid1(SALU_CYCLE_1)
	s_add_nc_u64 s[26:27], s[10:11], s[28:29]
	s_and_b64 s[28:29], s[26:27], 0xffffffff00000000
	s_delay_alu instid0(SALU_CYCLE_1) | instskip(NEXT) | instid1(SALU_CYCLE_1)
	s_or_b32 s28, s28, s26
	s_mul_u64 s[26:27], s[12:13], s[28:29]
	s_add_nc_u64 s[30:31], s[28:29], 1
	s_sub_co_u32 s3, s24, s26
	s_cselect_b32 s7, -1, 0
	s_sub_co_i32 s9, s25, s27
	s_cmp_lg_u32 s7, 0
	s_add_nc_u64 s[34:35], s[28:29], 2
	s_sub_co_ci_u32 s9, s9, s13
	s_sub_co_u32 s10, s3, s12
	s_cselect_b32 s14, -1, 0
	s_delay_alu instid0(SALU_CYCLE_1) | instskip(SKIP_1) | instid1(SALU_CYCLE_1)
	s_cmp_lg_u32 s14, 0
	s_sub_co_ci_u32 s9, s9, 0
	s_cmp_ge_u32 s9, s13
	s_cselect_b32 s14, -1, 0
	s_cmp_ge_u32 s10, s12
	s_cselect_b32 s10, -1, 0
	s_cmp_eq_u32 s9, s13
	s_cselect_b32 s9, s10, s14
	s_delay_alu instid0(SALU_CYCLE_1) | instskip(SKIP_4) | instid1(SALU_CYCLE_1)
	s_cmp_lg_u32 s9, 0
	s_cselect_b32 s9, s34, s30
	s_cselect_b32 s10, s35, s31
	s_cmp_lg_u32 s7, 0
	s_sub_co_ci_u32 s7, s25, s27
	s_cmp_ge_u32 s7, s13
	s_cselect_b32 s14, -1, 0
	s_cmp_ge_u32 s3, s12
	s_cselect_b32 s3, -1, 0
	s_cmp_eq_u32 s7, s13
	s_cselect_b32 s3, s3, s14
	s_delay_alu instid0(SALU_CYCLE_1) | instskip(SKIP_3) | instid1(SALU_CYCLE_1)
	s_cmp_lg_u32 s3, 0
	s_cselect_b32 s13, s10, s29
	s_cselect_b32 s12, s9, s28
	s_xor_b64 s[22:23], s[22:23], 0
	s_xor_b64 s[12:13], s[12:13], s[22:23]
	s_delay_alu instid0(SALU_CYCLE_1)
	s_sub_nc_u64 s[24:25], s[12:13], s[22:23]
	s_load_b96 s[12:14], s[0:1], 0x44
	s_cbranch_execnz .LBB22_6
.LBB22_5:
	v_cvt_f32_u32_e32 v1, s16
	s_sub_co_i32 s7, 0, s16
	s_delay_alu instid0(VALU_DEP_1) | instskip(SKIP_1) | instid1(TRANS32_DEP_1)
	v_rcp_iflag_f32_e32 v1, v1
	v_nop
	v_mul_f32_e32 v1, 0x4f7ffffe, v1
	s_delay_alu instid0(VALU_DEP_1) | instskip(NEXT) | instid1(VALU_DEP_1)
	v_cvt_u32_f32_e32 v1, v1
	v_readfirstlane_b32 s3, v1
	s_mul_i32 s7, s7, s3
	s_delay_alu instid0(SALU_CYCLE_1) | instskip(NEXT) | instid1(SALU_CYCLE_1)
	s_mul_hi_u32 s7, s3, s7
	s_add_co_i32 s3, s3, s7
	s_delay_alu instid0(SALU_CYCLE_1) | instskip(NEXT) | instid1(SALU_CYCLE_1)
	s_mul_hi_u32 s3, s8, s3
	s_mul_i32 s7, s3, s16
	s_delay_alu instid0(SALU_CYCLE_1)
	s_sub_co_i32 s7, s8, s7
	s_add_co_i32 s8, s3, 1
	s_sub_co_i32 s9, s7, s16
	s_cmp_ge_u32 s7, s16
	s_cselect_b32 s3, s8, s3
	s_cselect_b32 s7, s9, s7
	s_add_co_i32 s8, s3, 1
	s_cmp_ge_u32 s7, s16
	s_cselect_b32 s24, s8, s3
.LBB22_6:
	s_delay_alu instid0(SALU_CYCLE_1)
	s_cmp_eq_u32 s20, s24
	s_mov_b64 s[8:9], 0xffffffff
	s_cselect_b32 s3, -1, 0
	s_and_b64 s[8:9], s[20:21], s[8:9]
	s_mov_b32 s23, 0
	s_wait_kmcnt 0x0
	s_mov_b32 s22, s12
	s_mov_b32 s25, s23
	s_mul_u64 s[10:11], s[8:9], s[22:23]
	s_delay_alu instid0(SALU_CYCLE_1) | instskip(SKIP_2) | instid1(SALU_CYCLE_1)
	s_add_co_i32 s7, s11, s20
	s_mul_u64 s[10:11], s[24:25], s[22:23]
	s_lshr_b32 s12, s7, s13
	s_mul_i32 s7, s12, s14
	s_delay_alu instid0(SALU_CYCLE_1) | instskip(SKIP_2) | instid1(SALU_CYCLE_1)
	s_cmp_eq_u32 s7, s20
	s_cselect_b32 s7, -1, 0
	s_add_co_i32 s10, s11, s24
	s_lshr_b32 s10, s10, s13
	s_delay_alu instid0(SALU_CYCLE_1)
	s_cmp_eq_u32 s12, s10
	s_mul_i32 s10, s10, s14
	s_cselect_b32 s11, -1, 0
	s_cmp_lg_u32 s10, s24
	s_cselect_b32 s10, -1, 0
	s_or_b32 s3, s3, s7
	s_and_b32 s10, s11, s10
	s_delay_alu instid0(SALU_CYCLE_1) | instskip(NEXT) | instid1(SALU_CYCLE_1)
	s_or_b32 s3, s3, s10
	s_and_b32 vcc_lo, exec_lo, s3
	s_cbranch_vccnz .LBB22_24
; %bb.7:
	s_load_b256 s[24:31], s[0:1], 0x20
	s_bfe_u32 s7, ttmp6, 0x40014
	s_bfe_u32 s33, ttmp6, 0x40010
	s_lshr_b32 s3, ttmp7, 16
	s_add_co_i32 s7, s7, 1
	s_and_b32 s21, ttmp7, 0xffff
	s_add_co_i32 s33, s33, 1
	s_bfe_u32 s10, ttmp6, 0x40008
	s_mul_i32 s7, s3, s7
	s_bfe_u32 s34, ttmp6, 0x40004
	s_mul_i32 s33, s21, s33
	s_mov_b32 s11, s23
	s_add_co_i32 s7, s10, s7
	s_add_co_i32 s34, s34, s33
	s_cmp_eq_u32 s15, 0
	s_cselect_b32 s15, s21, s34
	s_cselect_b32 s21, s3, s7
	s_wait_kmcnt 0x0
	s_mov_b32 s10, s24
	s_delay_alu instid0(SALU_CYCLE_1) | instskip(SKIP_2) | instid1(SALU_CYCLE_1)
	s_mul_u64 s[8:9], s[8:9], s[10:11]
	s_load_b32 s8, s[0:1], 0x40
	s_add_co_i32 s3, s9, s20
	s_lshr_b32 s3, s3, s25
	s_delay_alu instid0(SALU_CYCLE_1) | instskip(NEXT) | instid1(SALU_CYCLE_1)
	s_mul_i32 s7, s3, s26
	s_sub_co_i32 s9, s20, s7
	s_delay_alu instid0(SALU_CYCLE_1) | instskip(NEXT) | instid1(SALU_CYCLE_1)
	s_mul_hi_u32 s7, s9, s27
	s_add_co_i32 s7, s9, s7
	s_delay_alu instid0(SALU_CYCLE_1) | instskip(NEXT) | instid1(SALU_CYCLE_1)
	s_lshr_b32 s7, s7, s28
	s_mul_i32 s10, s7, s29
	s_delay_alu instid0(SALU_CYCLE_1) | instskip(NEXT) | instid1(SALU_CYCLE_1)
	s_sub_co_i32 s10, s9, s10
	s_mul_hi_u32 s9, s10, s30
	s_delay_alu instid0(SALU_CYCLE_1) | instskip(NEXT) | instid1(SALU_CYCLE_1)
	s_add_co_i32 s9, s10, s9
	s_lshr_b32 s25, s9, s31
	s_mov_b32 s9, s23
	s_wait_kmcnt 0x0
	s_mul_i32 s8, s25, s8
	s_lshl_b32 s25, s25, 2
	s_sub_co_i32 s8, s10, s8
	s_delay_alu instid0(SALU_CYCLE_1) | instskip(NEXT) | instid1(SALU_CYCLE_1)
	s_mul_u64 s[10:11], s[8:9], s[22:23]
	s_add_co_i32 s8, s8, s11
	s_delay_alu instid0(SALU_CYCLE_1) | instskip(NEXT) | instid1(SALU_CYCLE_1)
	s_lshr_b32 s24, s8, s13
	s_add_co_i32 s24, s24, s15
	s_delay_alu instid0(SALU_CYCLE_1) | instskip(SKIP_2) | instid1(SALU_CYCLE_1)
	s_cmp_lt_i32 s24, s4
	s_cselect_b32 s8, -1, 0
	s_add_co_i32 s25, s25, s21
	s_cmp_lt_i32 s25, s6
	s_cselect_b32 s9, -1, 0
	s_delay_alu instid0(SALU_CYCLE_1) | instskip(NEXT) | instid1(SALU_CYCLE_1)
	s_and_b32 s8, s8, s9
	s_and_not1_b32 vcc_lo, exec_lo, s8
	s_cbranch_vccnz .LBB22_24
; %bb.8:
	s_load_b128 s[8:11], s[0:1], 0x0
	s_mul_i32 s3, s3, s4
	s_mul_i32 s7, s7, s6
	s_wait_xcnt 0x0
	s_add_co_i32 s0, s24, s3
	s_add_co_i32 s1, s25, s7
	s_mul_i32 s0, s0, s5
	s_add_co_i32 s3, s15, s2
	s_add_co_i32 s1, s1, s0
	v_cvt_f32_u32_e32 v4, s16
	v_lshl_or_b32 v2, s1, 9, v0
	s_add_nc_u64 s[0:1], s[16:17], 0
	s_lshl_b32 s24, s16, 4
	s_xor_b64 s[6:7], s[0:1], 0
	s_lshl_b32 s0, s3, 2
	s_cvt_f32_u32 s3, s6
	s_cvt_f32_u32 s4, s7
	s_add_co_i32 s0, s0, s21
	v_rcp_iflag_f32_e32 v4, v4
	s_ashr_i32 s1, s0, 31
	s_fmamk_f32 s3, s4, 0x4f800000, s3
	s_wait_kmcnt 0x0
	global_load_b32 v1, v2, s[8:9] scale_offset
	s_lshl_b64 s[0:1], s[0:1], 3
	s_mov_b32 s25, 0
	v_s_rcp_f32 s3, s3
	s_add_nc_u64 s[0:1], s[10:11], s[0:1]
	v_dual_mul_f32 v4, 0x4f7ffffe, v4 :: v_dual_ashrrev_i32 v3, 31, v2
	s_load_b64 s[28:29], s[0:1], 0x0
	s_wait_xcnt 0x0
	s_lshl_b64 s[0:1], s[24:25], 2
	v_lshl_or_b32 v6, s21, 9, v0
	s_add_nc_u64 s[26:27], s[10:11], s[0:1]
	s_mul_f32 s3, s3, 0x5f7ffffc
	v_lshl_add_u64 v[2:3], v[2:3], 2, s[8:9]
	v_cvt_u32_f32_e32 v7, v4
	s_mov_b64 s[8:9], 0xffffffff
	s_mul_f32 s4, s3, 0x2f800000
	s_add_co_i32 s36, s2, -1
	s_sub_nc_u64 s[34:35], 0, s[6:7]
	s_delay_alu instid0(SALU_CYCLE_1) | instskip(NEXT) | instid1(SALU_CYCLE_3)
	s_trunc_f32 s4, s4
	s_fmamk_f32 s0, s4, 0xcf800000, s3
	s_cvt_u32_f32 s31, s4
	s_wait_kmcnt 0x0
	v_mov_b32_e32 v0, s29
	s_cvt_u32_f32 s30, s0
.LBB22_9:                               ; =>This Inner Loop Header: Depth=1
	s_ashr_i32 s37, s36, 31
                                        ; implicit-def: $sgpr40_sgpr41
	s_delay_alu instid0(SALU_CYCLE_1) | instskip(NEXT) | instid1(SALU_CYCLE_1)
	s_mul_u64 s[0:1], s[36:37], s[18:19]
	s_and_b64 s[2:3], s[0:1], 0xffffffff00000000
	s_delay_alu instid0(SALU_CYCLE_1)
	s_cmp_lg_u64 s[2:3], 0
	s_mov_b32 s2, -1
	s_cbranch_scc0 .LBB22_11
; %bb.10:                               ;   in Loop: Header=BB22_9 Depth=1
	s_mul_u64 s[2:3], s[34:35], s[30:31]
	s_delay_alu instid0(SALU_CYCLE_1)
	s_mul_hi_u32 s5, s30, s3
	s_mul_i32 s4, s30, s3
	s_mul_hi_u32 s24, s30, s2
	s_mul_hi_u32 s17, s31, s2
	s_add_nc_u64 s[4:5], s[24:25], s[4:5]
	s_mul_i32 s2, s31, s2
	s_mul_hi_u32 s29, s31, s3
	s_add_co_u32 s2, s4, s2
	s_add_co_ci_u32 s24, s5, s17
	s_add_co_ci_u32 s5, s29, 0
	s_mul_i32 s4, s31, s3
	s_delay_alu instid0(SALU_CYCLE_1) | instskip(NEXT) | instid1(SALU_CYCLE_1)
	s_add_nc_u64 s[2:3], s[24:25], s[4:5]
	s_add_co_u32 s2, s30, s2
	s_cselect_b32 s4, -1, 0
	s_delay_alu instid0(SALU_CYCLE_1) | instskip(SKIP_1) | instid1(SALU_CYCLE_1)
	s_cmp_lg_u32 s4, 0
	s_add_co_ci_u32 s3, s31, s3
	s_mul_u64 s[4:5], s[34:35], s[2:3]
	s_delay_alu instid0(SALU_CYCLE_1)
	s_mul_hi_u32 s39, s2, s5
	s_mul_i32 s38, s2, s5
	s_mul_hi_u32 s24, s2, s4
	s_mul_hi_u32 s17, s3, s4
	s_mul_i32 s4, s3, s4
	s_add_nc_u64 s[38:39], s[24:25], s[38:39]
	s_mul_hi_u32 s29, s3, s5
	s_add_co_u32 s4, s38, s4
	s_add_co_ci_u32 s24, s39, s17
	s_mul_i32 s4, s3, s5
	s_add_co_ci_u32 s5, s29, 0
	s_delay_alu instid0(SALU_CYCLE_1) | instskip(NEXT) | instid1(SALU_CYCLE_1)
	s_add_nc_u64 s[4:5], s[24:25], s[4:5]
	s_add_co_u32 s17, s2, s4
	s_cselect_b32 s2, -1, 0
	s_delay_alu instid0(SALU_CYCLE_1) | instskip(SKIP_2) | instid1(SALU_CYCLE_1)
	s_cmp_lg_u32 s2, 0
	s_add_co_ci_u32 s29, s3, s5
	s_ashr_i32 s2, s1, 31
	s_mov_b32 s3, s2
	s_delay_alu instid0(SALU_CYCLE_1) | instskip(NEXT) | instid1(SALU_CYCLE_1)
	s_add_nc_u64 s[4:5], s[0:1], s[2:3]
	s_xor_b64 s[4:5], s[4:5], s[2:3]
	s_delay_alu instid0(SALU_CYCLE_1)
	s_mul_hi_u32 s39, s4, s29
	s_mul_i32 s38, s4, s29
	s_mul_hi_u32 s24, s4, s17
	s_mul_hi_u32 s33, s5, s17
	s_mul_i32 s17, s5, s17
	s_add_nc_u64 s[38:39], s[24:25], s[38:39]
	s_mul_hi_u32 s1, s5, s29
	s_add_co_u32 s17, s38, s17
	s_add_co_ci_u32 s24, s39, s33
	s_mul_i32 s40, s5, s29
	s_add_co_ci_u32 s41, s1, 0
	s_delay_alu instid0(SALU_CYCLE_1) | instskip(NEXT) | instid1(SALU_CYCLE_1)
	s_add_nc_u64 s[38:39], s[24:25], s[40:41]
	s_and_b64 s[40:41], s[38:39], 0xffffffff00000000
	s_delay_alu instid0(SALU_CYCLE_1) | instskip(NEXT) | instid1(SALU_CYCLE_1)
	s_or_b32 s40, s40, s38
	s_mul_u64 s[38:39], s[6:7], s[40:41]
	s_add_nc_u64 s[42:43], s[40:41], 1
	s_sub_co_u32 s1, s4, s38
	s_cselect_b32 s4, -1, 0
	s_sub_co_i32 s17, s5, s39
	s_cmp_lg_u32 s4, 0
	s_add_nc_u64 s[44:45], s[40:41], 2
	s_sub_co_ci_u32 s17, s17, s7
	s_sub_co_u32 s24, s1, s6
	s_cselect_b32 s29, -1, 0
	s_delay_alu instid0(SALU_CYCLE_1) | instskip(SKIP_1) | instid1(SALU_CYCLE_1)
	s_cmp_lg_u32 s29, 0
	s_sub_co_ci_u32 s17, s17, 0
	s_cmp_ge_u32 s17, s7
	s_cselect_b32 s29, -1, 0
	s_cmp_ge_u32 s24, s6
	s_cselect_b32 s24, -1, 0
	s_cmp_eq_u32 s17, s7
	s_cselect_b32 s17, s24, s29
	s_delay_alu instid0(SALU_CYCLE_1) | instskip(SKIP_4) | instid1(SALU_CYCLE_1)
	s_cmp_lg_u32 s17, 0
	s_cselect_b32 s17, s44, s42
	s_cselect_b32 s24, s45, s43
	s_cmp_lg_u32 s4, 0
	s_sub_co_ci_u32 s4, s5, s39
	s_cmp_ge_u32 s4, s7
	s_cselect_b32 s5, -1, 0
	s_cmp_ge_u32 s1, s6
	s_cselect_b32 s1, -1, 0
	s_cmp_eq_u32 s4, s7
	s_cselect_b32 s1, s1, s5
	s_delay_alu instid0(SALU_CYCLE_1) | instskip(SKIP_3) | instid1(SALU_CYCLE_1)
	s_cmp_lg_u32 s1, 0
	s_cselect_b32 s5, s24, s41
	s_cselect_b32 s4, s17, s40
	s_xor_b64 s[2:3], s[2:3], 0
	s_xor_b64 s[4:5], s[4:5], s[2:3]
	s_delay_alu instid0(SALU_CYCLE_1)
	s_sub_nc_u64 s[40:41], s[4:5], s[2:3]
	s_mov_b32 s2, 0
.LBB22_11:                              ;   in Loop: Header=BB22_9 Depth=1
	s_delay_alu instid0(SALU_CYCLE_1)
	s_and_not1_b32 vcc_lo, exec_lo, s2
	s_cbranch_vccnz .LBB22_13
; %bb.12:                               ;   in Loop: Header=BB22_9 Depth=1
	v_readfirstlane_b32 s1, v7
	s_sub_co_i32 s2, 0, s16
	s_delay_alu instid0(SALU_CYCLE_1) | instskip(NEXT) | instid1(SALU_CYCLE_1)
	s_mul_i32 s2, s2, s1
	s_mul_hi_u32 s2, s1, s2
	s_delay_alu instid0(SALU_CYCLE_1) | instskip(NEXT) | instid1(SALU_CYCLE_1)
	s_add_co_i32 s1, s1, s2
	s_mul_hi_u32 s1, s0, s1
	s_delay_alu instid0(SALU_CYCLE_1) | instskip(NEXT) | instid1(SALU_CYCLE_1)
	s_mul_i32 s2, s1, s16
	s_sub_co_i32 s0, s0, s2
	s_add_co_i32 s2, s1, 1
	s_sub_co_i32 s3, s0, s16
	s_cmp_ge_u32 s0, s16
	s_cselect_b32 s1, s2, s1
	s_cselect_b32 s0, s3, s0
	s_add_co_i32 s2, s1, 1
	s_cmp_ge_u32 s0, s16
	s_cselect_b32 s24, s2, s1
	s_delay_alu instid0(SALU_CYCLE_1)
	s_mov_b64 s[40:41], s[24:25]
.LBB22_13:                              ;   in Loop: Header=BB22_9 Depth=1
	s_delay_alu instid0(SALU_CYCLE_1)
	s_cmp_lg_u32 s20, s40
	s_mov_b32 s0, -1
                                        ; implicit-def: $vgpr4_vgpr5
                                        ; implicit-def: $sgpr29
                                        ; implicit-def: $sgpr17
                                        ; implicit-def: $sgpr24
                                        ; implicit-def: $sgpr33
	s_cbranch_scc0 .LBB22_18
; %bb.14:                               ;   in Loop: Header=BB22_9 Depth=1
	s_add_co_i32 s42, s36, s15
	v_max_num_f32_e64 v4, s28, s28
	s_add_co_i32 s0, s42, s16
	s_mov_b32 s33, s20
	s_lshl_b32 s0, s0, 2
	s_delay_alu instid0(SALU_CYCLE_1)
	s_add_co_i32 s0, s0, s21
	s_load_b64 s[38:39], s[10:11], s0 offset:0x0 scale_offset
	s_wait_xcnt 0x0
	v_readfirstlane_b32 s0, v4
	s_wait_kmcnt 0x0
	v_max_num_f32_e64 v5, s38, s38
	s_delay_alu instid0(VALU_DEP_1) | instskip(SKIP_1) | instid1(SALU_CYCLE_3)
	v_readfirstlane_b32 s1, v5
	s_max_num_f32 s17, s0, s1
	s_sub_f32 s37, s28, s17
	s_sub_f32 s38, s38, s17
	s_delay_alu instid0(SALU_CYCLE_2)
	s_cmp_nlt_f32 s37, 0xc2ce8ed0
	s_cselect_b32 s1, -1, 0
	s_cmp_ngt_f32 s37, 0x42b17218
	s_cselect_b32 s2, -1, 0
	s_cmp_ge_f32 s37, 0xc1a00000
	s_cselect_b32 s0, -1, 0
	s_cmp_nlt_f32 s38, 0xc2ce8ed0
	s_cselect_b32 s3, -1, 0
	s_cmp_ngt_f32 s38, 0x42b17218
	s_cselect_b32 s4, -1, 0
	s_cmp_ge_f32 s38, 0xc1a00000
	s_cselect_b32 s5, -1, 0
	s_and_b64 s[44:45], s[40:41], s[8:9]
	s_delay_alu instid0(SALU_CYCLE_1) | instskip(NEXT) | instid1(SALU_CYCLE_1)
	s_mul_u64 s[44:45], s[44:45], s[22:23]
	s_add_co_i32 s24, s45, s40
	s_delay_alu instid0(SALU_CYCLE_1) | instskip(NEXT) | instid1(SALU_CYCLE_1)
	s_lshr_b32 s24, s24, s13
	s_mul_i32 s29, s24, s14
	s_delay_alu instid0(SALU_CYCLE_1) | instskip(SKIP_3) | instid1(SALU_CYCLE_1)
	s_cmp_eq_u32 s29, s40
	s_cselect_b32 s29, -1, 0
	s_cmp_lt_u32 s24, s12
	s_cselect_b32 s24, -1, 0
	s_or_b32 s24, s24, s29
	s_mov_b32 s29, -1
	s_and_b32 vcc_lo, exec_lo, s24
	s_mov_b32 s24, s36
	s_cbranch_vccnz .LBB22_16
; %bb.15:                               ;   in Loop: Header=BB22_9 Depth=1
	s_add_co_i32 s24, s36, -1
	s_mov_b32 s29, 0
	s_mov_b32 s33, s40
.LBB22_16:                              ;   in Loop: Header=BB22_9 Depth=1
	v_lshl_add_u32 v4, s42, 11, v6
	s_mul_f32 s41, s37, 0x3fb8aa3b
	s_mul_f32 s40, s38, 0x3fb8aa3b
	s_delay_alu instid0(SALU_CYCLE_2)
	s_xor_b32 s43, s41, 0x80000000
	global_load_b32 v5, v4, s[26:27] scale_offset
	s_fmamk_f32 s43, s37, 0x3fb8aa3b, s43
	s_rndne_f32 s45, s41
	s_xor_b32 s42, s40, 0x80000000
	s_rndne_f32 s44, s40
	s_fmamk_f32 s37, s37, 0x32a5705f, s43
	s_sub_f32 s41, s41, s45
	s_fmamk_f32 s42, s38, 0x3fb8aa3b, s42
	s_sub_f32 s40, s40, s44
	s_delay_alu instid0(SALU_CYCLE_1) | instskip(NEXT) | instid1(SALU_CYCLE_1)
	s_add_f32 s37, s41, s37
	s_fmamk_f32 s38, s38, 0x32a5705f, s42
	s_cvt_i32_f32 s41, s45
	s_delay_alu instid0(SALU_CYCLE_1) | instskip(NEXT) | instid1(SALU_CYCLE_1)
	v_s_exp_f32 s37, s37
	s_add_f32 s38, s40, s38
	s_cvt_i32_f32 s40, s44
	s_delay_alu instid0(SALU_CYCLE_2) | instskip(NEXT) | instid1(TRANS32_DEP_2)
	v_s_exp_f32 s38, s38
	v_ldexp_f32 v8, s37, s41
	s_wait_xcnt 0x0
	s_delay_alu instid0(TRANS32_DEP_1) | instskip(NEXT) | instid1(VALU_DEP_2)
	v_ldexp_f32 v4, s38, s40
	v_cndmask_b32_e64 v8, 0, v8, s1
	s_delay_alu instid0(VALU_DEP_1) | instskip(NEXT) | instid1(VALU_DEP_1)
	v_cndmask_b32_e64 v9, 0x7f800000, v8, s2
	v_dual_cndmask_b32 v4, 0, v4, s3 :: v_dual_cndmask_b32 v10, 0, v9, s0
	s_delay_alu instid0(VALU_DEP_1) | instskip(NEXT) | instid1(VALU_DEP_1)
	v_cndmask_b32_e64 v4, 0x7f800000, v4, s4
	v_dual_cndmask_b32 v8, 0, v4, s5 :: v_dual_mov_b32 v4, s39
	s_wait_loadcnt 0x0
	s_delay_alu instid0(VALU_DEP_1) | instskip(NEXT) | instid1(VALU_DEP_1)
	v_pk_mul_f32 v[4:5], v[4:5], v[8:9] op_sel_hi:[1,0]
	v_pk_fma_f32 v[4:5], v[0:1], v[10:11], v[4:5] op_sel_hi:[1,0,1]
	s_cbranch_execz .LBB22_19
.LBB22_17:                              ;   in Loop: Header=BB22_9 Depth=1
	s_and_not1_b32 vcc_lo, exec_lo, s29
	s_cbranch_vccnz .LBB22_20
	s_branch .LBB22_23
.LBB22_18:                              ;   in Loop: Header=BB22_9 Depth=1
	s_and_not1_b32 vcc_lo, exec_lo, s0
	s_cbranch_vccnz .LBB22_17
.LBB22_19:                              ;   in Loop: Header=BB22_9 Depth=1
	s_wait_loadcnt 0x0
	v_mov_b64_e32 v[4:5], v[0:1]
	s_add_co_i32 s24, s36, -1
	s_mov_b32 s33, s20
	s_mov_b32 s17, s28
	s_cbranch_execz .LBB22_23
.LBB22_20:                              ;   in Loop: Header=BB22_9 Depth=1
	s_wait_loadcnt 0x0
	s_delay_alu instid0(VALU_DEP_1)
	v_mov_b64_e32 v[0:1], v[4:5]
	s_mov_b32 s20, s33
	s_mov_b32 s36, s24
	s_mov_b32 s28, s17
	s_branch .LBB22_9
.LBB22_21:
                                        ; implicit-def: $sgpr20_sgpr21
	s_branch .LBB22_2
.LBB22_22:
                                        ; implicit-def: $sgpr24_sgpr25
	s_load_b96 s[12:14], s[0:1], 0x44
	s_branch .LBB22_5
.LBB22_23:
	s_delay_alu instid0(VALU_DEP_1) | instskip(SKIP_1) | instid1(VALU_DEP_1)
	v_div_scale_f32 v0, null, v4, v4, v5
	s_wait_loadcnt 0x0
	v_rcp_f32_e32 v1, v0
	v_nop
	s_delay_alu instid0(TRANS32_DEP_1) | instskip(NEXT) | instid1(VALU_DEP_1)
	v_fma_f32 v6, -v0, v1, 1.0
	v_fmac_f32_e32 v1, v6, v1
	v_div_scale_f32 v6, vcc_lo, v5, v4, v5
	s_delay_alu instid0(VALU_DEP_1) | instskip(NEXT) | instid1(VALU_DEP_1)
	v_mul_f32_e32 v7, v6, v1
	v_fma_f32 v8, -v0, v7, v6
	s_delay_alu instid0(VALU_DEP_1) | instskip(NEXT) | instid1(VALU_DEP_1)
	v_fmac_f32_e32 v7, v8, v1
	v_fma_f32 v0, -v0, v7, v6
	s_delay_alu instid0(VALU_DEP_1) | instskip(NEXT) | instid1(VALU_DEP_1)
	v_div_fmas_f32 v0, v0, v1, v7
	v_div_fixup_f32 v0, v0, v4, v5
	global_store_b32 v[2:3], v0, off
.LBB22_24:
	s_endpgm
	.section	.rodata,"a",@progbits
	.p2align	6, 0x0
	.amdhsa_kernel _ZL33flash_attn_stream_k_fixup_generalILi512ELi1ELi4EEvPfPK15HIP_vector_typeIfLj2EEiiiiS1_IjLj3EES5_S5_S5_
		.amdhsa_group_segment_fixed_size 0
		.amdhsa_private_segment_fixed_size 0
		.amdhsa_kernarg_size 336
		.amdhsa_user_sgpr_count 2
		.amdhsa_user_sgpr_dispatch_ptr 0
		.amdhsa_user_sgpr_queue_ptr 0
		.amdhsa_user_sgpr_kernarg_segment_ptr 1
		.amdhsa_user_sgpr_dispatch_id 0
		.amdhsa_user_sgpr_kernarg_preload_length 0
		.amdhsa_user_sgpr_kernarg_preload_offset 0
		.amdhsa_user_sgpr_private_segment_size 0
		.amdhsa_wavefront_size32 1
		.amdhsa_uses_dynamic_stack 0
		.amdhsa_enable_private_segment 0
		.amdhsa_system_sgpr_workgroup_id_x 1
		.amdhsa_system_sgpr_workgroup_id_y 1
		.amdhsa_system_sgpr_workgroup_id_z 1
		.amdhsa_system_sgpr_workgroup_info 0
		.amdhsa_system_vgpr_workitem_id 0
		.amdhsa_next_free_vgpr 12
		.amdhsa_next_free_sgpr 46
		.amdhsa_named_barrier_count 0
		.amdhsa_reserve_vcc 1
		.amdhsa_float_round_mode_32 0
		.amdhsa_float_round_mode_16_64 0
		.amdhsa_float_denorm_mode_32 3
		.amdhsa_float_denorm_mode_16_64 3
		.amdhsa_fp16_overflow 0
		.amdhsa_memory_ordered 1
		.amdhsa_forward_progress 1
		.amdhsa_inst_pref_size 26
		.amdhsa_round_robin_scheduling 0
		.amdhsa_exception_fp_ieee_invalid_op 0
		.amdhsa_exception_fp_denorm_src 0
		.amdhsa_exception_fp_ieee_div_zero 0
		.amdhsa_exception_fp_ieee_overflow 0
		.amdhsa_exception_fp_ieee_underflow 0
		.amdhsa_exception_fp_ieee_inexact 0
		.amdhsa_exception_int_div_zero 0
	.end_amdhsa_kernel
	.section	.text._ZL33flash_attn_stream_k_fixup_generalILi512ELi1ELi4EEvPfPK15HIP_vector_typeIfLj2EEiiiiS1_IjLj3EES5_S5_S5_,"axG",@progbits,_ZL33flash_attn_stream_k_fixup_generalILi512ELi1ELi4EEvPfPK15HIP_vector_typeIfLj2EEiiiiS1_IjLj3EES5_S5_S5_,comdat
.Lfunc_end22:
	.size	_ZL33flash_attn_stream_k_fixup_generalILi512ELi1ELi4EEvPfPK15HIP_vector_typeIfLj2EEiiiiS1_IjLj3EES5_S5_S5_, .Lfunc_end22-_ZL33flash_attn_stream_k_fixup_generalILi512ELi1ELi4EEvPfPK15HIP_vector_typeIfLj2EEiiiiS1_IjLj3EES5_S5_S5_
                                        ; -- End function
	.set _ZL33flash_attn_stream_k_fixup_generalILi512ELi1ELi4EEvPfPK15HIP_vector_typeIfLj2EEiiiiS1_IjLj3EES5_S5_S5_.num_vgpr, 12
	.set _ZL33flash_attn_stream_k_fixup_generalILi512ELi1ELi4EEvPfPK15HIP_vector_typeIfLj2EEiiiiS1_IjLj3EES5_S5_S5_.num_agpr, 0
	.set _ZL33flash_attn_stream_k_fixup_generalILi512ELi1ELi4EEvPfPK15HIP_vector_typeIfLj2EEiiiiS1_IjLj3EES5_S5_S5_.numbered_sgpr, 46
	.set _ZL33flash_attn_stream_k_fixup_generalILi512ELi1ELi4EEvPfPK15HIP_vector_typeIfLj2EEiiiiS1_IjLj3EES5_S5_S5_.num_named_barrier, 0
	.set _ZL33flash_attn_stream_k_fixup_generalILi512ELi1ELi4EEvPfPK15HIP_vector_typeIfLj2EEiiiiS1_IjLj3EES5_S5_S5_.private_seg_size, 0
	.set _ZL33flash_attn_stream_k_fixup_generalILi512ELi1ELi4EEvPfPK15HIP_vector_typeIfLj2EEiiiiS1_IjLj3EES5_S5_S5_.uses_vcc, 1
	.set _ZL33flash_attn_stream_k_fixup_generalILi512ELi1ELi4EEvPfPK15HIP_vector_typeIfLj2EEiiiiS1_IjLj3EES5_S5_S5_.uses_flat_scratch, 0
	.set _ZL33flash_attn_stream_k_fixup_generalILi512ELi1ELi4EEvPfPK15HIP_vector_typeIfLj2EEiiiiS1_IjLj3EES5_S5_S5_.has_dyn_sized_stack, 0
	.set _ZL33flash_attn_stream_k_fixup_generalILi512ELi1ELi4EEvPfPK15HIP_vector_typeIfLj2EEiiiiS1_IjLj3EES5_S5_S5_.has_recursion, 0
	.set _ZL33flash_attn_stream_k_fixup_generalILi512ELi1ELi4EEvPfPK15HIP_vector_typeIfLj2EEiiiiS1_IjLj3EES5_S5_S5_.has_indirect_call, 0
	.section	.AMDGPU.csdata,"",@progbits
; Kernel info:
; codeLenInByte = 3328
; TotalNumSgprs: 48
; NumVgprs: 12
; ScratchSize: 0
; MemoryBound: 0
; FloatMode: 240
; IeeeMode: 1
; LDSByteSize: 0 bytes/workgroup (compile time only)
; SGPRBlocks: 0
; VGPRBlocks: 0
; NumSGPRsForWavesPerEU: 48
; NumVGPRsForWavesPerEU: 12
; NamedBarCnt: 0
; Occupancy: 16
; WaveLimiterHint : 0
; COMPUTE_PGM_RSRC2:SCRATCH_EN: 0
; COMPUTE_PGM_RSRC2:USER_SGPR: 2
; COMPUTE_PGM_RSRC2:TRAP_HANDLER: 0
; COMPUTE_PGM_RSRC2:TGID_X_EN: 1
; COMPUTE_PGM_RSRC2:TGID_Y_EN: 1
; COMPUTE_PGM_RSRC2:TGID_Z_EN: 1
; COMPUTE_PGM_RSRC2:TIDIG_COMP_CNT: 0
	.section	.text._ZL15flash_attn_tileILi576ELi512ELi2ELi16ELb1EEvPKcS1_S1_S1_S1_PKiPfP15HIP_vector_typeIfLj2EEffffjfiS5_IjLj3EEiiiiiiiiiiiliiliiiiil,"axG",@progbits,_ZL15flash_attn_tileILi576ELi512ELi2ELi16ELb1EEvPKcS1_S1_S1_S1_PKiPfP15HIP_vector_typeIfLj2EEffffjfiS5_IjLj3EEiiiiiiiiiiiliiliiiiil,comdat
	.globl	_ZL15flash_attn_tileILi576ELi512ELi2ELi16ELb1EEvPKcS1_S1_S1_S1_PKiPfP15HIP_vector_typeIfLj2EEffffjfiS5_IjLj3EEiiiiiiiiiiiliiliiiiil ; -- Begin function _ZL15flash_attn_tileILi576ELi512ELi2ELi16ELb1EEvPKcS1_S1_S1_S1_PKiPfP15HIP_vector_typeIfLj2EEffffjfiS5_IjLj3EEiiiiiiiiiiiliiliiiiil
	.p2align	8
	.type	_ZL15flash_attn_tileILi576ELi512ELi2ELi16ELb1EEvPKcS1_S1_S1_S1_PKiPfP15HIP_vector_typeIfLj2EEffffjfiS5_IjLj3EEiiiiiiiiiiiliiliiiiil,@function
_ZL15flash_attn_tileILi576ELi512ELi2ELi16ELb1EEvPKcS1_S1_S1_S1_PKiPfP15HIP_vector_typeIfLj2EEffffjfiS5_IjLj3EEiiiiiiiiiiiliiliiiiil: ; @_ZL15flash_attn_tileILi576ELi512ELi2ELi16ELb1EEvPKcS1_S1_S1_S1_PKiPfP15HIP_vector_typeIfLj2EEffffjfiS5_IjLj3EEiiiiiiiiiiiliiliiiiil
; %bb.0:
	s_clause 0x1
	s_load_b128 s[20:23], s[0:1], 0x5c
	s_load_b64 s[28:29], s[0:1], 0x80
	s_bfe_u32 s5, ttmp6, 0x40014
	s_lshr_b32 s4, ttmp7, 16
	s_add_co_i32 s5, s5, 1
	s_bfe_u32 s6, ttmp6, 0x40008
	s_mul_i32 s5, s4, s5
	s_getreg_b32 s24, hwreg(HW_REG_IB_STS2, 6, 4)
	s_add_co_i32 s6, s6, s5
	s_load_b64 s[36:37], s[0:1], 0xb8
	s_mov_b32 s35, 0
	s_mov_b64 s[30:31], 0
	s_wait_kmcnt 0x0
	s_ashr_i32 s2, s23, 31
	s_delay_alu instid0(SALU_CYCLE_1) | instskip(NEXT) | instid1(SALU_CYCLE_1)
	s_lshr_b32 s2, s2, 28
	s_add_co_i32 s2, s23, s2
	s_delay_alu instid0(SALU_CYCLE_1) | instskip(NEXT) | instid1(SALU_CYCLE_1)
	s_ashr_i32 s2, s2, 4
	s_cvt_f32_u32 s3, s2
	s_sub_co_i32 s7, 0, s2
	s_delay_alu instid0(SALU_CYCLE_2) | instskip(SKIP_1) | instid1(TRANS32_DEP_1)
	v_rcp_iflag_f32_e32 v1, s3
	v_nop
	v_readfirstlane_b32 s3, v1
	s_mul_f32 s3, s3, 0x4f7ffffe
	s_delay_alu instid0(SALU_CYCLE_3) | instskip(NEXT) | instid1(SALU_CYCLE_3)
	s_cvt_u32_f32 s3, s3
	s_mul_i32 s7, s7, s3
	s_delay_alu instid0(SALU_CYCLE_1) | instskip(NEXT) | instid1(SALU_CYCLE_1)
	s_mul_hi_u32 s7, s3, s7
	s_add_co_i32 s3, s3, s7
	s_cmp_eq_u32 s24, 0
	s_cselect_b32 s4, s4, s6
	s_delay_alu instid0(SALU_CYCLE_1) | instskip(NEXT) | instid1(SALU_CYCLE_1)
	s_mul_hi_u32 s3, s4, s3
	s_mul_i32 s5, s3, s2
	s_add_co_i32 s6, s3, 1
	s_sub_co_i32 s5, s4, s5
	s_delay_alu instid0(SALU_CYCLE_1)
	s_sub_co_i32 s7, s5, s2
	s_cmp_ge_u32 s5, s2
	s_cselect_b32 s3, s6, s3
	s_cselect_b32 s5, s7, s5
	s_add_co_i32 s6, s3, 1
	s_cmp_ge_u32 s5, s2
	s_cselect_b32 s2, s6, s3
	s_abs_i32 s3, s29
	s_lshl_b32 s4, s4, 4
	s_cvt_f32_u32 s5, s3
	s_sub_co_i32 s6, 0, s3
	s_mul_i32 s7, s2, s23
	s_abs_i32 s8, s23
	v_rcp_iflag_f32_e32 v1, s5
	s_sub_co_i32 s33, s4, s7
	v_nop
	s_delay_alu instid0(TRANS32_DEP_1) | instskip(SKIP_1) | instid1(SALU_CYCLE_3)
	v_readfirstlane_b32 s5, v1
	s_mul_f32 s5, s5, 0x4f7ffffe
	s_cvt_u32_f32 s5, s5
	s_delay_alu instid0(SALU_CYCLE_3) | instskip(NEXT) | instid1(SALU_CYCLE_1)
	s_mul_i32 s6, s6, s5
	s_mul_hi_u32 s6, s5, s6
	s_delay_alu instid0(SALU_CYCLE_1) | instskip(NEXT) | instid1(SALU_CYCLE_1)
	s_add_co_i32 s5, s5, s6
	s_mul_hi_u32 s4, s8, s5
	s_xor_b32 s5, s23, s29
	s_mul_i32 s6, s4, s3
	s_ashr_i32 s25, s5, 31
	s_sub_co_i32 s5, s8, s6
	s_add_co_i32 s6, s4, 1
	s_sub_co_i32 s7, s5, s3
	s_cmp_ge_u32 s5, s3
	s_cselect_b32 s4, s6, s4
	s_cselect_b32 s5, s7, s5
	s_add_co_i32 s6, s4, 1
	s_cmp_ge_u32 s5, s3
	s_cselect_b32 s3, s6, s4
	s_load_b512 s[4:19], s[0:1], 0x0
	s_xor_b32 s3, s3, s25
	s_delay_alu instid0(SALU_CYCLE_1) | instskip(NEXT) | instid1(SALU_CYCLE_1)
	s_sub_co_i32 s3, s3, s25
	s_abs_i32 s38, s3
	s_delay_alu instid0(SALU_CYCLE_1) | instskip(NEXT) | instid1(SALU_CYCLE_3)
	s_cvt_f32_u32 s25, s38
	v_rcp_iflag_f32_e32 v1, s25
	v_nop
	s_delay_alu instid0(TRANS32_DEP_1)
	v_readfirstlane_b32 s25, v1
	s_wait_kmcnt 0x0
	s_cmp_eq_u64 s[10:11], 0
	s_cbranch_scc1 .LBB23_2
; %bb.1:
	s_abs_i32 s29, s36
	s_abs_i32 s30, s2
	s_cvt_f32_u32 s26, s29
	s_sub_co_i32 s27, 0, s29
	s_delay_alu instid0(SALU_CYCLE_2) | instskip(SKIP_1) | instid1(TRANS32_DEP_1)
	v_rcp_iflag_f32_e32 v1, s26
	v_nop
	v_readfirstlane_b32 s26, v1
	s_mul_f32 s26, s26, 0x4f7ffffe
	s_delay_alu instid0(SALU_CYCLE_3) | instskip(NEXT) | instid1(SALU_CYCLE_3)
	s_cvt_u32_f32 s26, s26
	s_mul_i32 s27, s27, s26
	s_delay_alu instid0(SALU_CYCLE_1) | instskip(NEXT) | instid1(SALU_CYCLE_1)
	s_mul_hi_u32 s27, s26, s27
	s_add_co_i32 s26, s26, s27
	s_delay_alu instid0(SALU_CYCLE_1) | instskip(SKIP_2) | instid1(SALU_CYCLE_1)
	s_mul_hi_u32 s31, s30, s26
	s_load_b64 s[26:27], s[0:1], 0xc8
	s_mul_i32 s31, s31, s29
	s_sub_co_i32 s30, s30, s31
	s_ashr_i32 s31, s2, 31
	s_sub_co_i32 s34, s30, s29
	s_cmp_ge_u32 s30, s29
	s_cselect_b32 s30, s34, s30
	s_delay_alu instid0(SALU_CYCLE_1) | instskip(SKIP_2) | instid1(SALU_CYCLE_1)
	s_sub_co_i32 s34, s30, s29
	s_cmp_ge_u32 s30, s29
	s_cselect_b32 s29, s34, s30
	s_xor_b32 s29, s29, s31
	s_delay_alu instid0(SALU_CYCLE_1) | instskip(NEXT) | instid1(SALU_CYCLE_1)
	s_sub_co_i32 s30, s29, s31
	s_ashr_i32 s31, s30, 31
	s_wait_kmcnt 0x0
	s_mul_u64 s[26:27], s[26:27], s[30:31]
	s_delay_alu instid0(SALU_CYCLE_1)
	s_add_nc_u64 s[30:31], s[10:11], s[26:27]
.LBB23_2:
	s_bfe_u32 s10, ttmp6, 0x4000c
	v_dual_lshrrev_b32 v1, 10, v0 :: v_dual_mov_b32 v3, 0
	s_add_co_i32 s10, s10, 1
	s_and_b32 s11, ttmp6, 15
	s_mul_i32 s10, ttmp9, s10
	s_delay_alu instid0(VALU_DEP_1)
	v_bfe_u32 v1, v1, 2, 8
	s_add_co_i32 s11, s11, s10
	s_cmp_eq_u32 s24, 0
	v_bfe_u32 v8, v0, 10, 10
	s_cselect_b32 s26, ttmp9, s11
	s_load_b96 s[40:42], s[0:1], 0x70
	v_lshl_add_u32 v74, s26, 1, v1
	s_delay_alu instid0(VALU_DEP_2) | instskip(SKIP_1) | instid1(VALU_DEP_3)
	v_dual_mov_b32 v33, v3 :: v_dual_lshlrev_b32 v9, 2, v8
	v_mul_u32_u24_e32 v77, 0x1200, v8
	v_mul_hi_u32 v1, s20, v74
	s_delay_alu instid0(VALU_DEP_3) | instskip(NEXT) | instid1(VALU_DEP_2)
	v_and_b32_e32 v32, 12, v9
	v_add_nc_u32_e32 v1, v74, v1
	s_wait_kmcnt 0x0
	s_mul_i32 s20, s33, s41
	s_ashr_i32 s11, s41, 31
	s_delay_alu instid0(VALU_DEP_1)
	v_lshrrev_b32_e32 v1, s21, v1
	s_mov_b32 s10, s41
	s_ashr_i32 s41, s40, 31
	s_lshr_b64 s[10:11], s[10:11], 2
	s_lshr_b64 s[40:41], s[40:41], 2
	v_mul_lo_u32 v1, v1, s22
	v_mul_u64_e32 v[6:7], s[10:11], v[32:33]
	v_and_b32_e32 v33, 0x3ff, v0
	s_ashr_i32 s21, s20, 31
	s_delay_alu instid0(VALU_DEP_1) | instskip(SKIP_2) | instid1(VALU_DEP_3)
	v_dual_lshlrev_b32 v0, 4, v33 :: v_dual_lshlrev_b32 v76, 3, v33
	v_cmp_gt_u32_e32 vcc_lo, 16, v33
	v_dual_mov_b32 v1, v3 :: v_dual_sub_nc_u32 v2, v74, v1
	v_mad_u32_u24 v26, 0x1200, v8, v76
	s_delay_alu instid0(VALU_DEP_2) | instskip(SKIP_1) | instid1(SALU_CYCLE_1)
	v_mul_u64_e32 v[4:5], s[40:41], v[2:3]
	s_mul_i32 s40, s2, s42
	s_ashr_i32 s41, s40, 31
	s_delay_alu instid0(SALU_CYCLE_1) | instskip(NEXT) | instid1(SALU_CYCLE_1)
	s_add_nc_u64 s[4:5], s[4:5], s[40:41]
	s_add_nc_u64 s[4:5], s[4:5], s[20:21]
	s_delay_alu instid0(VALU_DEP_1) | instid1(SALU_CYCLE_1)
	v_lshl_add_u64 v[4:5], v[4:5], 2, s[4:5]
	s_load_b32 s4, s[0:1], 0x40
	s_delay_alu instid0(VALU_DEP_1) | instskip(NEXT) | instid1(VALU_DEP_1)
	v_add_nc_u64_e32 v[0:1], v[4:5], v[0:1]
	v_lshl_add_u64 v[4:5], v[6:7], 2, v[0:1]
	s_clause 0x3
	global_load_b128 v[10:13], v[4:5], off
	global_load_b128 v[14:17], v[4:5], off offset:512
	global_load_b128 v[18:21], v[4:5], off offset:1024
	;; [unrolled: 1-line block ×3, first 2 shown]
	s_wait_loadcnt 0x3
	s_wait_kmcnt 0x0
	v_fma_mixlo_f16 v6, s4, v10, 0
	v_fma_mixlo_f16 v7, s4, v11, 0
	v_fma_mixlo_f16 v10, s4, v12, 0
	v_fma_mixlo_f16 v11, s4, v13, 0
	s_wait_loadcnt 0x2
	v_fma_mixlo_f16 v12, s4, v14, 0
	v_fma_mixlo_f16 v13, s4, v15, 0
	v_fma_mixlo_f16 v14, s4, v16, 0
	v_fma_mixlo_f16 v15, s4, v17, 0
	s_wait_loadcnt 0x1
	;; [unrolled: 5-line block ×3, first 2 shown]
	v_fma_mixlo_f16 v20, s4, v22, 0
	v_fma_mixlo_f16 v21, s4, v23, 0
	;; [unrolled: 1-line block ×3, first 2 shown]
	v_lshlrev_b32_e32 v7, 16, v7
	v_and_b32_e32 v6, 0xffff, v6
	v_dual_lshlrev_b32 v11, 16, v11 :: v_dual_lshlrev_b32 v13, 16, v13
	v_and_b32_e32 v10, 0xffff, v10
	v_and_b32_e32 v12, 0xffff, v12
	v_fma_mixlo_f16 v22, s4, v24, 0
	v_dual_lshlrev_b32 v15, 16, v15 :: v_dual_lshlrev_b32 v17, 16, v17
	v_and_b32_e32 v14, 0xffff, v14
	v_and_b32_e32 v16, 0xffff, v16
	v_dual_lshlrev_b32 v19, 16, v19 :: v_dual_lshlrev_b32 v21, 16, v21
	v_and_b32_e32 v20, 0xffff, v20
	v_dual_lshlrev_b32 v23, 16, v23 :: v_dual_bitop2_b32 v6, v7, v6 bitop3:0x54
	v_or3_b32 v7, v11, v10, 0
	v_or_b32_e32 v10, v13, v12
	v_and_b32_e32 v18, 0xffff, v18
	v_and_b32_e32 v22, 0xffff, v22
	v_or3_b32 v11, v15, v14, 0
	v_or_b32_e32 v12, v17, v16
	v_or_b32_e32 v14, v21, v20
	v_or3_b32 v6, 0, 0, v6
	v_or3_b32 v10, 0, 0, v10
	;; [unrolled: 1-line block ×6, first 2 shown]
	ds_store_2addr_b64 v26, v[6:7], v[10:11] offset1:32
	ds_store_2addr_b64 v26, v[12:13], v[14:15] offset0:64 offset1:96
	s_and_saveexec_b32 s5, vcc_lo
	s_cbranch_execz .LBB23_4
; %bb.3:
	global_load_b128 v[4:7], v[4:5], off offset:2048
	s_wait_loadcnt 0x0
	v_fma_mixlo_f16 v10, s4, v4, 0
	v_mov_b32_e32 v4, v7
	s_delay_alu instid0(VALU_DEP_1) | instskip(NEXT) | instid1(VALU_DEP_1)
	v_pk_mul_f32 v[4:5], s[4:5], v[4:5] op_sel_hi:[0,1]
	v_cvt_pk_f16_f32 v4, v4, v5
	v_fma_mixlo_f16 v5, s4, v6, 0
	v_and_b32_e32 v6, 0xffff, v10
	s_delay_alu instid0(VALU_DEP_3) | instskip(NEXT) | instid1(VALU_DEP_3)
	v_and_b32_e32 v7, 0xffff0000, v4
	v_and_b32_e32 v5, 0xffff, v5
	s_delay_alu instid0(VALU_DEP_2) | instskip(NEXT) | instid1(VALU_DEP_1)
	v_dual_lshlrev_b32 v4, 16, v4 :: v_dual_bitop2_b32 v6, v7, v6 bitop3:0x54
	v_or3_b32 v5, v4, v5, 0
	s_delay_alu instid0(VALU_DEP_2)
	v_or3_b32 v4, 0, 0, v6
	v_add_nc_u32_e32 v6, v76, v77
	ds_store_b64 v6, v[4:5] offset:1024
.LBB23_4:
	s_or_b32 exec_lo, exec_lo, s5
	v_bitop3_b32 v4, v9, 13, 1 bitop3:0xc8
	v_dual_mov_b32 v5, v3 :: v_dual_bitop2_b32 v3, 1, v9 bitop3:0x54
	s_delay_alu instid0(VALU_DEP_1) | instskip(NEXT) | instid1(VALU_DEP_2)
	v_mul_u64_e32 v[4:5], s[10:11], v[4:5]
	v_mul_u32_u24_e32 v26, 0x480, v3
	v_mad_u32_u24 v27, 0x480, v3, v76
	s_delay_alu instid0(VALU_DEP_3)
	v_lshl_add_u64 v[4:5], v[4:5], 2, v[0:1]
	s_clause 0x3
	global_load_b128 v[10:13], v[4:5], off
	global_load_b128 v[14:17], v[4:5], off offset:512
	global_load_b128 v[18:21], v[4:5], off offset:1024
	;; [unrolled: 1-line block ×3, first 2 shown]
	s_wait_loadcnt 0x3
	v_fma_mixlo_f16 v3, s4, v10, 0
	v_fma_mixlo_f16 v6, s4, v11, 0
	;; [unrolled: 1-line block ×4, first 2 shown]
	s_wait_loadcnt 0x2
	v_fma_mixlo_f16 v11, s4, v14, 0
	v_fma_mixlo_f16 v12, s4, v15, 0
	;; [unrolled: 1-line block ×4, first 2 shown]
	s_wait_loadcnt 0x1
	v_fma_mixlo_f16 v15, s4, v18, 0
	v_fma_mixlo_f16 v16, s4, v19, 0
	;; [unrolled: 1-line block ×3, first 2 shown]
	s_wait_loadcnt 0x0
	v_fma_mixlo_f16 v19, s4, v22, 0
	v_fma_mixlo_f16 v20, s4, v23, 0
	;; [unrolled: 1-line block ×4, first 2 shown]
	v_dual_lshlrev_b32 v6, 16, v6 :: v_dual_lshlrev_b32 v12, 16, v12
	v_and_b32_e32 v3, 0xffff, v3
	v_dual_lshlrev_b32 v10, 16, v10 :: v_dual_lshlrev_b32 v16, 16, v16
	v_and_b32_e32 v7, 0xffff, v7
	v_and_b32_e32 v11, 0xffff, v11
	v_fma_mixlo_f16 v21, s4, v24, 0
	v_dual_lshlrev_b32 v14, 16, v14 :: v_dual_lshlrev_b32 v20, 16, v20
	v_and_b32_e32 v13, 0xffff, v13
	v_and_b32_e32 v15, 0xffff, v15
	;; [unrolled: 1-line block ×3, first 2 shown]
	v_dual_lshlrev_b32 v18, 16, v18 :: v_dual_bitop2_b32 v3, v6, v3 bitop3:0x54
	v_lshlrev_b32_e32 v22, 16, v22
	v_or3_b32 v7, v10, v7, 0
	v_or_b32_e32 v10, v12, v11
	v_and_b32_e32 v17, 0xffff, v17
	v_and_b32_e32 v21, 0xffff, v21
	v_or3_b32 v11, v14, v13, 0
	v_or_b32_e32 v12, v16, v15
	v_or_b32_e32 v14, v20, v19
	v_or3_b32 v6, 0, 0, v3
	v_or3_b32 v10, 0, 0, v10
	v_add_nc_u32_e32 v3, v76, v26
	v_or3_b32 v13, v18, v17, 0
	v_or3_b32 v15, v22, v21, 0
	;; [unrolled: 1-line block ×4, first 2 shown]
	ds_store_2addr_b64 v27, v[6:7], v[10:11] offset1:32
	ds_store_2addr_b64 v27, v[12:13], v[14:15] offset0:64 offset1:96
	s_and_saveexec_b32 s5, vcc_lo
	s_cbranch_execz .LBB23_6
; %bb.5:
	global_load_b128 v[4:7], v[4:5], off offset:2048
	s_wait_loadcnt 0x0
	v_fma_mixlo_f16 v10, s4, v4, 0
	v_mov_b32_e32 v4, v7
	s_delay_alu instid0(VALU_DEP_1) | instskip(NEXT) | instid1(VALU_DEP_1)
	v_pk_mul_f32 v[4:5], s[4:5], v[4:5] op_sel_hi:[0,1]
	v_cvt_pk_f16_f32 v4, v4, v5
	v_fma_mixlo_f16 v5, s4, v6, 0
	v_and_b32_e32 v6, 0xffff, v10
	s_delay_alu instid0(VALU_DEP_3) | instskip(NEXT) | instid1(VALU_DEP_3)
	v_and_b32_e32 v7, 0xffff0000, v4
	v_and_b32_e32 v5, 0xffff, v5
	s_delay_alu instid0(VALU_DEP_2) | instskip(NEXT) | instid1(VALU_DEP_1)
	v_dual_lshlrev_b32 v4, 16, v4 :: v_dual_bitop2_b32 v6, v7, v6 bitop3:0x54
	v_or3_b32 v5, v4, v5, 0
	s_delay_alu instid0(VALU_DEP_2)
	v_or3_b32 v4, 0, 0, v6
	ds_store_b64 v3, v[4:5] offset:1024
.LBB23_6:
	s_or_b32 exec_lo, exec_lo, s5
	v_bitop3_b32 v4, v9, 14, 2 bitop3:0xc8
	v_mov_b32_e32 v5, 0
	s_delay_alu instid0(VALU_DEP_1) | instskip(NEXT) | instid1(VALU_DEP_1)
	v_mul_u64_e32 v[6:7], s[10:11], v[4:5]
	v_lshl_add_u64 v[6:7], v[6:7], 2, v[0:1]
	s_clause 0x3
	global_load_b128 v[10:13], v[6:7], off
	global_load_b128 v[14:17], v[6:7], off offset:512
	global_load_b128 v[18:21], v[6:7], off offset:1024
	;; [unrolled: 1-line block ×3, first 2 shown]
	s_wait_loadcnt 0x3
	v_fma_mixlo_f16 v4, s4, v10, 0
	v_fma_mixlo_f16 v10, s4, v11, 0
	v_fma_mixlo_f16 v11, s4, v12, 0
	v_fma_mixlo_f16 v12, s4, v13, 0
	s_wait_loadcnt 0x2
	v_fma_mixlo_f16 v13, s4, v14, 0
	v_fma_mixlo_f16 v14, s4, v15, 0
	v_fma_mixlo_f16 v15, s4, v16, 0
	v_fma_mixlo_f16 v16, s4, v17, 0
	;; [unrolled: 5-line block ×4, first 2 shown]
	v_lshlrev_b32_e32 v10, 16, v10
	v_and_b32_e32 v4, 0xffff, v4
	v_dual_lshlrev_b32 v12, 16, v12 :: v_dual_lshlrev_b32 v14, 16, v14
	v_and_b32_e32 v11, 0xffff, v11
	v_and_b32_e32 v13, 0xffff, v13
	v_dual_lshlrev_b32 v16, 16, v16 :: v_dual_lshlrev_b32 v18, 16, v18
	v_and_b32_e32 v15, 0xffff, v15
	;; [unrolled: 3-line block ×3, first 2 shown]
	v_lshlrev_b32_e32 v24, 16, v24
	v_or_b32_e32 v4, v10, v4
	v_or3_b32 v11, v12, v11, 0
	v_or_b32_e32 v12, v14, v13
	v_and_b32_e32 v19, 0xffff, v19
	v_and_b32_e32 v23, 0xffff, v23
	v_or3_b32 v13, v16, v15, 0
	v_or_b32_e32 v14, v18, v17
	v_or_b32_e32 v16, v22, v21
	v_or3_b32 v10, 0, 0, v4
	v_or3_b32 v12, 0, 0, v12
	;; [unrolled: 1-line block ×6, first 2 shown]
	ds_store_2addr_b64 v3, v[10:11], v[12:13] offset0:144 offset1:176
	ds_store_2addr_b64 v3, v[14:15], v[16:17] offset0:208 offset1:240
	s_and_saveexec_b32 s5, vcc_lo
	s_cbranch_execz .LBB23_8
; %bb.7:
	global_load_b128 v[10:13], v[6:7], off offset:2048
	s_wait_loadcnt 0x0
	v_fma_mixlo_f16 v4, s4, v10, 0
	v_mov_b32_e32 v10, v13
	s_delay_alu instid0(VALU_DEP_2) | instskip(NEXT) | instid1(VALU_DEP_2)
	v_and_b32_e32 v4, 0xffff, v4
	v_pk_mul_f32 v[6:7], s[4:5], v[10:11] op_sel_hi:[0,1]
	s_delay_alu instid0(VALU_DEP_1) | instskip(SKIP_1) | instid1(VALU_DEP_2)
	v_cvt_pk_f16_f32 v6, v6, v7
	v_fma_mixlo_f16 v7, s4, v12, 0
	v_and_b32_e32 v10, 0xffff0000, v6
	s_delay_alu instid0(VALU_DEP_2) | instskip(NEXT) | instid1(VALU_DEP_2)
	v_and_b32_e32 v7, 0xffff, v7
	v_dual_lshlrev_b32 v6, 16, v6 :: v_dual_bitop2_b32 v4, v10, v4 bitop3:0x54
	s_delay_alu instid0(VALU_DEP_1) | instskip(NEXT) | instid1(VALU_DEP_2)
	v_or3_b32 v7, v6, v7, 0
	v_or3_b32 v6, 0, 0, v4
	ds_store_b64 v3, v[6:7] offset:2176
.LBB23_8:
	s_or_b32 exec_lo, exec_lo, s5
	v_bitop3_b32 v4, v9, 15, 3 bitop3:0xc8
	v_add_nc_u32_e32 v22, 0x800, v3
	s_delay_alu instid0(VALU_DEP_2) | instskip(NEXT) | instid1(VALU_DEP_1)
	v_mul_u64_e32 v[4:5], s[10:11], v[4:5]
	v_lshl_add_u64 v[0:1], v[4:5], 2, v[0:1]
	s_clause 0x3
	global_load_b128 v[4:7], v[0:1], off
	global_load_b128 v[10:13], v[0:1], off offset:512
	global_load_b128 v[14:17], v[0:1], off offset:1024
	;; [unrolled: 1-line block ×3, first 2 shown]
	s_wait_loadcnt 0x3
	v_fma_mixlo_f16 v4, s4, v4, 0
	v_fma_mixlo_f16 v5, s4, v5, 0
	;; [unrolled: 1-line block ×4, first 2 shown]
	s_wait_loadcnt 0x2
	v_fma_mixlo_f16 v10, s4, v10, 0
	v_fma_mixlo_f16 v11, s4, v11, 0
	;; [unrolled: 1-line block ×4, first 2 shown]
	s_wait_loadcnt 0x1
	v_fma_mixlo_f16 v14, s4, v14, 0
	v_fma_mixlo_f16 v15, s4, v15, 0
	s_wait_loadcnt 0x0
	v_fma_mixlo_f16 v18, s4, v18, 0
	v_fma_mixlo_f16 v19, s4, v19, 0
	v_dual_lshlrev_b32 v5, 16, v5 :: v_dual_lshlrev_b32 v7, 16, v7
	v_and_b32_e32 v4, 0xffff, v4
	v_and_b32_e32 v6, 0xffff, v6
	v_dual_lshlrev_b32 v11, 16, v11 :: v_dual_lshlrev_b32 v13, 16, v13
	v_and_b32_e32 v10, 0xffff, v10
	v_fma_mixlo_f16 v16, s4, v16, 0
	v_fma_mixlo_f16 v17, s4, v17, 0
	;; [unrolled: 1-line block ×4, first 2 shown]
	v_and_b32_e32 v12, 0xffff, v12
	s_delay_alu instid0(VALU_DEP_4) | instskip(SKIP_1) | instid1(VALU_DEP_4)
	v_dual_lshlrev_b32 v15, 16, v15 :: v_dual_lshlrev_b32 v17, 16, v17
	v_and_b32_e32 v14, 0xffff, v14
	v_dual_lshlrev_b32 v19, 16, v19 :: v_dual_lshlrev_b32 v21, 16, v21
	v_and_b32_e32 v18, 0xffff, v18
	v_or_b32_e32 v4, v5, v4
	v_or3_b32 v5, v7, v6, 0
	v_or_b32_e32 v6, v11, v10
	v_and_b32_e32 v16, 0xffff, v16
	v_and_b32_e32 v20, 0xffff, v20
	v_or3_b32 v7, v13, v12, 0
	v_or_b32_e32 v10, v15, v14
	v_or_b32_e32 v12, v19, v18
	v_or3_b32 v4, 0, 0, v4
	v_or3_b32 v6, 0, 0, v6
	;; [unrolled: 1-line block ×6, first 2 shown]
	ds_store_2addr_b64 v22, v[4:5], v[6:7] offset0:32 offset1:64
	ds_store_2addr_b64 v22, v[10:11], v[12:13] offset0:96 offset1:128
	s_and_saveexec_b32 s5, vcc_lo
	s_cbranch_execz .LBB23_10
; %bb.9:
	global_load_b128 v[4:7], v[0:1], off offset:2048
	s_wait_loadcnt 0x0
	v_fma_mixlo_f16 v10, s4, v4, 0
	v_mov_b32_e32 v4, v7
	s_delay_alu instid0(VALU_DEP_1) | instskip(NEXT) | instid1(VALU_DEP_3)
	v_pk_mul_f32 v[0:1], s[4:5], v[4:5] op_sel_hi:[0,1]
	v_and_b32_e32 v4, 0xffff, v10
	s_delay_alu instid0(VALU_DEP_2) | instskip(SKIP_1) | instid1(VALU_DEP_2)
	v_cvt_pk_f16_f32 v0, v0, v1
	v_fma_mixlo_f16 v1, s4, v6, 0
	v_and_b32_e32 v5, 0xffff0000, v0
	s_delay_alu instid0(VALU_DEP_2) | instskip(SKIP_1) | instid1(VALU_DEP_3)
	v_and_b32_e32 v1, 0xffff, v1
	v_lshlrev_b32_e32 v0, 16, v0
	v_or_b32_e32 v4, v5, v4
	s_delay_alu instid0(VALU_DEP_2) | instskip(NEXT) | instid1(VALU_DEP_2)
	v_or3_b32 v1, v0, v1, 0
	v_or3_b32 v0, 0, 0, v4
	ds_store_b64 v3, v[0:1] offset:3328
.LBB23_10:
	s_or_b32 exec_lo, exec_lo, s5
	s_cmp_eq_u64 s[14:15], 0
	s_wait_dscnt 0x0
	s_barrier_signal -1
	s_barrier_wait -1
	s_cbranch_scc1 .LBB23_12
; %bb.11:
	s_load_b32 s4, s[0:1], 0xd0
	s_wait_kmcnt 0x0
	s_mul_i32 s4, s4, s2
	s_delay_alu instid0(SALU_CYCLE_1)
	s_add_co_i32 s4, s4, s26
	s_load_b32 s28, s[14:15], s4 offset:0x0 scale_offset
.LBB23_12:
	s_wait_xcnt 0x0
	s_bfe_u32 s4, ttmp6, 0x40010
	s_and_b32 s5, ttmp7, 0xffff
	s_add_co_i32 s4, s4, 1
	s_bfe_u32 s10, ttmp6, 0x40004
	s_mul_i32 s4, s5, s4
	v_lshlrev_b32_e32 v75, 2, v33
	s_add_co_i32 s10, s10, s4
	s_cmp_eq_u32 s24, 0
	v_mbcnt_lo_u32_b32 v79, -1, 0
	s_cselect_b32 s29, s5, s10
	s_mov_b32 s5, 0
	s_lshl_b32 s4, s29, 7
	s_wait_kmcnt 0x0
	s_cmp_lt_i32 s4, s28
	s_cbranch_scc1 .LBB23_15
; %bb.13:
	v_mbcnt_lo_u32_b32 v4, -1, 0
	s_delay_alu instid0(VALU_DEP_1)
	v_dual_mov_b32 v78, 32 :: v_dual_bitop2_b32 v95, 16, v4 bitop3:0x14
	v_xor_b32_e32 v94, 8, v4
	v_xor_b32_e32 v93, 4, v4
	;; [unrolled: 1-line block ×4, first 2 shown]
	s_and_not1_b32 vcc_lo, exec_lo, s5
	s_mov_b32 s11, 0
	s_cbranch_vccz .LBB23_16
; %bb.14:
	v_dual_mov_b32 v106, 0 :: v_dual_mov_b32 v35, 0
	v_dual_mov_b32 v3, 0xfeffffff :: v_dual_mov_b32 v2, 0xfeffffff
	;; [unrolled: 1-line block ×3, first 2 shown]
	s_delay_alu instid0(VALU_DEP_3)
	v_dual_mov_b32 v34, v35 :: v_dual_mov_b32 v37, v35
	v_dual_mov_b32 v36, v35 :: v_dual_mov_b32 v115, 0
	;; [unrolled: 1-line block ×17, first 2 shown]
	s_branch .LBB23_88
.LBB23_15:
                                        ; implicit-def: $vgpr4
                                        ; implicit-def: $vgpr78
                                        ; implicit-def: $vgpr95
                                        ; implicit-def: $vgpr94
                                        ; implicit-def: $vgpr93
                                        ; implicit-def: $vgpr92
                                        ; implicit-def: $vgpr91
	s_mov_b32 s11, 0
.LBB23_16:
	s_mul_f32 s5, s25, 0x4f7ffffe
	s_clause 0x1
	s_load_b128 s[24:27], s[0:1], 0x98
	s_load_b64 s[20:21], s[0:1], 0x8c
	s_sub_co_i32 s10, 0, s38
	s_ashr_i32 s40, s3, 31
	s_cvt_u32_f32 s5, s5
	s_abs_i32 s34, s33
	s_mov_b32 s15, s35
	s_ashr_i32 s39, s33, 31
	s_mul_i32 s10, s10, s5
	v_dual_mov_b32 v100, 0 :: v_dual_mov_b32 v99, 0
	s_mul_hi_u32 s3, s5, s10
	s_ashr_i32 s10, s37, 1
	s_load_b64 s[36:37], s[0:1], 0xa8
	s_add_co_i32 s14, s5, s3
	s_ashr_i32 s3, s2, 31
	s_mul_u64 s[14:15], s[34:35], s[14:15]
	s_xor_b32 s35, s39, s40
	s_mul_i32 s5, s15, s38
	v_mad_u32 v85, v2, s10, v33
	s_sub_co_i32 s5, s34, s5
	s_wait_kmcnt 0x0
	s_ashr_i32 s14, s26, 2
	s_ashr_i32 s20, s20, 2
	s_add_co_i32 s26, s15, 1
	s_sub_co_i32 s34, s5, s38
	s_cmp_ge_u32 s5, s38
	s_mul_u64 s[24:25], s[24:25], s[2:3]
	s_cselect_b32 s15, s26, s15
	s_cselect_b32 s5, s34, s5
	s_add_co_i32 s26, s15, 1
	s_cmp_ge_u32 s5, s38
	s_load_b32 s34, s[0:1], 0x54
	s_cselect_b32 s5, s26, s15
	s_mul_u64 s[36:37], s[36:37], s[2:3]
	s_lshl_b32 s3, s20, 5
	v_lshrrev_b32_e32 v0, 3, v33
	v_mul_lo_u32 v12, s14, v8
	s_xor_b32 s5, s5, s35
	s_add_nc_u64 s[6:7], s[6:7], s[24:25]
	s_sub_co_i32 s5, s5, s35
	v_dual_add_nc_u32 v1, v0, v9 :: v_dual_bitop2_b32 v0, 28, v75 bitop3:0x40
	v_mov_b32_e32 v39, 0
	s_mul_i32 s24, s5, s21
	s_mul_i32 s26, s5, s27
	s_delay_alu instid0(VALU_DEP_2) | instskip(SKIP_4) | instid1(VALU_DEP_3)
	v_mul_lo_u32 v4, s20, v1
	v_lshlrev_b32_e32 v3, 2, v0
	v_lshl_add_u32 v2, s14, 3, v12
	s_mov_b32 s5, 0x9000
	v_dual_lshlrev_b32 v42, 2, v0 :: v_dual_mov_b32 v30, 0
	v_mad_u32_u24 v1, 0x90, v1, v3
	v_mad_u32_u24 v84, 0x90, v33, s5
	v_dual_mov_b32 v43, v39 :: v_dual_mov_b32 v78, 32
	s_delay_alu instid0(VALU_DEP_3) | instskip(SKIP_4) | instid1(VALU_DEP_4)
	v_dual_mov_b32 v25, 0 :: v_dual_add_nc_u32 v82, 0xb400, v1
	v_dual_add_nc_u32 v6, s3, v4 :: v_dual_ashrrev_i32 v5, 31, v4
	v_lshlrev_b32_e32 v3, 10, v8
	v_add_nc_u32_e32 v80, 0x9000, v1
	v_add_nc_u32_e32 v81, 0xa200, v1
	v_dual_add_nc_u32 v10, s3, v6 :: v_dual_ashrrev_i32 v7, 31, v6
	v_dual_mov_b32 v26, 0 :: v_dual_add_nc_u32 v83, 0xc600, v1
	v_lshl_add_u32 v1, v75, 2, v3
	s_delay_alu instid0(VALU_DEP_3) | instskip(SKIP_1) | instid1(VALU_DEP_2)
	v_dual_add_nc_u32 v14, s3, v10 :: v_dual_ashrrev_i32 v11, 31, v10
	v_dual_mov_b32 v27, 0 :: v_dual_add_nc_u32 v86, 0xd800, v3
	v_dual_ashrrev_i32 v13, 31, v12 :: v_dual_ashrrev_i32 v15, 31, v14
	v_dual_mov_b32 v54, 0xfeffffff :: v_dual_ashrrev_i32 v3, 31, v2
	v_lshlrev_b64_e32 v[40:41], 2, v[4:5]
	v_lshlrev_b64_e32 v[44:45], 2, v[6:7]
	;; [unrolled: 1-line block ×6, first 2 shown]
	v_dual_mov_b32 v24, 0 :: v_dual_add_nc_u32 v87, 0x9000, v1
	v_dual_mov_b32 v29, 0 :: v_dual_add_nc_u32 v88, 0x9200, v1
	;; [unrolled: 1-line block ×4, first 2 shown]
	v_dual_mov_b32 v98, 0 :: v_dual_mov_b32 v97, 0
	v_dual_mov_b32 v102, 0 :: v_dual_mov_b32 v101, 0
	;; [unrolled: 1-line block ×14, first 2 shown]
	v_mov_b32_e32 v35, v39
	s_ashr_i32 s25, s24, 31
	s_add_nc_u64 s[8:9], s[8:9], s[36:37]
	s_ashr_i32 s27, s26, 31
	s_add_nc_u64 s[6:7], s[6:7], s[24:25]
	s_add_nc_u64 s[8:9], s[8:9], s[26:27]
	s_ashr_i32 s21, s20, 31
	s_ashr_i32 s15, s14, 31
	s_add_nc_u64 s[24:25], s[0:1], 0xd0
	s_mov_b32 s3, 0xbbbac73d
.LBB23_17:                              ; =>This Loop Header: Depth=1
                                        ;     Child Loop BB23_19 Depth 2
	s_ashr_i32 s5, s4, 31
	v_dual_mov_b32 v56, 0 :: v_dual_mov_b32 v73, 0
	s_mul_u64 s[26:27], s[4:5], s[20:21]
	v_dual_mov_b32 v67, 0 :: v_dual_mov_b32 v60, 0
	v_dual_mov_b32 v57, 0 :: v_dual_mov_b32 v117, 0
	;; [unrolled: 1-line block ×7, first 2 shown]
	s_lshl_b64 s[26:27], s[26:27], 2
	s_mov_b32 s35, 0
	s_add_nc_u64 s[26:27], s[6:7], s[26:27]
	s_branch .LBB23_19
.LBB23_18:                              ;   in Loop: Header=BB23_19 Depth=2
	s_and_not1_b32 vcc_lo, exec_lo, s10
	s_cbranch_vccz .LBB23_21
.LBB23_19:                              ;   Parent Loop BB23_17 Depth=1
                                        ; =>  This Inner Loop Header: Depth=2
	s_lshr_b32 s10, s35, 1
	s_add_co_i32 s38, s35, 64
	s_lshl_b64 s[36:37], s[10:11], 2
	s_lshr_b32 s10, s38, 1
	s_add_nc_u64 s[36:37], s[26:27], s[36:37]
	s_delay_alu instid0(SALU_CYCLE_1) | instskip(SKIP_4) | instid1(SALU_CYCLE_1)
	v_add_nc_u64_e32 v[0:1], s[36:37], v[40:41]
	v_add_nc_u64_e32 v[2:3], s[36:37], v[44:45]
	;; [unrolled: 1-line block ×4, first 2 shown]
	s_lshl_b64 s[36:37], s[10:11], 2
	s_add_nc_u64 s[36:37], s[26:27], s[36:37]
	s_delay_alu instid0(VALU_DEP_4) | instskip(NEXT) | instid1(VALU_DEP_4)
	v_add_nc_u64_e32 v[16:17], v[0:1], v[42:43]
	v_add_nc_u64_e32 v[18:19], v[2:3], v[42:43]
	s_delay_alu instid0(VALU_DEP_4) | instskip(NEXT) | instid1(VALU_DEP_4)
	v_add_nc_u64_e32 v[20:21], v[4:5], v[42:43]
	v_add_nc_u64_e32 v[22:23], v[6:7], v[42:43]
	s_clause 0x3
	global_load_b128 v[0:3], v[16:17], off
	global_load_b128 v[4:7], v[18:19], off
	;; [unrolled: 1-line block ×4, first 2 shown]
	s_wait_xcnt 0x1
	v_lshl_add_u32 v20, s35, 1, v77
	s_wait_xcnt 0x0
	v_add_nc_u64_e32 v[22:23], s[36:37], v[40:41]
	s_wait_loadcnt 0x3
	ds_store_b128 v80, v[0:3]
	s_wait_loadcnt 0x2
	ds_store_b128 v81, v[4:7]
	;; [unrolled: 2-line block ×4, first 2 shown]
	s_wait_dscnt 0x0
	s_barrier_signal -1
	s_barrier_wait -1
	ds_load_b128 v[0:3], v84
	ds_load_b128 v[4:7], v20
	ds_load_b128 v[8:11], v20 offset:1152
	ds_load_b128 v[12:15], v20 offset:2304
	;; [unrolled: 1-line block ×6, first 2 shown]
	s_wait_dscnt 0x6
	;;#ASMSTART
	v_dot2_f32_f16 v56, v0, v4, v56
	;;#ASMEND
	;;#ASMSTART
	v_dot2_f32_f16 v56, v1, v5, v56
	;;#ASMEND
	;;#ASMSTART
	v_dot2_f32_f16 v56, v2, v6, v56
	;;#ASMEND
	;;#ASMSTART
	v_dot2_f32_f16 v56, v3, v7, v56
	;;#ASMEND
	s_wait_dscnt 0x5
	;;#ASMSTART
	v_dot2_f32_f16 v73, v0, v8, v73
	;;#ASMEND
	;;#ASMSTART
	v_dot2_f32_f16 v73, v1, v9, v73
	;;#ASMEND
	;;#ASMSTART
	v_dot2_f32_f16 v73, v2, v10, v73
	;;#ASMEND
	;;#ASMSTART
	v_dot2_f32_f16 v73, v3, v11, v73
	;;#ASMEND
	;; [unrolled: 13-line block ×5, first 2 shown]
	;;#ASMSTART
	v_dot2_f32_f16 v117, v92, v8, v117
	;;#ASMEND
	;;#ASMSTART
	v_dot2_f32_f16 v117, v93, v9, v117
	;;#ASMEND
	;; [unrolled: 3-line block ×12, first 2 shown]
	s_wait_dscnt 0x1
	;;#ASMSTART
	v_dot2_f32_f16 v58, v118, v4, v58
	;;#ASMEND
	;;#ASMSTART
	v_dot2_f32_f16 v58, v119, v5, v58
	;;#ASMEND
	;; [unrolled: 3-line block ×16, first 2 shown]
	s_wait_dscnt 0x0
	;;#ASMSTART
	v_dot2_f32_f16 v91, v122, v4, v91
	;;#ASMEND
	;;#ASMSTART
	v_dot2_f32_f16 v91, v123, v5, v91
	;;#ASMEND
	;; [unrolled: 3-line block ×16, first 2 shown]
	ds_load_b128 v[0:3], v84 offset:16
	ds_load_b128 v[4:7], v20 offset:16
	;; [unrolled: 1-line block ×8, first 2 shown]
	s_wait_dscnt 0x6
	;;#ASMSTART
	v_dot2_f32_f16 v56, v0, v4, v56
	;;#ASMEND
	;;#ASMSTART
	v_dot2_f32_f16 v56, v1, v5, v56
	;;#ASMEND
	;;#ASMSTART
	v_dot2_f32_f16 v56, v2, v6, v56
	;;#ASMEND
	;;#ASMSTART
	v_dot2_f32_f16 v56, v3, v7, v56
	;;#ASMEND
	s_wait_dscnt 0x5
	;;#ASMSTART
	v_dot2_f32_f16 v73, v0, v8, v73
	;;#ASMEND
	;;#ASMSTART
	v_dot2_f32_f16 v73, v1, v9, v73
	;;#ASMEND
	;;#ASMSTART
	v_dot2_f32_f16 v73, v2, v10, v73
	;;#ASMEND
	;;#ASMSTART
	v_dot2_f32_f16 v73, v3, v11, v73
	;;#ASMEND
	;; [unrolled: 13-line block ×5, first 2 shown]
	;;#ASMSTART
	v_dot2_f32_f16 v117, v92, v8, v117
	;;#ASMEND
	;;#ASMSTART
	v_dot2_f32_f16 v117, v93, v9, v117
	;;#ASMEND
	;; [unrolled: 3-line block ×12, first 2 shown]
	s_wait_dscnt 0x1
	;;#ASMSTART
	v_dot2_f32_f16 v58, v118, v4, v58
	;;#ASMEND
	;;#ASMSTART
	v_dot2_f32_f16 v58, v119, v5, v58
	;;#ASMEND
	;; [unrolled: 3-line block ×16, first 2 shown]
	s_wait_dscnt 0x0
	;;#ASMSTART
	v_dot2_f32_f16 v91, v122, v4, v91
	;;#ASMEND
	;;#ASMSTART
	v_dot2_f32_f16 v91, v123, v5, v91
	;;#ASMEND
	;; [unrolled: 3-line block ×16, first 2 shown]
	ds_load_b128 v[0:3], v84 offset:32
	ds_load_b128 v[4:7], v20 offset:32
	;; [unrolled: 1-line block ×8, first 2 shown]
	s_wait_dscnt 0x6
	;;#ASMSTART
	v_dot2_f32_f16 v56, v0, v4, v56
	;;#ASMEND
	;;#ASMSTART
	v_dot2_f32_f16 v56, v1, v5, v56
	;;#ASMEND
	;;#ASMSTART
	v_dot2_f32_f16 v56, v2, v6, v56
	;;#ASMEND
	;;#ASMSTART
	v_dot2_f32_f16 v56, v3, v7, v56
	;;#ASMEND
	s_wait_dscnt 0x5
	;;#ASMSTART
	v_dot2_f32_f16 v73, v0, v8, v73
	;;#ASMEND
	;;#ASMSTART
	v_dot2_f32_f16 v73, v1, v9, v73
	;;#ASMEND
	;;#ASMSTART
	v_dot2_f32_f16 v73, v2, v10, v73
	;;#ASMEND
	;;#ASMSTART
	v_dot2_f32_f16 v73, v3, v11, v73
	;;#ASMEND
	;; [unrolled: 13-line block ×5, first 2 shown]
	;;#ASMSTART
	v_dot2_f32_f16 v117, v92, v8, v117
	;;#ASMEND
	;;#ASMSTART
	v_dot2_f32_f16 v117, v93, v9, v117
	;;#ASMEND
	;; [unrolled: 3-line block ×12, first 2 shown]
	s_wait_dscnt 0x1
	;;#ASMSTART
	v_dot2_f32_f16 v58, v118, v4, v58
	;;#ASMEND
	;;#ASMSTART
	v_dot2_f32_f16 v58, v119, v5, v58
	;;#ASMEND
	;; [unrolled: 3-line block ×16, first 2 shown]
	s_wait_dscnt 0x0
	;;#ASMSTART
	v_dot2_f32_f16 v91, v122, v4, v91
	;;#ASMEND
	;;#ASMSTART
	v_dot2_f32_f16 v91, v123, v5, v91
	;;#ASMEND
	;; [unrolled: 3-line block ×16, first 2 shown]
	ds_load_b128 v[0:3], v84 offset:48
	ds_load_b128 v[4:7], v20 offset:48
	;; [unrolled: 1-line block ×8, first 2 shown]
	s_wait_dscnt 0x6
	;;#ASMSTART
	v_dot2_f32_f16 v56, v0, v4, v56
	;;#ASMEND
	;;#ASMSTART
	v_dot2_f32_f16 v56, v1, v5, v56
	;;#ASMEND
	;;#ASMSTART
	v_dot2_f32_f16 v56, v2, v6, v56
	;;#ASMEND
	;;#ASMSTART
	v_dot2_f32_f16 v56, v3, v7, v56
	;;#ASMEND
	s_wait_dscnt 0x5
	;;#ASMSTART
	v_dot2_f32_f16 v73, v0, v8, v73
	;;#ASMEND
	;;#ASMSTART
	v_dot2_f32_f16 v73, v1, v9, v73
	;;#ASMEND
	;;#ASMSTART
	v_dot2_f32_f16 v73, v2, v10, v73
	;;#ASMEND
	;;#ASMSTART
	v_dot2_f32_f16 v73, v3, v11, v73
	;;#ASMEND
	;; [unrolled: 13-line block ×5, first 2 shown]
	;;#ASMSTART
	v_dot2_f32_f16 v117, v92, v8, v117
	;;#ASMEND
	;;#ASMSTART
	v_dot2_f32_f16 v117, v93, v9, v117
	;;#ASMEND
	;; [unrolled: 3-line block ×12, first 2 shown]
	s_wait_dscnt 0x1
	;;#ASMSTART
	v_dot2_f32_f16 v58, v118, v4, v58
	;;#ASMEND
	;;#ASMSTART
	v_dot2_f32_f16 v58, v119, v5, v58
	;;#ASMEND
	;; [unrolled: 3-line block ×16, first 2 shown]
	s_wait_dscnt 0x0
	;;#ASMSTART
	v_dot2_f32_f16 v91, v122, v4, v91
	;;#ASMEND
	;;#ASMSTART
	v_dot2_f32_f16 v91, v123, v5, v91
	;;#ASMEND
	;; [unrolled: 3-line block ×16, first 2 shown]
	ds_load_b128 v[0:3], v84 offset:64
	ds_load_b128 v[4:7], v20 offset:64
	;; [unrolled: 1-line block ×8, first 2 shown]
	s_wait_dscnt 0x6
	;;#ASMSTART
	v_dot2_f32_f16 v56, v0, v4, v56
	;;#ASMEND
	;;#ASMSTART
	v_dot2_f32_f16 v56, v1, v5, v56
	;;#ASMEND
	;;#ASMSTART
	v_dot2_f32_f16 v56, v2, v6, v56
	;;#ASMEND
	;;#ASMSTART
	v_dot2_f32_f16 v56, v3, v7, v56
	;;#ASMEND
	s_wait_dscnt 0x5
	;;#ASMSTART
	v_dot2_f32_f16 v73, v0, v8, v73
	;;#ASMEND
	;;#ASMSTART
	v_dot2_f32_f16 v73, v1, v9, v73
	;;#ASMEND
	;;#ASMSTART
	v_dot2_f32_f16 v73, v2, v10, v73
	;;#ASMEND
	;;#ASMSTART
	v_dot2_f32_f16 v73, v3, v11, v73
	;;#ASMEND
	;; [unrolled: 13-line block ×5, first 2 shown]
	;;#ASMSTART
	v_dot2_f32_f16 v117, v92, v8, v117
	;;#ASMEND
	;;#ASMSTART
	v_dot2_f32_f16 v117, v93, v9, v117
	;;#ASMEND
	;; [unrolled: 3-line block ×12, first 2 shown]
	s_wait_dscnt 0x1
	;;#ASMSTART
	v_dot2_f32_f16 v58, v118, v4, v58
	;;#ASMEND
	;;#ASMSTART
	v_dot2_f32_f16 v58, v119, v5, v58
	;;#ASMEND
	;; [unrolled: 3-line block ×16, first 2 shown]
	s_wait_dscnt 0x0
	;;#ASMSTART
	v_dot2_f32_f16 v91, v122, v4, v91
	;;#ASMEND
	;;#ASMSTART
	v_dot2_f32_f16 v91, v123, v5, v91
	;;#ASMEND
	;; [unrolled: 3-line block ×16, first 2 shown]
	ds_load_b128 v[0:3], v84 offset:80
	ds_load_b128 v[4:7], v20 offset:80
	;; [unrolled: 1-line block ×8, first 2 shown]
	s_wait_dscnt 0x6
	;;#ASMSTART
	v_dot2_f32_f16 v56, v0, v4, v56
	;;#ASMEND
	;;#ASMSTART
	v_dot2_f32_f16 v56, v1, v5, v56
	;;#ASMEND
	;;#ASMSTART
	v_dot2_f32_f16 v56, v2, v6, v56
	;;#ASMEND
	;;#ASMSTART
	v_dot2_f32_f16 v56, v3, v7, v56
	;;#ASMEND
	s_wait_dscnt 0x5
	;;#ASMSTART
	v_dot2_f32_f16 v73, v0, v8, v73
	;;#ASMEND
	;;#ASMSTART
	v_dot2_f32_f16 v73, v1, v9, v73
	;;#ASMEND
	;;#ASMSTART
	v_dot2_f32_f16 v73, v2, v10, v73
	;;#ASMEND
	;;#ASMSTART
	v_dot2_f32_f16 v73, v3, v11, v73
	;;#ASMEND
	;; [unrolled: 13-line block ×5, first 2 shown]
	;;#ASMSTART
	v_dot2_f32_f16 v117, v92, v8, v117
	;;#ASMEND
	;;#ASMSTART
	v_dot2_f32_f16 v117, v93, v9, v117
	;;#ASMEND
	;; [unrolled: 3-line block ×12, first 2 shown]
	s_wait_dscnt 0x1
	;;#ASMSTART
	v_dot2_f32_f16 v58, v118, v4, v58
	;;#ASMEND
	;;#ASMSTART
	v_dot2_f32_f16 v58, v119, v5, v58
	;;#ASMEND
	;; [unrolled: 3-line block ×16, first 2 shown]
	s_wait_dscnt 0x0
	;;#ASMSTART
	v_dot2_f32_f16 v91, v122, v4, v91
	;;#ASMEND
	;;#ASMSTART
	v_dot2_f32_f16 v91, v123, v5, v91
	;;#ASMEND
	;; [unrolled: 3-line block ×16, first 2 shown]
	ds_load_b128 v[16:19], v84 offset:96
	ds_load_b128 v[0:3], v20 offset:96
	;; [unrolled: 1-line block ×8, first 2 shown]
	s_wait_dscnt 0x6
	;;#ASMSTART
	v_dot2_f32_f16 v56, v16, v0, v56
	;;#ASMEND
	;;#ASMSTART
	v_dot2_f32_f16 v56, v17, v1, v56
	;;#ASMEND
	;;#ASMSTART
	v_dot2_f32_f16 v56, v18, v2, v56
	;;#ASMEND
	;;#ASMSTART
	v_dot2_f32_f16 v56, v19, v3, v56
	;;#ASMEND
	s_wait_dscnt 0x5
	;;#ASMSTART
	v_dot2_f32_f16 v73, v16, v4, v73
	;;#ASMEND
	;;#ASMSTART
	v_dot2_f32_f16 v73, v17, v5, v73
	;;#ASMEND
	;;#ASMSTART
	v_dot2_f32_f16 v73, v18, v6, v73
	;;#ASMEND
	;;#ASMSTART
	v_dot2_f32_f16 v73, v19, v7, v73
	;;#ASMEND
	;; [unrolled: 13-line block ×5, first 2 shown]
	;;#ASMSTART
	v_dot2_f32_f16 v117, v92, v4, v117
	;;#ASMEND
	;;#ASMSTART
	v_dot2_f32_f16 v117, v93, v5, v117
	;;#ASMEND
	;; [unrolled: 3-line block ×12, first 2 shown]
	s_wait_dscnt 0x1
	;;#ASMSTART
	v_dot2_f32_f16 v58, v118, v0, v58
	;;#ASMEND
	;;#ASMSTART
	v_dot2_f32_f16 v58, v119, v1, v58
	;;#ASMEND
	;; [unrolled: 3-line block ×16, first 2 shown]
	s_wait_dscnt 0x0
	;;#ASMSTART
	v_dot2_f32_f16 v91, v122, v0, v91
	;;#ASMEND
	;;#ASMSTART
	v_dot2_f32_f16 v91, v123, v1, v91
	;;#ASMEND
	;;#ASMSTART
	v_dot2_f32_f16 v91, v124, v2, v91
	;;#ASMEND
	;;#ASMSTART
	v_dot2_f32_f16 v91, v125, v3, v91
	;;#ASMEND
	;;#ASMSTART
	v_dot2_f32_f16 v72, v122, v4, v72
	;;#ASMEND
	;;#ASMSTART
	v_dot2_f32_f16 v72, v123, v5, v72
	;;#ASMEND
	;;#ASMSTART
	v_dot2_f32_f16 v72, v124, v6, v72
	;;#ASMEND
	;;#ASMSTART
	v_dot2_f32_f16 v72, v125, v7, v72
	;;#ASMEND
	;;#ASMSTART
	v_dot2_f32_f16 v68, v122, v8, v68
	;;#ASMEND
	;;#ASMSTART
	v_dot2_f32_f16 v68, v123, v9, v68
	;;#ASMEND
	;;#ASMSTART
	v_dot2_f32_f16 v68, v124, v10, v68
	;;#ASMEND
	;;#ASMSTART
	v_dot2_f32_f16 v68, v125, v11, v68
	;;#ASMEND
	;;#ASMSTART
	v_dot2_f32_f16 v38, v122, v12, v38
	;;#ASMEND
	;;#ASMSTART
	v_dot2_f32_f16 v38, v123, v13, v38
	;;#ASMEND
	;;#ASMSTART
	v_dot2_f32_f16 v38, v124, v14, v38
	;;#ASMEND
	;;#ASMSTART
	v_dot2_f32_f16 v38, v125, v15, v38
	;;#ASMEND
	ds_load_b128 v[0:3], v84 offset:112
	ds_load_b128 v[4:7], v20 offset:112
	v_add_nc_u64_e32 v[92:93], s[36:37], v[44:45]
	v_add_nc_u64_e32 v[94:95], s[36:37], v[46:47]
	;; [unrolled: 1-line block ×3, first 2 shown]
	ds_load_b128 v[8:11], v20 offset:1264
	ds_load_b128 v[12:15], v20 offset:2416
	;; [unrolled: 1-line block ×3, first 2 shown]
	v_add_nc_u64_e32 v[122:123], v[22:23], v[42:43]
	v_add_nc_u64_e32 v[124:125], v[92:93], v[42:43]
	;; [unrolled: 1-line block ×3, first 2 shown]
	ds_load_b128 v[20:23], v84 offset:4720
	v_add_nc_u64_e32 v[128:129], v[118:119], v[42:43]
	ds_load_b128 v[92:95], v84 offset:9328
	ds_load_b128 v[118:121], v84 offset:13936
	s_wait_dscnt 0x6
	;;#ASMSTART
	v_dot2_f32_f16 v56, v0, v4, v56
	;;#ASMEND
	;;#ASMSTART
	v_dot2_f32_f16 v56, v1, v5, v56
	;;#ASMEND
	;;#ASMSTART
	v_dot2_f32_f16 v56, v2, v6, v56
	;;#ASMEND
	;;#ASMSTART
	v_dot2_f32_f16 v56, v3, v7, v56
	;;#ASMEND
	s_wait_dscnt 0x5
	;;#ASMSTART
	v_dot2_f32_f16 v73, v0, v8, v73
	;;#ASMEND
	;;#ASMSTART
	v_dot2_f32_f16 v73, v1, v9, v73
	;;#ASMEND
	;;#ASMSTART
	v_dot2_f32_f16 v73, v2, v10, v73
	;;#ASMEND
	;;#ASMSTART
	v_dot2_f32_f16 v73, v3, v11, v73
	;;#ASMEND
	;; [unrolled: 13-line block ×5, first 2 shown]
	;;#ASMSTART
	v_dot2_f32_f16 v117, v20, v8, v117
	;;#ASMEND
	;;#ASMSTART
	v_dot2_f32_f16 v117, v21, v9, v117
	;;#ASMEND
	;; [unrolled: 3-line block ×12, first 2 shown]
	s_wait_dscnt 0x1
	;;#ASMSTART
	v_dot2_f32_f16 v58, v92, v4, v58
	;;#ASMEND
	;;#ASMSTART
	v_dot2_f32_f16 v58, v93, v5, v58
	;;#ASMEND
	;; [unrolled: 3-line block ×16, first 2 shown]
	s_wait_dscnt 0x0
	;;#ASMSTART
	v_dot2_f32_f16 v91, v118, v4, v91
	;;#ASMEND
	;;#ASMSTART
	v_dot2_f32_f16 v91, v119, v5, v91
	;;#ASMEND
	;; [unrolled: 3-line block ×16, first 2 shown]
	s_barrier_signal -1
	s_barrier_wait -1
	s_clause 0x3
	global_load_b128 v[0:3], v[122:123], off
	global_load_b128 v[4:7], v[124:125], off
	global_load_b128 v[8:11], v[126:127], off
	global_load_b128 v[12:15], v[128:129], off
	v_lshl_add_u32 v20, s38, 1, v77
	s_add_co_i32 s38, s35, 0x80
	s_wait_loadcnt 0x3
	ds_store_b128 v80, v[0:3]
	s_wait_loadcnt 0x2
	ds_store_b128 v81, v[4:7]
	;; [unrolled: 2-line block ×4, first 2 shown]
	s_wait_dscnt 0x0
	s_barrier_signal -1
	s_barrier_wait -1
	ds_load_b128 v[0:3], v84
	ds_load_b128 v[4:7], v20
	ds_load_b128 v[8:11], v20 offset:1152
	ds_load_b128 v[12:15], v20 offset:2304
	;; [unrolled: 1-line block ×6, first 2 shown]
	s_wait_dscnt 0x6
	;;#ASMSTART
	v_dot2_f32_f16 v56, v0, v4, v56
	;;#ASMEND
	;;#ASMSTART
	v_dot2_f32_f16 v56, v1, v5, v56
	;;#ASMEND
	;;#ASMSTART
	v_dot2_f32_f16 v56, v2, v6, v56
	;;#ASMEND
	;;#ASMSTART
	v_dot2_f32_f16 v56, v3, v7, v56
	;;#ASMEND
	s_wait_dscnt 0x5
	;;#ASMSTART
	v_dot2_f32_f16 v73, v0, v8, v73
	;;#ASMEND
	;;#ASMSTART
	v_dot2_f32_f16 v73, v1, v9, v73
	;;#ASMEND
	;;#ASMSTART
	v_dot2_f32_f16 v73, v2, v10, v73
	;;#ASMEND
	;;#ASMSTART
	v_dot2_f32_f16 v73, v3, v11, v73
	;;#ASMEND
	;; [unrolled: 13-line block ×5, first 2 shown]
	;;#ASMSTART
	v_dot2_f32_f16 v117, v92, v8, v117
	;;#ASMEND
	;;#ASMSTART
	v_dot2_f32_f16 v117, v93, v9, v117
	;;#ASMEND
	;; [unrolled: 3-line block ×12, first 2 shown]
	s_wait_dscnt 0x1
	;;#ASMSTART
	v_dot2_f32_f16 v58, v118, v4, v58
	;;#ASMEND
	;;#ASMSTART
	v_dot2_f32_f16 v58, v119, v5, v58
	;;#ASMEND
	;; [unrolled: 3-line block ×16, first 2 shown]
	s_wait_dscnt 0x0
	;;#ASMSTART
	v_dot2_f32_f16 v91, v122, v4, v91
	;;#ASMEND
	;;#ASMSTART
	v_dot2_f32_f16 v91, v123, v5, v91
	;;#ASMEND
	;; [unrolled: 3-line block ×16, first 2 shown]
	ds_load_b128 v[0:3], v84 offset:16
	ds_load_b128 v[4:7], v20 offset:16
	;; [unrolled: 1-line block ×8, first 2 shown]
	s_wait_dscnt 0x6
	;;#ASMSTART
	v_dot2_f32_f16 v56, v0, v4, v56
	;;#ASMEND
	;;#ASMSTART
	v_dot2_f32_f16 v56, v1, v5, v56
	;;#ASMEND
	;;#ASMSTART
	v_dot2_f32_f16 v56, v2, v6, v56
	;;#ASMEND
	;;#ASMSTART
	v_dot2_f32_f16 v56, v3, v7, v56
	;;#ASMEND
	s_wait_dscnt 0x5
	;;#ASMSTART
	v_dot2_f32_f16 v73, v0, v8, v73
	;;#ASMEND
	;;#ASMSTART
	v_dot2_f32_f16 v73, v1, v9, v73
	;;#ASMEND
	;;#ASMSTART
	v_dot2_f32_f16 v73, v2, v10, v73
	;;#ASMEND
	;;#ASMSTART
	v_dot2_f32_f16 v73, v3, v11, v73
	;;#ASMEND
	;; [unrolled: 13-line block ×5, first 2 shown]
	;;#ASMSTART
	v_dot2_f32_f16 v117, v92, v8, v117
	;;#ASMEND
	;;#ASMSTART
	v_dot2_f32_f16 v117, v93, v9, v117
	;;#ASMEND
	;; [unrolled: 3-line block ×12, first 2 shown]
	s_wait_dscnt 0x1
	;;#ASMSTART
	v_dot2_f32_f16 v58, v118, v4, v58
	;;#ASMEND
	;;#ASMSTART
	v_dot2_f32_f16 v58, v119, v5, v58
	;;#ASMEND
	;; [unrolled: 3-line block ×16, first 2 shown]
	s_wait_dscnt 0x0
	;;#ASMSTART
	v_dot2_f32_f16 v91, v122, v4, v91
	;;#ASMEND
	;;#ASMSTART
	v_dot2_f32_f16 v91, v123, v5, v91
	;;#ASMEND
	;; [unrolled: 3-line block ×16, first 2 shown]
	ds_load_b128 v[0:3], v84 offset:32
	ds_load_b128 v[4:7], v20 offset:32
	;; [unrolled: 1-line block ×8, first 2 shown]
	s_wait_dscnt 0x6
	;;#ASMSTART
	v_dot2_f32_f16 v56, v0, v4, v56
	;;#ASMEND
	;;#ASMSTART
	v_dot2_f32_f16 v56, v1, v5, v56
	;;#ASMEND
	;;#ASMSTART
	v_dot2_f32_f16 v56, v2, v6, v56
	;;#ASMEND
	;;#ASMSTART
	v_dot2_f32_f16 v56, v3, v7, v56
	;;#ASMEND
	s_wait_dscnt 0x5
	;;#ASMSTART
	v_dot2_f32_f16 v73, v0, v8, v73
	;;#ASMEND
	;;#ASMSTART
	v_dot2_f32_f16 v73, v1, v9, v73
	;;#ASMEND
	;;#ASMSTART
	v_dot2_f32_f16 v73, v2, v10, v73
	;;#ASMEND
	;;#ASMSTART
	v_dot2_f32_f16 v73, v3, v11, v73
	;;#ASMEND
	;; [unrolled: 13-line block ×5, first 2 shown]
	;;#ASMSTART
	v_dot2_f32_f16 v117, v92, v8, v117
	;;#ASMEND
	;;#ASMSTART
	v_dot2_f32_f16 v117, v93, v9, v117
	;;#ASMEND
	;; [unrolled: 3-line block ×12, first 2 shown]
	s_wait_dscnt 0x1
	;;#ASMSTART
	v_dot2_f32_f16 v58, v118, v4, v58
	;;#ASMEND
	;;#ASMSTART
	v_dot2_f32_f16 v58, v119, v5, v58
	;;#ASMEND
	;; [unrolled: 3-line block ×16, first 2 shown]
	s_wait_dscnt 0x0
	;;#ASMSTART
	v_dot2_f32_f16 v91, v122, v4, v91
	;;#ASMEND
	;;#ASMSTART
	v_dot2_f32_f16 v91, v123, v5, v91
	;;#ASMEND
	;; [unrolled: 3-line block ×16, first 2 shown]
	ds_load_b128 v[0:3], v84 offset:48
	ds_load_b128 v[4:7], v20 offset:48
	;; [unrolled: 1-line block ×8, first 2 shown]
	s_wait_dscnt 0x6
	;;#ASMSTART
	v_dot2_f32_f16 v56, v0, v4, v56
	;;#ASMEND
	;;#ASMSTART
	v_dot2_f32_f16 v56, v1, v5, v56
	;;#ASMEND
	;;#ASMSTART
	v_dot2_f32_f16 v56, v2, v6, v56
	;;#ASMEND
	;;#ASMSTART
	v_dot2_f32_f16 v56, v3, v7, v56
	;;#ASMEND
	s_wait_dscnt 0x5
	;;#ASMSTART
	v_dot2_f32_f16 v73, v0, v8, v73
	;;#ASMEND
	;;#ASMSTART
	v_dot2_f32_f16 v73, v1, v9, v73
	;;#ASMEND
	;;#ASMSTART
	v_dot2_f32_f16 v73, v2, v10, v73
	;;#ASMEND
	;;#ASMSTART
	v_dot2_f32_f16 v73, v3, v11, v73
	;;#ASMEND
	;; [unrolled: 13-line block ×5, first 2 shown]
	;;#ASMSTART
	v_dot2_f32_f16 v117, v92, v8, v117
	;;#ASMEND
	;;#ASMSTART
	v_dot2_f32_f16 v117, v93, v9, v117
	;;#ASMEND
	;; [unrolled: 3-line block ×12, first 2 shown]
	s_wait_dscnt 0x1
	;;#ASMSTART
	v_dot2_f32_f16 v58, v118, v4, v58
	;;#ASMEND
	;;#ASMSTART
	v_dot2_f32_f16 v58, v119, v5, v58
	;;#ASMEND
	;; [unrolled: 3-line block ×16, first 2 shown]
	s_wait_dscnt 0x0
	;;#ASMSTART
	v_dot2_f32_f16 v91, v122, v4, v91
	;;#ASMEND
	;;#ASMSTART
	v_dot2_f32_f16 v91, v123, v5, v91
	;;#ASMEND
	;; [unrolled: 3-line block ×16, first 2 shown]
	ds_load_b128 v[0:3], v84 offset:64
	ds_load_b128 v[4:7], v20 offset:64
	ds_load_b128 v[8:11], v20 offset:1216
	ds_load_b128 v[12:15], v20 offset:2368
	ds_load_b128 v[16:19], v20 offset:3520
	ds_load_b128 v[92:95], v84 offset:4672
	ds_load_b128 v[118:121], v84 offset:9280
	ds_load_b128 v[122:125], v84 offset:13888
	s_wait_dscnt 0x6
	;;#ASMSTART
	v_dot2_f32_f16 v56, v0, v4, v56
	;;#ASMEND
	;;#ASMSTART
	v_dot2_f32_f16 v56, v1, v5, v56
	;;#ASMEND
	;;#ASMSTART
	v_dot2_f32_f16 v56, v2, v6, v56
	;;#ASMEND
	;;#ASMSTART
	v_dot2_f32_f16 v56, v3, v7, v56
	;;#ASMEND
	s_wait_dscnt 0x5
	;;#ASMSTART
	v_dot2_f32_f16 v73, v0, v8, v73
	;;#ASMEND
	;;#ASMSTART
	v_dot2_f32_f16 v73, v1, v9, v73
	;;#ASMEND
	;;#ASMSTART
	v_dot2_f32_f16 v73, v2, v10, v73
	;;#ASMEND
	;;#ASMSTART
	v_dot2_f32_f16 v73, v3, v11, v73
	;;#ASMEND
	;; [unrolled: 13-line block ×5, first 2 shown]
	;;#ASMSTART
	v_dot2_f32_f16 v117, v92, v8, v117
	;;#ASMEND
	;;#ASMSTART
	v_dot2_f32_f16 v117, v93, v9, v117
	;;#ASMEND
	;; [unrolled: 3-line block ×12, first 2 shown]
	s_wait_dscnt 0x1
	;;#ASMSTART
	v_dot2_f32_f16 v58, v118, v4, v58
	;;#ASMEND
	;;#ASMSTART
	v_dot2_f32_f16 v58, v119, v5, v58
	;;#ASMEND
	;; [unrolled: 3-line block ×16, first 2 shown]
	s_wait_dscnt 0x0
	;;#ASMSTART
	v_dot2_f32_f16 v91, v122, v4, v91
	;;#ASMEND
	;;#ASMSTART
	v_dot2_f32_f16 v91, v123, v5, v91
	;;#ASMEND
	;; [unrolled: 3-line block ×16, first 2 shown]
	ds_load_b128 v[0:3], v84 offset:80
	ds_load_b128 v[4:7], v20 offset:80
	;; [unrolled: 1-line block ×8, first 2 shown]
	s_wait_dscnt 0x6
	;;#ASMSTART
	v_dot2_f32_f16 v56, v0, v4, v56
	;;#ASMEND
	;;#ASMSTART
	v_dot2_f32_f16 v56, v1, v5, v56
	;;#ASMEND
	;;#ASMSTART
	v_dot2_f32_f16 v56, v2, v6, v56
	;;#ASMEND
	;;#ASMSTART
	v_dot2_f32_f16 v56, v3, v7, v56
	;;#ASMEND
	s_wait_dscnt 0x5
	;;#ASMSTART
	v_dot2_f32_f16 v73, v0, v8, v73
	;;#ASMEND
	;;#ASMSTART
	v_dot2_f32_f16 v73, v1, v9, v73
	;;#ASMEND
	;;#ASMSTART
	v_dot2_f32_f16 v73, v2, v10, v73
	;;#ASMEND
	;;#ASMSTART
	v_dot2_f32_f16 v73, v3, v11, v73
	;;#ASMEND
	s_wait_dscnt 0x4
	;;#ASMSTART
	v_dot2_f32_f16 v67, v0, v12, v67
	;;#ASMEND
	;;#ASMSTART
	v_dot2_f32_f16 v67, v1, v13, v67
	;;#ASMEND
	;;#ASMSTART
	v_dot2_f32_f16 v67, v2, v14, v67
	;;#ASMEND
	;;#ASMSTART
	v_dot2_f32_f16 v67, v3, v15, v67
	;;#ASMEND
	s_wait_dscnt 0x3
	;;#ASMSTART
	v_dot2_f32_f16 v60, v0, v16, v60
	;;#ASMEND
	;;#ASMSTART
	v_dot2_f32_f16 v60, v1, v17, v60
	;;#ASMEND
	;;#ASMSTART
	v_dot2_f32_f16 v60, v2, v18, v60
	;;#ASMEND
	;;#ASMSTART
	v_dot2_f32_f16 v60, v3, v19, v60
	;;#ASMEND
	s_wait_dscnt 0x2
	;;#ASMSTART
	v_dot2_f32_f16 v57, v92, v4, v57
	;;#ASMEND
	;;#ASMSTART
	v_dot2_f32_f16 v57, v93, v5, v57
	;;#ASMEND
	;;#ASMSTART
	v_dot2_f32_f16 v57, v94, v6, v57
	;;#ASMEND
	;;#ASMSTART
	v_dot2_f32_f16 v57, v95, v7, v57
	;;#ASMEND
	;;#ASMSTART
	v_dot2_f32_f16 v117, v92, v8, v117
	;;#ASMEND
	;;#ASMSTART
	v_dot2_f32_f16 v117, v93, v9, v117
	;;#ASMEND
	;; [unrolled: 3-line block ×12, first 2 shown]
	s_wait_dscnt 0x1
	;;#ASMSTART
	v_dot2_f32_f16 v58, v118, v4, v58
	;;#ASMEND
	;;#ASMSTART
	v_dot2_f32_f16 v58, v119, v5, v58
	;;#ASMEND
	;; [unrolled: 3-line block ×16, first 2 shown]
	s_wait_dscnt 0x0
	;;#ASMSTART
	v_dot2_f32_f16 v91, v122, v4, v91
	;;#ASMEND
	;;#ASMSTART
	v_dot2_f32_f16 v91, v123, v5, v91
	;;#ASMEND
	;; [unrolled: 3-line block ×16, first 2 shown]
	ds_load_b128 v[16:19], v84 offset:96
	ds_load_b128 v[0:3], v20 offset:96
	;; [unrolled: 1-line block ×8, first 2 shown]
	s_wait_dscnt 0x6
	;;#ASMSTART
	v_dot2_f32_f16 v56, v16, v0, v56
	;;#ASMEND
	;;#ASMSTART
	v_dot2_f32_f16 v56, v17, v1, v56
	;;#ASMEND
	;;#ASMSTART
	v_dot2_f32_f16 v56, v18, v2, v56
	;;#ASMEND
	;;#ASMSTART
	v_dot2_f32_f16 v56, v19, v3, v56
	;;#ASMEND
	s_wait_dscnt 0x5
	;;#ASMSTART
	v_dot2_f32_f16 v73, v16, v4, v73
	;;#ASMEND
	;;#ASMSTART
	v_dot2_f32_f16 v73, v17, v5, v73
	;;#ASMEND
	;;#ASMSTART
	v_dot2_f32_f16 v73, v18, v6, v73
	;;#ASMEND
	;;#ASMSTART
	v_dot2_f32_f16 v73, v19, v7, v73
	;;#ASMEND
	;; [unrolled: 13-line block ×5, first 2 shown]
	;;#ASMSTART
	v_dot2_f32_f16 v117, v92, v4, v117
	;;#ASMEND
	;;#ASMSTART
	v_dot2_f32_f16 v117, v93, v5, v117
	;;#ASMEND
	;; [unrolled: 3-line block ×12, first 2 shown]
	s_wait_dscnt 0x1
	;;#ASMSTART
	v_dot2_f32_f16 v58, v118, v0, v58
	;;#ASMEND
	;;#ASMSTART
	v_dot2_f32_f16 v58, v119, v1, v58
	;;#ASMEND
	;; [unrolled: 3-line block ×16, first 2 shown]
	s_wait_dscnt 0x0
	;;#ASMSTART
	v_dot2_f32_f16 v91, v122, v0, v91
	;;#ASMEND
	;;#ASMSTART
	v_dot2_f32_f16 v91, v123, v1, v91
	;;#ASMEND
	;;#ASMSTART
	v_dot2_f32_f16 v91, v124, v2, v91
	;;#ASMEND
	;;#ASMSTART
	v_dot2_f32_f16 v91, v125, v3, v91
	;;#ASMEND
	;;#ASMSTART
	v_dot2_f32_f16 v72, v122, v4, v72
	;;#ASMEND
	;;#ASMSTART
	v_dot2_f32_f16 v72, v123, v5, v72
	;;#ASMEND
	;;#ASMSTART
	v_dot2_f32_f16 v72, v124, v6, v72
	;;#ASMEND
	;;#ASMSTART
	v_dot2_f32_f16 v72, v125, v7, v72
	;;#ASMEND
	;;#ASMSTART
	v_dot2_f32_f16 v68, v122, v8, v68
	;;#ASMEND
	;;#ASMSTART
	v_dot2_f32_f16 v68, v123, v9, v68
	;;#ASMEND
	;;#ASMSTART
	v_dot2_f32_f16 v68, v124, v10, v68
	;;#ASMEND
	;;#ASMSTART
	v_dot2_f32_f16 v68, v125, v11, v68
	;;#ASMEND
	;;#ASMSTART
	v_dot2_f32_f16 v38, v122, v12, v38
	;;#ASMEND
	;;#ASMSTART
	v_dot2_f32_f16 v38, v123, v13, v38
	;;#ASMEND
	;;#ASMSTART
	v_dot2_f32_f16 v38, v124, v14, v38
	;;#ASMEND
	;;#ASMSTART
	v_dot2_f32_f16 v38, v125, v15, v38
	;;#ASMEND
	ds_load_b128 v[0:3], v84 offset:112
	ds_load_b128 v[4:7], v20 offset:112
	s_lshr_b32 s10, s38, 1
	ds_load_b128 v[8:11], v20 offset:1264
	ds_load_b128 v[12:15], v20 offset:2416
	s_lshl_b64 s[36:37], s[10:11], 2
	ds_load_b128 v[16:19], v20 offset:3568
	s_add_nc_u64 s[36:37], s[26:27], s[36:37]
	s_cmp_gt_u32 s35, 0x17f
	v_add_nc_u64_e32 v[22:23], s[36:37], v[40:41]
	v_add_nc_u64_e32 v[92:93], s[36:37], v[44:45]
	;; [unrolled: 1-line block ×4, first 2 shown]
	s_mov_b32 s10, -1
	s_delay_alu instid0(VALU_DEP_4) | instskip(NEXT) | instid1(VALU_DEP_4)
	v_add_nc_u64_e32 v[122:123], v[22:23], v[42:43]
	v_add_nc_u64_e32 v[124:125], v[92:93], v[42:43]
	s_delay_alu instid0(VALU_DEP_4)
	v_add_nc_u64_e32 v[126:127], v[94:95], v[42:43]
	ds_load_b128 v[20:23], v84 offset:4720
	v_add_nc_u64_e32 v[128:129], v[118:119], v[42:43]
	ds_load_b128 v[92:95], v84 offset:9328
	ds_load_b128 v[118:121], v84 offset:13936
	s_wait_dscnt 0x6
	;;#ASMSTART
	v_dot2_f32_f16 v56, v0, v4, v56
	;;#ASMEND
	;;#ASMSTART
	v_dot2_f32_f16 v56, v1, v5, v56
	;;#ASMEND
	;;#ASMSTART
	v_dot2_f32_f16 v56, v2, v6, v56
	;;#ASMEND
	;;#ASMSTART
	v_dot2_f32_f16 v56, v3, v7, v56
	;;#ASMEND
	s_wait_dscnt 0x5
	;;#ASMSTART
	v_dot2_f32_f16 v73, v0, v8, v73
	;;#ASMEND
	;;#ASMSTART
	v_dot2_f32_f16 v73, v1, v9, v73
	;;#ASMEND
	;;#ASMSTART
	v_dot2_f32_f16 v73, v2, v10, v73
	;;#ASMEND
	;;#ASMSTART
	v_dot2_f32_f16 v73, v3, v11, v73
	;;#ASMEND
	s_wait_dscnt 0x4
	;;#ASMSTART
	v_dot2_f32_f16 v67, v0, v12, v67
	;;#ASMEND
	;;#ASMSTART
	v_dot2_f32_f16 v67, v1, v13, v67
	;;#ASMEND
	;;#ASMSTART
	v_dot2_f32_f16 v67, v2, v14, v67
	;;#ASMEND
	;;#ASMSTART
	v_dot2_f32_f16 v67, v3, v15, v67
	;;#ASMEND
	s_wait_dscnt 0x3
	;;#ASMSTART
	v_dot2_f32_f16 v60, v0, v16, v60
	;;#ASMEND
	;;#ASMSTART
	v_dot2_f32_f16 v60, v1, v17, v60
	;;#ASMEND
	;;#ASMSTART
	v_dot2_f32_f16 v60, v2, v18, v60
	;;#ASMEND
	;;#ASMSTART
	v_dot2_f32_f16 v60, v3, v19, v60
	;;#ASMEND
	s_wait_dscnt 0x2
	;;#ASMSTART
	v_dot2_f32_f16 v57, v20, v4, v57
	;;#ASMEND
	;;#ASMSTART
	v_dot2_f32_f16 v57, v21, v5, v57
	;;#ASMEND
	;;#ASMSTART
	v_dot2_f32_f16 v57, v22, v6, v57
	;;#ASMEND
	;;#ASMSTART
	v_dot2_f32_f16 v57, v23, v7, v57
	;;#ASMEND
	;;#ASMSTART
	v_dot2_f32_f16 v117, v20, v8, v117
	;;#ASMEND
	;;#ASMSTART
	v_dot2_f32_f16 v117, v21, v9, v117
	;;#ASMEND
	;; [unrolled: 3-line block ×12, first 2 shown]
	s_wait_dscnt 0x1
	;;#ASMSTART
	v_dot2_f32_f16 v58, v92, v4, v58
	;;#ASMEND
	;;#ASMSTART
	v_dot2_f32_f16 v58, v93, v5, v58
	;;#ASMEND
	;; [unrolled: 3-line block ×16, first 2 shown]
	s_wait_dscnt 0x0
	;;#ASMSTART
	v_dot2_f32_f16 v91, v118, v4, v91
	;;#ASMEND
	;;#ASMSTART
	v_dot2_f32_f16 v91, v119, v5, v91
	;;#ASMEND
	;;#ASMSTART
	v_dot2_f32_f16 v91, v120, v6, v91
	;;#ASMEND
	;;#ASMSTART
	v_dot2_f32_f16 v91, v121, v7, v91
	;;#ASMEND
	;;#ASMSTART
	v_dot2_f32_f16 v72, v118, v8, v72
	;;#ASMEND
	;;#ASMSTART
	v_dot2_f32_f16 v72, v119, v9, v72
	;;#ASMEND
	;;#ASMSTART
	v_dot2_f32_f16 v72, v120, v10, v72
	;;#ASMEND
	;;#ASMSTART
	v_dot2_f32_f16 v72, v121, v11, v72
	;;#ASMEND
	;;#ASMSTART
	v_dot2_f32_f16 v68, v118, v12, v68
	;;#ASMEND
	;;#ASMSTART
	v_dot2_f32_f16 v68, v119, v13, v68
	;;#ASMEND
	;;#ASMSTART
	v_dot2_f32_f16 v68, v120, v14, v68
	;;#ASMEND
	;;#ASMSTART
	v_dot2_f32_f16 v68, v121, v15, v68
	;;#ASMEND
	;;#ASMSTART
	v_dot2_f32_f16 v38, v118, v16, v38
	;;#ASMEND
	;;#ASMSTART
	v_dot2_f32_f16 v38, v119, v17, v38
	;;#ASMEND
	;;#ASMSTART
	v_dot2_f32_f16 v38, v120, v18, v38
	;;#ASMEND
	;;#ASMSTART
	v_dot2_f32_f16 v38, v121, v19, v38
	;;#ASMEND
	s_barrier_signal -1
	s_barrier_wait -1
	s_clause 0x3
	global_load_b128 v[0:3], v[122:123], off
	global_load_b128 v[4:7], v[124:125], off
	;; [unrolled: 1-line block ×4, first 2 shown]
	v_lshl_add_u32 v12, s38, 1, v77
	s_wait_loadcnt 0x3
	ds_store_b128 v80, v[0:3]
	s_wait_loadcnt 0x2
	ds_store_b128 v81, v[4:7]
	;; [unrolled: 2-line block ×4, first 2 shown]
	s_wait_dscnt 0x0
	s_barrier_signal -1
	s_barrier_wait -1
	ds_load_b128 v[0:3], v84
	ds_load_b128 v[4:7], v12
	ds_load_b128 v[8:11], v12 offset:1152
	ds_load_b128 v[14:17], v12 offset:2304
	;; [unrolled: 1-line block ×6, first 2 shown]
	s_wait_dscnt 0x6
	;;#ASMSTART
	v_dot2_f32_f16 v56, v0, v4, v56
	;;#ASMEND
	;;#ASMSTART
	v_dot2_f32_f16 v56, v1, v5, v56
	;;#ASMEND
	;;#ASMSTART
	v_dot2_f32_f16 v56, v2, v6, v56
	;;#ASMEND
	;;#ASMSTART
	v_dot2_f32_f16 v56, v3, v7, v56
	;;#ASMEND
	s_wait_dscnt 0x5
	;;#ASMSTART
	v_dot2_f32_f16 v73, v0, v8, v73
	;;#ASMEND
	;;#ASMSTART
	v_dot2_f32_f16 v73, v1, v9, v73
	;;#ASMEND
	;;#ASMSTART
	v_dot2_f32_f16 v73, v2, v10, v73
	;;#ASMEND
	;;#ASMSTART
	v_dot2_f32_f16 v73, v3, v11, v73
	;;#ASMEND
	;; [unrolled: 13-line block ×5, first 2 shown]
	;;#ASMSTART
	v_dot2_f32_f16 v117, v92, v8, v117
	;;#ASMEND
	;;#ASMSTART
	v_dot2_f32_f16 v117, v93, v9, v117
	;;#ASMEND
	;; [unrolled: 3-line block ×12, first 2 shown]
	s_wait_dscnt 0x1
	;;#ASMSTART
	v_dot2_f32_f16 v58, v118, v4, v58
	;;#ASMEND
	;;#ASMSTART
	v_dot2_f32_f16 v58, v119, v5, v58
	;;#ASMEND
	;; [unrolled: 3-line block ×16, first 2 shown]
	s_wait_dscnt 0x0
	;;#ASMSTART
	v_dot2_f32_f16 v91, v122, v4, v91
	;;#ASMEND
	;;#ASMSTART
	v_dot2_f32_f16 v91, v123, v5, v91
	;;#ASMEND
	;; [unrolled: 3-line block ×16, first 2 shown]
	ds_load_b128 v[0:3], v84 offset:16
	ds_load_b128 v[4:7], v12 offset:16
	;; [unrolled: 1-line block ×8, first 2 shown]
	s_wait_dscnt 0x6
	;;#ASMSTART
	v_dot2_f32_f16 v56, v0, v4, v56
	;;#ASMEND
	;;#ASMSTART
	v_dot2_f32_f16 v56, v1, v5, v56
	;;#ASMEND
	;;#ASMSTART
	v_dot2_f32_f16 v56, v2, v6, v56
	;;#ASMEND
	;;#ASMSTART
	v_dot2_f32_f16 v56, v3, v7, v56
	;;#ASMEND
	s_wait_dscnt 0x5
	;;#ASMSTART
	v_dot2_f32_f16 v73, v0, v8, v73
	;;#ASMEND
	;;#ASMSTART
	v_dot2_f32_f16 v73, v1, v9, v73
	;;#ASMEND
	;;#ASMSTART
	v_dot2_f32_f16 v73, v2, v10, v73
	;;#ASMEND
	;;#ASMSTART
	v_dot2_f32_f16 v73, v3, v11, v73
	;;#ASMEND
	;; [unrolled: 13-line block ×5, first 2 shown]
	;;#ASMSTART
	v_dot2_f32_f16 v117, v92, v8, v117
	;;#ASMEND
	;;#ASMSTART
	v_dot2_f32_f16 v117, v93, v9, v117
	;;#ASMEND
	;; [unrolled: 3-line block ×12, first 2 shown]
	s_wait_dscnt 0x1
	;;#ASMSTART
	v_dot2_f32_f16 v58, v118, v4, v58
	;;#ASMEND
	;;#ASMSTART
	v_dot2_f32_f16 v58, v119, v5, v58
	;;#ASMEND
	;;#ASMSTART
	v_dot2_f32_f16 v58, v120, v6, v58
	;;#ASMEND
	;;#ASMSTART
	v_dot2_f32_f16 v58, v121, v7, v58
	;;#ASMEND
	;;#ASMSTART
	v_dot2_f32_f16 v71, v118, v8, v71
	;;#ASMEND
	;;#ASMSTART
	v_dot2_f32_f16 v71, v119, v9, v71
	;;#ASMEND
	;;#ASMSTART
	v_dot2_f32_f16 v71, v120, v10, v71
	;;#ASMEND
	;;#ASMSTART
	v_dot2_f32_f16 v71, v121, v11, v71
	;;#ASMEND
	;;#ASMSTART
	v_dot2_f32_f16 v70, v118, v14, v70
	;;#ASMEND
	;;#ASMSTART
	v_dot2_f32_f16 v70, v119, v15, v70
	;;#ASMEND
	;;#ASMSTART
	v_dot2_f32_f16 v70, v120, v16, v70
	;;#ASMEND
	;;#ASMSTART
	v_dot2_f32_f16 v70, v121, v17, v70
	;;#ASMEND
	;;#ASMSTART
	v_dot2_f32_f16 v59, v118, v18, v59
	;;#ASMEND
	;;#ASMSTART
	v_dot2_f32_f16 v59, v119, v19, v59
	;;#ASMEND
	;;#ASMSTART
	v_dot2_f32_f16 v59, v120, v20, v59
	;;#ASMEND
	;;#ASMSTART
	v_dot2_f32_f16 v59, v121, v21, v59
	;;#ASMEND
	s_wait_dscnt 0x0
	;;#ASMSTART
	v_dot2_f32_f16 v91, v122, v4, v91
	;;#ASMEND
	;;#ASMSTART
	v_dot2_f32_f16 v91, v123, v5, v91
	;;#ASMEND
	;; [unrolled: 3-line block ×16, first 2 shown]
	ds_load_b128 v[0:3], v84 offset:32
	ds_load_b128 v[4:7], v12 offset:32
	ds_load_b128 v[8:11], v12 offset:1184
	ds_load_b128 v[14:17], v12 offset:2336
	ds_load_b128 v[18:21], v12 offset:3488
	ds_load_b128 v[92:95], v84 offset:4640
	ds_load_b128 v[118:121], v84 offset:9248
	ds_load_b128 v[122:125], v84 offset:13856
	s_wait_dscnt 0x6
	;;#ASMSTART
	v_dot2_f32_f16 v56, v0, v4, v56
	;;#ASMEND
	;;#ASMSTART
	v_dot2_f32_f16 v56, v1, v5, v56
	;;#ASMEND
	;;#ASMSTART
	v_dot2_f32_f16 v56, v2, v6, v56
	;;#ASMEND
	;;#ASMSTART
	v_dot2_f32_f16 v56, v3, v7, v56
	;;#ASMEND
	s_wait_dscnt 0x5
	;;#ASMSTART
	v_dot2_f32_f16 v73, v0, v8, v73
	;;#ASMEND
	;;#ASMSTART
	v_dot2_f32_f16 v73, v1, v9, v73
	;;#ASMEND
	;;#ASMSTART
	v_dot2_f32_f16 v73, v2, v10, v73
	;;#ASMEND
	;;#ASMSTART
	v_dot2_f32_f16 v73, v3, v11, v73
	;;#ASMEND
	;; [unrolled: 13-line block ×5, first 2 shown]
	;;#ASMSTART
	v_dot2_f32_f16 v117, v92, v8, v117
	;;#ASMEND
	;;#ASMSTART
	v_dot2_f32_f16 v117, v93, v9, v117
	;;#ASMEND
	;; [unrolled: 3-line block ×12, first 2 shown]
	s_wait_dscnt 0x1
	;;#ASMSTART
	v_dot2_f32_f16 v58, v118, v4, v58
	;;#ASMEND
	;;#ASMSTART
	v_dot2_f32_f16 v58, v119, v5, v58
	;;#ASMEND
	;; [unrolled: 3-line block ×16, first 2 shown]
	s_wait_dscnt 0x0
	;;#ASMSTART
	v_dot2_f32_f16 v91, v122, v4, v91
	;;#ASMEND
	;;#ASMSTART
	v_dot2_f32_f16 v91, v123, v5, v91
	;;#ASMEND
	;; [unrolled: 3-line block ×16, first 2 shown]
	ds_load_b128 v[0:3], v84 offset:48
	ds_load_b128 v[4:7], v12 offset:48
	;; [unrolled: 1-line block ×8, first 2 shown]
	s_wait_dscnt 0x6
	;;#ASMSTART
	v_dot2_f32_f16 v56, v0, v4, v56
	;;#ASMEND
	;;#ASMSTART
	v_dot2_f32_f16 v56, v1, v5, v56
	;;#ASMEND
	;;#ASMSTART
	v_dot2_f32_f16 v56, v2, v6, v56
	;;#ASMEND
	;;#ASMSTART
	v_dot2_f32_f16 v56, v3, v7, v56
	;;#ASMEND
	s_wait_dscnt 0x5
	;;#ASMSTART
	v_dot2_f32_f16 v73, v0, v8, v73
	;;#ASMEND
	;;#ASMSTART
	v_dot2_f32_f16 v73, v1, v9, v73
	;;#ASMEND
	;;#ASMSTART
	v_dot2_f32_f16 v73, v2, v10, v73
	;;#ASMEND
	;;#ASMSTART
	v_dot2_f32_f16 v73, v3, v11, v73
	;;#ASMEND
	;; [unrolled: 13-line block ×5, first 2 shown]
	;;#ASMSTART
	v_dot2_f32_f16 v117, v92, v8, v117
	;;#ASMEND
	;;#ASMSTART
	v_dot2_f32_f16 v117, v93, v9, v117
	;;#ASMEND
	;; [unrolled: 3-line block ×12, first 2 shown]
	s_wait_dscnt 0x1
	;;#ASMSTART
	v_dot2_f32_f16 v58, v118, v4, v58
	;;#ASMEND
	;;#ASMSTART
	v_dot2_f32_f16 v58, v119, v5, v58
	;;#ASMEND
	;; [unrolled: 3-line block ×16, first 2 shown]
	s_wait_dscnt 0x0
	;;#ASMSTART
	v_dot2_f32_f16 v91, v122, v4, v91
	;;#ASMEND
	;;#ASMSTART
	v_dot2_f32_f16 v91, v123, v5, v91
	;;#ASMEND
	;; [unrolled: 3-line block ×16, first 2 shown]
	ds_load_b128 v[0:3], v84 offset:64
	ds_load_b128 v[4:7], v12 offset:64
	;; [unrolled: 1-line block ×8, first 2 shown]
	s_wait_dscnt 0x6
	;;#ASMSTART
	v_dot2_f32_f16 v56, v0, v4, v56
	;;#ASMEND
	;;#ASMSTART
	v_dot2_f32_f16 v56, v1, v5, v56
	;;#ASMEND
	;;#ASMSTART
	v_dot2_f32_f16 v56, v2, v6, v56
	;;#ASMEND
	;;#ASMSTART
	v_dot2_f32_f16 v56, v3, v7, v56
	;;#ASMEND
	s_wait_dscnt 0x5
	;;#ASMSTART
	v_dot2_f32_f16 v73, v0, v8, v73
	;;#ASMEND
	;;#ASMSTART
	v_dot2_f32_f16 v73, v1, v9, v73
	;;#ASMEND
	;;#ASMSTART
	v_dot2_f32_f16 v73, v2, v10, v73
	;;#ASMEND
	;;#ASMSTART
	v_dot2_f32_f16 v73, v3, v11, v73
	;;#ASMEND
	s_wait_dscnt 0x4
	;;#ASMSTART
	v_dot2_f32_f16 v67, v0, v14, v67
	;;#ASMEND
	;;#ASMSTART
	v_dot2_f32_f16 v67, v1, v15, v67
	;;#ASMEND
	;;#ASMSTART
	v_dot2_f32_f16 v67, v2, v16, v67
	;;#ASMEND
	;;#ASMSTART
	v_dot2_f32_f16 v67, v3, v17, v67
	;;#ASMEND
	s_wait_dscnt 0x3
	;;#ASMSTART
	v_dot2_f32_f16 v60, v0, v18, v60
	;;#ASMEND
	;;#ASMSTART
	v_dot2_f32_f16 v60, v1, v19, v60
	;;#ASMEND
	;;#ASMSTART
	v_dot2_f32_f16 v60, v2, v20, v60
	;;#ASMEND
	;;#ASMSTART
	v_dot2_f32_f16 v60, v3, v21, v60
	;;#ASMEND
	s_wait_dscnt 0x2
	;;#ASMSTART
	v_dot2_f32_f16 v57, v92, v4, v57
	;;#ASMEND
	;;#ASMSTART
	v_dot2_f32_f16 v57, v93, v5, v57
	;;#ASMEND
	;;#ASMSTART
	v_dot2_f32_f16 v57, v94, v6, v57
	;;#ASMEND
	;;#ASMSTART
	v_dot2_f32_f16 v57, v95, v7, v57
	;;#ASMEND
	;;#ASMSTART
	v_dot2_f32_f16 v117, v92, v8, v117
	;;#ASMEND
	;;#ASMSTART
	v_dot2_f32_f16 v117, v93, v9, v117
	;;#ASMEND
	;; [unrolled: 3-line block ×12, first 2 shown]
	s_wait_dscnt 0x1
	;;#ASMSTART
	v_dot2_f32_f16 v58, v118, v4, v58
	;;#ASMEND
	;;#ASMSTART
	v_dot2_f32_f16 v58, v119, v5, v58
	;;#ASMEND
	;; [unrolled: 3-line block ×16, first 2 shown]
	s_wait_dscnt 0x0
	;;#ASMSTART
	v_dot2_f32_f16 v91, v122, v4, v91
	;;#ASMEND
	;;#ASMSTART
	v_dot2_f32_f16 v91, v123, v5, v91
	;;#ASMEND
	;; [unrolled: 3-line block ×16, first 2 shown]
	ds_load_b128 v[0:3], v84 offset:80
	ds_load_b128 v[4:7], v12 offset:80
	;; [unrolled: 1-line block ×8, first 2 shown]
	s_wait_dscnt 0x6
	;;#ASMSTART
	v_dot2_f32_f16 v56, v0, v4, v56
	;;#ASMEND
	;;#ASMSTART
	v_dot2_f32_f16 v56, v1, v5, v56
	;;#ASMEND
	;;#ASMSTART
	v_dot2_f32_f16 v56, v2, v6, v56
	;;#ASMEND
	;;#ASMSTART
	v_dot2_f32_f16 v56, v3, v7, v56
	;;#ASMEND
	s_wait_dscnt 0x5
	;;#ASMSTART
	v_dot2_f32_f16 v73, v0, v8, v73
	;;#ASMEND
	;;#ASMSTART
	v_dot2_f32_f16 v73, v1, v9, v73
	;;#ASMEND
	;;#ASMSTART
	v_dot2_f32_f16 v73, v2, v10, v73
	;;#ASMEND
	;;#ASMSTART
	v_dot2_f32_f16 v73, v3, v11, v73
	;;#ASMEND
	;; [unrolled: 13-line block ×5, first 2 shown]
	;;#ASMSTART
	v_dot2_f32_f16 v117, v92, v8, v117
	;;#ASMEND
	;;#ASMSTART
	v_dot2_f32_f16 v117, v93, v9, v117
	;;#ASMEND
	;; [unrolled: 3-line block ×12, first 2 shown]
	s_wait_dscnt 0x1
	;;#ASMSTART
	v_dot2_f32_f16 v58, v118, v4, v58
	;;#ASMEND
	;;#ASMSTART
	v_dot2_f32_f16 v58, v119, v5, v58
	;;#ASMEND
	;; [unrolled: 3-line block ×16, first 2 shown]
	s_wait_dscnt 0x0
	;;#ASMSTART
	v_dot2_f32_f16 v91, v122, v4, v91
	;;#ASMEND
	;;#ASMSTART
	v_dot2_f32_f16 v91, v123, v5, v91
	;;#ASMEND
	;; [unrolled: 3-line block ×16, first 2 shown]
	ds_load_b128 v[0:3], v84 offset:96
	ds_load_b128 v[4:7], v12 offset:96
	;; [unrolled: 1-line block ×8, first 2 shown]
	s_wait_dscnt 0x6
	;;#ASMSTART
	v_dot2_f32_f16 v56, v0, v4, v56
	;;#ASMEND
	;;#ASMSTART
	v_dot2_f32_f16 v56, v1, v5, v56
	;;#ASMEND
	;;#ASMSTART
	v_dot2_f32_f16 v56, v2, v6, v56
	;;#ASMEND
	;;#ASMSTART
	v_dot2_f32_f16 v56, v3, v7, v56
	;;#ASMEND
	s_wait_dscnt 0x5
	;;#ASMSTART
	v_dot2_f32_f16 v73, v0, v8, v73
	;;#ASMEND
	;;#ASMSTART
	v_dot2_f32_f16 v73, v1, v9, v73
	;;#ASMEND
	;;#ASMSTART
	v_dot2_f32_f16 v73, v2, v10, v73
	;;#ASMEND
	;;#ASMSTART
	v_dot2_f32_f16 v73, v3, v11, v73
	;;#ASMEND
	;; [unrolled: 13-line block ×5, first 2 shown]
	;;#ASMSTART
	v_dot2_f32_f16 v117, v92, v8, v117
	;;#ASMEND
	;;#ASMSTART
	v_dot2_f32_f16 v117, v93, v9, v117
	;;#ASMEND
	;; [unrolled: 3-line block ×12, first 2 shown]
	s_wait_dscnt 0x1
	;;#ASMSTART
	v_dot2_f32_f16 v58, v118, v4, v58
	;;#ASMEND
	;;#ASMSTART
	v_dot2_f32_f16 v58, v119, v5, v58
	;;#ASMEND
	;; [unrolled: 3-line block ×16, first 2 shown]
	s_wait_dscnt 0x0
	;;#ASMSTART
	v_dot2_f32_f16 v91, v122, v4, v91
	;;#ASMEND
	;;#ASMSTART
	v_dot2_f32_f16 v91, v123, v5, v91
	;;#ASMEND
	;; [unrolled: 3-line block ×16, first 2 shown]
	ds_load_b128 v[16:19], v84 offset:112
	ds_load_b128 v[0:3], v12 offset:112
	;; [unrolled: 1-line block ×8, first 2 shown]
	s_wait_dscnt 0x6
	;;#ASMSTART
	v_dot2_f32_f16 v56, v16, v0, v56
	;;#ASMEND
	;;#ASMSTART
	v_dot2_f32_f16 v56, v17, v1, v56
	;;#ASMEND
	;;#ASMSTART
	v_dot2_f32_f16 v56, v18, v2, v56
	;;#ASMEND
	;;#ASMSTART
	v_dot2_f32_f16 v56, v19, v3, v56
	;;#ASMEND
	s_wait_dscnt 0x5
	;;#ASMSTART
	v_dot2_f32_f16 v73, v16, v4, v73
	;;#ASMEND
	;;#ASMSTART
	v_dot2_f32_f16 v73, v17, v5, v73
	;;#ASMEND
	;;#ASMSTART
	v_dot2_f32_f16 v73, v18, v6, v73
	;;#ASMEND
	;;#ASMSTART
	v_dot2_f32_f16 v73, v19, v7, v73
	;;#ASMEND
	;; [unrolled: 13-line block ×5, first 2 shown]
	;;#ASMSTART
	v_dot2_f32_f16 v117, v20, v4, v117
	;;#ASMEND
	;;#ASMSTART
	v_dot2_f32_f16 v117, v21, v5, v117
	;;#ASMEND
	;;#ASMSTART
	v_dot2_f32_f16 v117, v22, v6, v117
	;;#ASMEND
	;;#ASMSTART
	v_dot2_f32_f16 v117, v23, v7, v117
	;;#ASMEND
	;;#ASMSTART
	v_dot2_f32_f16 v69, v20, v8, v69
	;;#ASMEND
	;;#ASMSTART
	v_dot2_f32_f16 v69, v21, v9, v69
	;;#ASMEND
	;;#ASMSTART
	v_dot2_f32_f16 v69, v22, v10, v69
	;;#ASMEND
	;;#ASMSTART
	v_dot2_f32_f16 v69, v23, v11, v69
	;;#ASMEND
	;;#ASMSTART
	v_dot2_f32_f16 v62, v20, v12, v62
	;;#ASMEND
	;;#ASMSTART
	v_dot2_f32_f16 v62, v21, v13, v62
	;;#ASMEND
	;;#ASMSTART
	v_dot2_f32_f16 v62, v22, v14, v62
	;;#ASMEND
	;;#ASMSTART
	v_dot2_f32_f16 v62, v23, v15, v62
	;;#ASMEND
	s_wait_dscnt 0x1
	;;#ASMSTART
	v_dot2_f32_f16 v58, v92, v0, v58
	;;#ASMEND
	;;#ASMSTART
	v_dot2_f32_f16 v58, v93, v1, v58
	;;#ASMEND
	;; [unrolled: 3-line block ×16, first 2 shown]
	s_wait_dscnt 0x0
	;;#ASMSTART
	v_dot2_f32_f16 v91, v118, v0, v91
	;;#ASMEND
	;;#ASMSTART
	v_dot2_f32_f16 v91, v119, v1, v91
	;;#ASMEND
	;; [unrolled: 3-line block ×16, first 2 shown]
	s_cbranch_scc1 .LBB23_18
; %bb.20:                               ;   in Loop: Header=BB23_19 Depth=2
	s_barrier_signal -1
	s_barrier_wait -1
	s_addk_co_i32 s35, 0xc0
	s_mov_b32 s10, 0
	s_branch .LBB23_18
.LBB23_21:                              ;   in Loop: Header=BB23_17 Depth=1
	v_cmp_ngt_f32_e64 s10, 0x3f200000, |v56|
                                        ; implicit-def: $vgpr2
	s_and_saveexec_b32 s26, s10
	s_delay_alu instid0(SALU_CYCLE_1)
	s_xor_b32 s10, exec_lo, s26
	s_cbranch_execz .LBB23_23
; %bb.22:                               ;   in Loop: Header=BB23_17 Depth=1
	v_add_f32_e64 v0, |v56|, |v56|
	s_delay_alu instid0(VALU_DEP_1) | instskip(SKIP_1) | instid1(VALU_DEP_2)
	v_mul_f32_e32 v1, 0x3fb8aa3b, v0
	v_cmp_ngt_f32_e32 vcc_lo, 0xc2ce8ed0, v0
	v_rndne_f32_e32 v2, v1
	v_fma_f32 v3, 0x3fb8aa3b, v0, -v1
	s_delay_alu instid0(VALU_DEP_2) | instskip(NEXT) | instid1(VALU_DEP_2)
	v_sub_f32_e32 v1, v1, v2
	v_fmac_f32_e32 v3, 0x32a5705f, v0
	v_cvt_i32_f32_e32 v2, v2
	s_delay_alu instid0(VALU_DEP_2) | instskip(NEXT) | instid1(VALU_DEP_1)
	v_add_f32_e32 v1, v1, v3
	v_exp_f32_e32 v1, v1
	v_nop
	s_delay_alu instid0(TRANS32_DEP_1) | instskip(NEXT) | instid1(VALU_DEP_1)
	v_ldexp_f32 v1, v1, v2
	v_cndmask_b32_e32 v1, 0, v1, vcc_lo
	v_cmp_nlt_f32_e32 vcc_lo, 0x42b17218, v0
	s_delay_alu instid0(VALU_DEP_2) | instskip(NEXT) | instid1(VALU_DEP_1)
	v_cndmask_b32_e32 v0, 0x7f800000, v1, vcc_lo
	v_add_f32_e32 v0, 1.0, v0
	s_delay_alu instid0(VALU_DEP_1) | instskip(SKIP_1) | instid1(TRANS32_DEP_1)
	v_rcp_f32_e32 v0, v0
	v_nop
	v_fma_f32 v2, v0, -2.0, 1.0
.LBB23_23:                              ;   in Loop: Header=BB23_17 Depth=1
	s_and_not1_saveexec_b32 s10, s10
	s_cbranch_execz .LBB23_25
; %bb.24:                               ;   in Loop: Header=BB23_17 Depth=1
	v_mul_f32_e32 v0, v56, v56
	s_delay_alu instid0(VALU_DEP_1) | instskip(NEXT) | instid1(VALU_DEP_1)
	v_fmaak_f32 v1, s3, v0, 0x3ca908c9
	v_fmaak_f32 v1, v0, v1, 0xbd5c1c4e
	s_delay_alu instid0(VALU_DEP_1) | instskip(NEXT) | instid1(VALU_DEP_1)
	v_fmaak_f32 v1, v0, v1, 0x3e088382
	v_fmaak_f32 v1, v0, v1, 0xbeaaaa99
	s_delay_alu instid0(VALU_DEP_1) | instskip(NEXT) | instid1(VALU_DEP_1)
	v_mul_f32_e64 v1, |v56|, v1
	v_fma_f32 v2, v0, v1, |v56|
.LBB23_25:                              ;   in Loop: Header=BB23_17 Depth=1
	s_or_b32 exec_lo, exec_lo, s10
	v_add_nc_u32_e32 v0, s4, v85
	v_cmp_ngt_f32_e64 s10, 0x3f200000, |v57|
                                        ; implicit-def: $vgpr3
	global_load_u16 v8, v0, s[30:31] scale_offset
	s_wait_xcnt 0x0
	s_and_saveexec_b32 s26, s10
	s_delay_alu instid0(SALU_CYCLE_1)
	s_xor_b32 s10, exec_lo, s26
	s_cbranch_execz .LBB23_27
; %bb.26:                               ;   in Loop: Header=BB23_17 Depth=1
	v_add_f32_e64 v1, |v57|, |v57|
	s_delay_alu instid0(VALU_DEP_1) | instskip(SKIP_1) | instid1(VALU_DEP_2)
	v_mul_f32_e32 v3, 0x3fb8aa3b, v1
	v_cmp_ngt_f32_e32 vcc_lo, 0xc2ce8ed0, v1
	v_rndne_f32_e32 v4, v3
	v_fma_f32 v5, 0x3fb8aa3b, v1, -v3
	s_delay_alu instid0(VALU_DEP_2) | instskip(NEXT) | instid1(VALU_DEP_2)
	v_sub_f32_e32 v3, v3, v4
	v_fmac_f32_e32 v5, 0x32a5705f, v1
	v_cvt_i32_f32_e32 v4, v4
	s_delay_alu instid0(VALU_DEP_2) | instskip(NEXT) | instid1(VALU_DEP_1)
	v_add_f32_e32 v3, v3, v5
	v_exp_f32_e32 v3, v3
	v_nop
	s_delay_alu instid0(TRANS32_DEP_1) | instskip(NEXT) | instid1(VALU_DEP_1)
	v_ldexp_f32 v3, v3, v4
	v_cndmask_b32_e32 v3, 0, v3, vcc_lo
	v_cmp_nlt_f32_e32 vcc_lo, 0x42b17218, v1
	s_delay_alu instid0(VALU_DEP_2) | instskip(NEXT) | instid1(VALU_DEP_1)
	v_cndmask_b32_e32 v1, 0x7f800000, v3, vcc_lo
	v_add_f32_e32 v1, 1.0, v1
	s_delay_alu instid0(VALU_DEP_1) | instskip(SKIP_1) | instid1(TRANS32_DEP_1)
	v_rcp_f32_e32 v1, v1
	v_nop
	v_fma_f32 v3, v1, -2.0, 1.0
.LBB23_27:                              ;   in Loop: Header=BB23_17 Depth=1
	s_and_not1_saveexec_b32 s10, s10
	s_cbranch_execz .LBB23_29
; %bb.28:                               ;   in Loop: Header=BB23_17 Depth=1
	v_mul_f32_e32 v1, v57, v57
	s_delay_alu instid0(VALU_DEP_1) | instskip(NEXT) | instid1(VALU_DEP_1)
	v_fmaak_f32 v3, s3, v1, 0x3ca908c9
	v_fmaak_f32 v3, v1, v3, 0xbd5c1c4e
	s_delay_alu instid0(VALU_DEP_1) | instskip(NEXT) | instid1(VALU_DEP_1)
	v_fmaak_f32 v3, v1, v3, 0x3e088382
	v_fmaak_f32 v3, v1, v3, 0xbeaaaa99
	s_delay_alu instid0(VALU_DEP_1) | instskip(NEXT) | instid1(VALU_DEP_1)
	v_mul_f32_e64 v3, |v57|, v3
	v_fma_f32 v3, v1, v3, |v57|
.LBB23_29:                              ;   in Loop: Header=BB23_17 Depth=1
	s_or_b32 exec_lo, exec_lo, s10
	v_ashrrev_i32_e32 v1, 31, v0
	v_cmp_ngt_f32_e64 s10, 0x3f200000, |v58|
                                        ; implicit-def: $vgpr6
	s_delay_alu instid0(VALU_DEP_2) | instskip(SKIP_3) | instid1(SALU_CYCLE_1)
	v_lshl_add_u64 v[0:1], v[0:1], 1, s[30:31]
	global_load_u16 v9, v[0:1], off offset:64
	s_wait_xcnt 0x0
	s_and_saveexec_b32 s26, s10
	s_xor_b32 s10, exec_lo, s26
	s_cbranch_execz .LBB23_31
; %bb.30:                               ;   in Loop: Header=BB23_17 Depth=1
	v_add_f32_e64 v4, |v58|, |v58|
	s_delay_alu instid0(VALU_DEP_1) | instskip(SKIP_1) | instid1(VALU_DEP_2)
	v_mul_f32_e32 v5, 0x3fb8aa3b, v4
	v_cmp_ngt_f32_e32 vcc_lo, 0xc2ce8ed0, v4
	v_rndne_f32_e32 v6, v5
	v_fma_f32 v7, 0x3fb8aa3b, v4, -v5
	s_delay_alu instid0(VALU_DEP_2) | instskip(NEXT) | instid1(VALU_DEP_2)
	v_sub_f32_e32 v5, v5, v6
	v_fmac_f32_e32 v7, 0x32a5705f, v4
	v_cvt_i32_f32_e32 v6, v6
	s_delay_alu instid0(VALU_DEP_2) | instskip(NEXT) | instid1(VALU_DEP_1)
	v_add_f32_e32 v5, v5, v7
	v_exp_f32_e32 v5, v5
	v_nop
	s_delay_alu instid0(TRANS32_DEP_1) | instskip(NEXT) | instid1(VALU_DEP_1)
	v_ldexp_f32 v5, v5, v6
	v_cndmask_b32_e32 v5, 0, v5, vcc_lo
	v_cmp_nlt_f32_e32 vcc_lo, 0x42b17218, v4
	s_delay_alu instid0(VALU_DEP_2) | instskip(NEXT) | instid1(VALU_DEP_1)
	v_cndmask_b32_e32 v4, 0x7f800000, v5, vcc_lo
	v_add_f32_e32 v4, 1.0, v4
	s_delay_alu instid0(VALU_DEP_1) | instskip(SKIP_1) | instid1(TRANS32_DEP_1)
	v_rcp_f32_e32 v4, v4
	v_nop
	v_fma_f32 v6, v4, -2.0, 1.0
.LBB23_31:                              ;   in Loop: Header=BB23_17 Depth=1
	s_and_not1_saveexec_b32 s10, s10
	s_cbranch_execz .LBB23_33
; %bb.32:                               ;   in Loop: Header=BB23_17 Depth=1
	v_mul_f32_e32 v4, v58, v58
	s_delay_alu instid0(VALU_DEP_1) | instskip(NEXT) | instid1(VALU_DEP_1)
	v_fmaak_f32 v5, s3, v4, 0x3ca908c9
	v_fmaak_f32 v5, v4, v5, 0xbd5c1c4e
	s_delay_alu instid0(VALU_DEP_1) | instskip(NEXT) | instid1(VALU_DEP_1)
	v_fmaak_f32 v5, v4, v5, 0x3e088382
	v_fmaak_f32 v5, v4, v5, 0xbeaaaa99
	s_delay_alu instid0(VALU_DEP_1) | instskip(NEXT) | instid1(VALU_DEP_1)
	v_mul_f32_e64 v5, |v58|, v5
	v_fma_f32 v6, v4, v5, |v58|
.LBB23_33:                              ;   in Loop: Header=BB23_17 Depth=1
	s_or_b32 exec_lo, exec_lo, s10
	global_load_u16 v10, v[0:1], off offset:128
	v_cmp_ngt_f32_e64 s10, 0x3f200000, |v91|
                                        ; implicit-def: $vgpr7
	s_wait_xcnt 0x0
	s_and_saveexec_b32 s26, s10
	s_delay_alu instid0(SALU_CYCLE_1)
	s_xor_b32 s10, exec_lo, s26
	s_cbranch_execz .LBB23_35
; %bb.34:                               ;   in Loop: Header=BB23_17 Depth=1
	v_add_f32_e64 v4, |v91|, |v91|
	s_delay_alu instid0(VALU_DEP_1) | instskip(SKIP_1) | instid1(VALU_DEP_2)
	v_mul_f32_e32 v5, 0x3fb8aa3b, v4
	v_cmp_ngt_f32_e32 vcc_lo, 0xc2ce8ed0, v4
	v_rndne_f32_e32 v7, v5
	v_fma_f32 v11, 0x3fb8aa3b, v4, -v5
	s_delay_alu instid0(VALU_DEP_2) | instskip(NEXT) | instid1(VALU_DEP_2)
	v_sub_f32_e32 v5, v5, v7
	v_fmac_f32_e32 v11, 0x32a5705f, v4
	v_cvt_i32_f32_e32 v7, v7
	s_delay_alu instid0(VALU_DEP_2) | instskip(NEXT) | instid1(VALU_DEP_1)
	v_add_f32_e32 v5, v5, v11
	v_exp_f32_e32 v5, v5
	v_nop
	s_delay_alu instid0(TRANS32_DEP_1) | instskip(NEXT) | instid1(VALU_DEP_1)
	v_ldexp_f32 v5, v5, v7
	v_cndmask_b32_e32 v5, 0, v5, vcc_lo
	v_cmp_nlt_f32_e32 vcc_lo, 0x42b17218, v4
	s_delay_alu instid0(VALU_DEP_2) | instskip(NEXT) | instid1(VALU_DEP_1)
	v_cndmask_b32_e32 v4, 0x7f800000, v5, vcc_lo
	v_add_f32_e32 v4, 1.0, v4
	s_delay_alu instid0(VALU_DEP_1) | instskip(SKIP_1) | instid1(TRANS32_DEP_1)
	v_rcp_f32_e32 v4, v4
	v_nop
	v_fma_f32 v7, v4, -2.0, 1.0
.LBB23_35:                              ;   in Loop: Header=BB23_17 Depth=1
	s_and_not1_saveexec_b32 s10, s10
	s_cbranch_execz .LBB23_37
; %bb.36:                               ;   in Loop: Header=BB23_17 Depth=1
	v_mul_f32_e32 v4, v91, v91
	s_delay_alu instid0(VALU_DEP_1) | instskip(NEXT) | instid1(VALU_DEP_1)
	v_fmaak_f32 v5, s3, v4, 0x3ca908c9
	v_fmaak_f32 v5, v4, v5, 0xbd5c1c4e
	s_delay_alu instid0(VALU_DEP_1) | instskip(NEXT) | instid1(VALU_DEP_1)
	v_fmaak_f32 v5, v4, v5, 0x3e088382
	v_fmaak_f32 v5, v4, v5, 0xbeaaaa99
	s_delay_alu instid0(VALU_DEP_1) | instskip(NEXT) | instid1(VALU_DEP_1)
	v_mul_f32_e64 v5, |v91|, v5
	v_fma_f32 v7, v4, v5, |v91|
.LBB23_37:                              ;   in Loop: Header=BB23_17 Depth=1
	s_or_b32 exec_lo, exec_lo, s10
	global_load_u16 v11, v[0:1], off offset:192
	s_wait_xcnt 0x0
	v_bfi_b32 v0, 0x7fffffff, v2, v56
	v_bfi_b32 v1, 0x7fffffff, v3, v57
	;; [unrolled: 1-line block ×3, first 2 shown]
	v_xor_b32_e32 v95, 16, v79
	v_cmp_ngt_f32_e64 s10, 0x3f200000, |v73|
	s_wait_loadcnt 0x3
	s_wait_kmcnt 0x0
	v_fma_mix_f32 v4, s34, v0, v8 op_sel_hi:[0,0,1]
	s_wait_loadcnt 0x2
	v_fma_mix_f32 v5, s34, v1, v9 op_sel_hi:[0,0,1]
	v_bfi_b32 v0, 0x7fffffff, v6, v58
	v_cmp_gt_i32_e32 vcc_lo, 32, v95
                                        ; implicit-def: $vgpr12
	v_xor_b32_e32 v93, 4, v79
	v_xor_b32_e32 v92, 2, v79
	v_add_f32_e32 v3, 0x40051340, v5
	s_wait_loadcnt 0x1
	v_fma_mix_f32 v6, s34, v0, v10 op_sel_hi:[0,0,1]
	v_dual_add_f32 v1, 0x40051340, v4 :: v_dual_cndmask_b32 v0, v79, v95
	s_delay_alu instid0(VALU_DEP_1) | instskip(SKIP_4) | instid1(VALU_DEP_3)
	v_lshlrev_b32_e32 v0, 2, v0
	s_wait_loadcnt 0x0
	v_fma_mix_f32 v7, s34, v2, v11 op_sel_hi:[0,0,1]
	v_add_f32_e32 v2, 0x40051340, v6
	v_max3_num_f32 v1, v54, v1, v3
	v_add_f32_e32 v3, 0x40051340, v7
	s_delay_alu instid0(VALU_DEP_1) | instskip(SKIP_3) | instid1(VALU_DEP_1)
	v_max3_num_f32 v1, v1, v2, v3
	ds_bpermute_b32 v2, v0, v1
	s_wait_dscnt 0x0
	v_dual_max_num_f32 v2, v2, v2 :: v_dual_bitop2_b32 v94, 8, v79 bitop3:0x14
	v_max_num_f32_e32 v1, v1, v2
	s_delay_alu instid0(VALU_DEP_2) | instskip(SKIP_2) | instid1(VALU_DEP_2)
	v_cmp_gt_i32_e32 vcc_lo, 32, v94
	v_cndmask_b32_e32 v3, v79, v94, vcc_lo
	v_cmp_gt_i32_e32 vcc_lo, 32, v93
	v_dual_cndmask_b32 v3, v79, v93 :: v_dual_lshlrev_b32 v58, 2, v3
	v_cmp_gt_i32_e32 vcc_lo, 32, v92
	ds_bpermute_b32 v2, v58, v1
	s_wait_dscnt 0x0
	v_dual_max_num_f32 v2, v2, v2 :: v_dual_lshlrev_b32 v57, 2, v3
	s_delay_alu instid0(VALU_DEP_1) | instskip(SKIP_3) | instid1(VALU_DEP_1)
	v_max_num_f32_e32 v1, v1, v2
	ds_bpermute_b32 v2, v57, v1
	s_wait_dscnt 0x0
	v_dual_cndmask_b32 v3, v79, v92 :: v_dual_max_num_f32 v2, v2, v2
	v_dual_max_num_f32 v1, v1, v2 :: v_dual_lshlrev_b32 v56, 2, v3
	ds_bpermute_b32 v2, v56, v1
	s_wait_dscnt 0x0
	v_dual_max_num_f32 v2, v2, v2 :: v_dual_bitop2_b32 v91, 1, v79 bitop3:0x14
	s_delay_alu instid0(VALU_DEP_1) | instskip(NEXT) | instid1(VALU_DEP_2)
	v_cmp_gt_i32_e32 vcc_lo, 32, v91
	v_dual_max_num_f32 v1, v1, v2 :: v_dual_cndmask_b32 v3, v79, v91, vcc_lo
	s_delay_alu instid0(VALU_DEP_1) | instskip(SKIP_2) | instid1(SALU_CYCLE_1)
	v_lshlrev_b32_e32 v3, 2, v3
	ds_bpermute_b32 v2, v3, v1
	s_and_saveexec_b32 s26, s10
	s_xor_b32 s10, exec_lo, s26
	s_cbranch_execz .LBB23_39
; %bb.38:                               ;   in Loop: Header=BB23_17 Depth=1
	v_add_f32_e64 v12, |v73|, |v73|
	s_delay_alu instid0(VALU_DEP_1) | instskip(SKIP_1) | instid1(VALU_DEP_2)
	v_mul_f32_e32 v13, 0x3fb8aa3b, v12
	v_cmp_ngt_f32_e32 vcc_lo, 0xc2ce8ed0, v12
	v_rndne_f32_e32 v14, v13
	v_fma_f32 v15, 0x3fb8aa3b, v12, -v13
	s_delay_alu instid0(VALU_DEP_2) | instskip(NEXT) | instid1(VALU_DEP_2)
	v_sub_f32_e32 v13, v13, v14
	v_fmac_f32_e32 v15, 0x32a5705f, v12
	v_cvt_i32_f32_e32 v14, v14
	s_delay_alu instid0(VALU_DEP_2) | instskip(NEXT) | instid1(VALU_DEP_1)
	v_add_f32_e32 v13, v13, v15
	v_exp_f32_e32 v13, v13
	v_nop
	s_delay_alu instid0(TRANS32_DEP_1) | instskip(NEXT) | instid1(VALU_DEP_1)
	v_ldexp_f32 v13, v13, v14
	v_cndmask_b32_e32 v13, 0, v13, vcc_lo
	v_cmp_nlt_f32_e32 vcc_lo, 0x42b17218, v12
	s_delay_alu instid0(VALU_DEP_2) | instskip(NEXT) | instid1(VALU_DEP_1)
	v_cndmask_b32_e32 v12, 0x7f800000, v13, vcc_lo
	v_add_f32_e32 v12, 1.0, v12
	s_delay_alu instid0(VALU_DEP_1) | instskip(SKIP_1) | instid1(TRANS32_DEP_1)
	v_rcp_f32_e32 v12, v12
	v_nop
	v_fma_f32 v12, v12, -2.0, 1.0
.LBB23_39:                              ;   in Loop: Header=BB23_17 Depth=1
	s_and_not1_saveexec_b32 s10, s10
	s_cbranch_execz .LBB23_41
; %bb.40:                               ;   in Loop: Header=BB23_17 Depth=1
	v_mul_f32_e32 v12, v73, v73
	s_delay_alu instid0(VALU_DEP_1) | instskip(NEXT) | instid1(VALU_DEP_1)
	v_fmaak_f32 v13, s3, v12, 0x3ca908c9
	v_fmaak_f32 v13, v12, v13, 0xbd5c1c4e
	s_delay_alu instid0(VALU_DEP_1) | instskip(NEXT) | instid1(VALU_DEP_1)
	v_fmaak_f32 v13, v12, v13, 0x3e088382
	v_fmaak_f32 v13, v12, v13, 0xbeaaaa99
	s_delay_alu instid0(VALU_DEP_1) | instskip(NEXT) | instid1(VALU_DEP_1)
	v_mul_f32_e64 v13, |v73|, v13
	v_fma_f32 v12, v12, v13, |v73|
.LBB23_41:                              ;   in Loop: Header=BB23_17 Depth=1
	s_or_b32 exec_lo, exec_lo, s10
	v_cmp_ngt_f32_e64 s10, 0x3f200000, |v117|
                                        ; implicit-def: $vgpr13
	s_and_saveexec_b32 s26, s10
	s_delay_alu instid0(SALU_CYCLE_1)
	s_xor_b32 s10, exec_lo, s26
	s_cbranch_execz .LBB23_43
; %bb.42:                               ;   in Loop: Header=BB23_17 Depth=1
	v_add_f32_e64 v13, |v117|, |v117|
	s_delay_alu instid0(VALU_DEP_1) | instskip(SKIP_1) | instid1(VALU_DEP_2)
	v_mul_f32_e32 v14, 0x3fb8aa3b, v13
	v_cmp_ngt_f32_e32 vcc_lo, 0xc2ce8ed0, v13
	v_rndne_f32_e32 v15, v14
	v_fma_f32 v16, 0x3fb8aa3b, v13, -v14
	s_delay_alu instid0(VALU_DEP_2) | instskip(NEXT) | instid1(VALU_DEP_2)
	v_sub_f32_e32 v14, v14, v15
	v_fmac_f32_e32 v16, 0x32a5705f, v13
	v_cvt_i32_f32_e32 v15, v15
	s_delay_alu instid0(VALU_DEP_2) | instskip(NEXT) | instid1(VALU_DEP_1)
	v_add_f32_e32 v14, v14, v16
	v_exp_f32_e32 v14, v14
	v_nop
	s_delay_alu instid0(TRANS32_DEP_1) | instskip(NEXT) | instid1(VALU_DEP_1)
	v_ldexp_f32 v14, v14, v15
	v_cndmask_b32_e32 v14, 0, v14, vcc_lo
	v_cmp_nlt_f32_e32 vcc_lo, 0x42b17218, v13
	s_delay_alu instid0(VALU_DEP_2) | instskip(NEXT) | instid1(VALU_DEP_1)
	v_cndmask_b32_e32 v13, 0x7f800000, v14, vcc_lo
	v_add_f32_e32 v13, 1.0, v13
	s_delay_alu instid0(VALU_DEP_1) | instskip(SKIP_1) | instid1(TRANS32_DEP_1)
	v_rcp_f32_e32 v13, v13
	v_nop
	v_fma_f32 v13, v13, -2.0, 1.0
.LBB23_43:                              ;   in Loop: Header=BB23_17 Depth=1
	s_and_not1_saveexec_b32 s10, s10
	s_cbranch_execz .LBB23_45
; %bb.44:                               ;   in Loop: Header=BB23_17 Depth=1
	v_mul_f32_e32 v13, v117, v117
	s_delay_alu instid0(VALU_DEP_1) | instskip(NEXT) | instid1(VALU_DEP_1)
	v_fmaak_f32 v14, s3, v13, 0x3ca908c9
	v_fmaak_f32 v14, v13, v14, 0xbd5c1c4e
	s_delay_alu instid0(VALU_DEP_1) | instskip(NEXT) | instid1(VALU_DEP_1)
	v_fmaak_f32 v14, v13, v14, 0x3e088382
	v_fmaak_f32 v14, v13, v14, 0xbeaaaa99
	s_delay_alu instid0(VALU_DEP_1) | instskip(NEXT) | instid1(VALU_DEP_1)
	v_mul_f32_e64 v14, |v117|, v14
	v_fma_f32 v13, v13, v14, |v117|
.LBB23_45:                              ;   in Loop: Header=BB23_17 Depth=1
	s_or_b32 exec_lo, exec_lo, s10
	v_cmp_ngt_f32_e64 s10, 0x3f200000, |v71|
                                        ; implicit-def: $vgpr14
	s_and_saveexec_b32 s26, s10
	s_delay_alu instid0(SALU_CYCLE_1)
	s_xor_b32 s10, exec_lo, s26
	s_cbranch_execz .LBB23_47
; %bb.46:                               ;   in Loop: Header=BB23_17 Depth=1
	v_add_f32_e64 v14, |v71|, |v71|
	s_delay_alu instid0(VALU_DEP_1) | instskip(SKIP_1) | instid1(VALU_DEP_2)
	v_mul_f32_e32 v15, 0x3fb8aa3b, v14
	v_cmp_ngt_f32_e32 vcc_lo, 0xc2ce8ed0, v14
	v_rndne_f32_e32 v16, v15
	v_fma_f32 v17, 0x3fb8aa3b, v14, -v15
	s_delay_alu instid0(VALU_DEP_2) | instskip(NEXT) | instid1(VALU_DEP_2)
	v_sub_f32_e32 v15, v15, v16
	v_fmac_f32_e32 v17, 0x32a5705f, v14
	v_cvt_i32_f32_e32 v16, v16
	s_delay_alu instid0(VALU_DEP_2) | instskip(NEXT) | instid1(VALU_DEP_1)
	v_add_f32_e32 v15, v15, v17
	v_exp_f32_e32 v15, v15
	v_nop
	s_delay_alu instid0(TRANS32_DEP_1) | instskip(NEXT) | instid1(VALU_DEP_1)
	v_ldexp_f32 v15, v15, v16
	v_cndmask_b32_e32 v15, 0, v15, vcc_lo
	v_cmp_nlt_f32_e32 vcc_lo, 0x42b17218, v14
	s_delay_alu instid0(VALU_DEP_2) | instskip(NEXT) | instid1(VALU_DEP_1)
	v_cndmask_b32_e32 v14, 0x7f800000, v15, vcc_lo
	v_add_f32_e32 v14, 1.0, v14
	s_delay_alu instid0(VALU_DEP_1) | instskip(SKIP_1) | instid1(TRANS32_DEP_1)
	v_rcp_f32_e32 v14, v14
	v_nop
	v_fma_f32 v14, v14, -2.0, 1.0
.LBB23_47:                              ;   in Loop: Header=BB23_17 Depth=1
	s_and_not1_saveexec_b32 s10, s10
	s_cbranch_execz .LBB23_49
; %bb.48:                               ;   in Loop: Header=BB23_17 Depth=1
	v_mul_f32_e32 v14, v71, v71
	s_delay_alu instid0(VALU_DEP_1) | instskip(NEXT) | instid1(VALU_DEP_1)
	v_fmaak_f32 v15, s3, v14, 0x3ca908c9
	v_fmaak_f32 v15, v14, v15, 0xbd5c1c4e
	s_delay_alu instid0(VALU_DEP_1) | instskip(NEXT) | instid1(VALU_DEP_1)
	v_fmaak_f32 v15, v14, v15, 0x3e088382
	v_fmaak_f32 v15, v14, v15, 0xbeaaaa99
	s_delay_alu instid0(VALU_DEP_1) | instskip(NEXT) | instid1(VALU_DEP_1)
	v_mul_f32_e64 v15, |v71|, v15
	v_fma_f32 v14, v14, v15, |v71|
.LBB23_49:                              ;   in Loop: Header=BB23_17 Depth=1
	s_or_b32 exec_lo, exec_lo, s10
	v_cmp_ngt_f32_e64 s10, 0x3f200000, |v72|
                                        ; implicit-def: $vgpr15
	s_and_saveexec_b32 s26, s10
	s_delay_alu instid0(SALU_CYCLE_1)
	s_xor_b32 s10, exec_lo, s26
	s_cbranch_execz .LBB23_51
; %bb.50:                               ;   in Loop: Header=BB23_17 Depth=1
	v_add_f32_e64 v15, |v72|, |v72|
	s_delay_alu instid0(VALU_DEP_1) | instskip(SKIP_1) | instid1(VALU_DEP_2)
	v_mul_f32_e32 v16, 0x3fb8aa3b, v15
	v_cmp_ngt_f32_e32 vcc_lo, 0xc2ce8ed0, v15
	v_rndne_f32_e32 v17, v16
	v_fma_f32 v18, 0x3fb8aa3b, v15, -v16
	s_delay_alu instid0(VALU_DEP_2) | instskip(NEXT) | instid1(VALU_DEP_2)
	v_sub_f32_e32 v16, v16, v17
	v_fmac_f32_e32 v18, 0x32a5705f, v15
	v_cvt_i32_f32_e32 v17, v17
	s_delay_alu instid0(VALU_DEP_2) | instskip(NEXT) | instid1(VALU_DEP_1)
	v_add_f32_e32 v16, v16, v18
	v_exp_f32_e32 v16, v16
	v_nop
	s_delay_alu instid0(TRANS32_DEP_1) | instskip(NEXT) | instid1(VALU_DEP_1)
	v_ldexp_f32 v16, v16, v17
	v_cndmask_b32_e32 v16, 0, v16, vcc_lo
	v_cmp_nlt_f32_e32 vcc_lo, 0x42b17218, v15
	s_delay_alu instid0(VALU_DEP_2) | instskip(NEXT) | instid1(VALU_DEP_1)
	v_cndmask_b32_e32 v15, 0x7f800000, v16, vcc_lo
	v_add_f32_e32 v15, 1.0, v15
	s_delay_alu instid0(VALU_DEP_1) | instskip(SKIP_1) | instid1(TRANS32_DEP_1)
	v_rcp_f32_e32 v15, v15
	v_nop
	v_fma_f32 v15, v15, -2.0, 1.0
.LBB23_51:                              ;   in Loop: Header=BB23_17 Depth=1
	s_and_not1_saveexec_b32 s10, s10
	s_cbranch_execz .LBB23_53
; %bb.52:                               ;   in Loop: Header=BB23_17 Depth=1
	v_mul_f32_e32 v15, v72, v72
	s_delay_alu instid0(VALU_DEP_1) | instskip(NEXT) | instid1(VALU_DEP_1)
	v_fmaak_f32 v16, s3, v15, 0x3ca908c9
	v_fmaak_f32 v16, v15, v16, 0xbd5c1c4e
	s_delay_alu instid0(VALU_DEP_1) | instskip(NEXT) | instid1(VALU_DEP_1)
	v_fmaak_f32 v16, v15, v16, 0x3e088382
	v_fmaak_f32 v16, v15, v16, 0xbeaaaa99
	s_delay_alu instid0(VALU_DEP_1) | instskip(NEXT) | instid1(VALU_DEP_1)
	v_mul_f32_e64 v16, |v72|, v16
	v_fma_f32 v15, v15, v16, |v72|
.LBB23_53:                              ;   in Loop: Header=BB23_17 Depth=1
	s_or_b32 exec_lo, exec_lo, s10
	v_cvt_f32_f16_e32 v23, v8
	v_bfi_b32 v8, 0x7fffffff, v12, v73
	v_cvt_f32_f16_e32 v22, v9
	v_bfi_b32 v12, 0x7fffffff, v13, v117
	v_cvt_f32_f16_e32 v21, v10
	v_cvt_f32_f16_e32 v20, v11
	v_fma_f32 v9, s34, v8, v23
	v_bfi_b32 v8, 0x7fffffff, v14, v71
	v_bfi_b32 v10, 0x7fffffff, v15, v72
	v_fma_f32 v11, s34, v12, v22
	v_cmp_ngt_f32_e64 s10, 0x3f200000, |v67|
	s_delay_alu instid0(VALU_DEP_3) | instskip(NEXT) | instid1(VALU_DEP_3)
	v_dual_fma_f32 v8, s34, v8, v21 :: v_dual_fma_f32 v10, s34, v10, v20
	v_dual_add_f32 v12, 0x40051340, v9 :: v_dual_add_f32 v13, 0x40051340, v11
	s_delay_alu instid0(VALU_DEP_2) | instskip(NEXT) | instid1(VALU_DEP_2)
	v_add_f32_e32 v14, 0x40051340, v8
	v_max3_num_f32 v12, v55, v12, v13
	s_delay_alu instid0(VALU_DEP_4) | instskip(NEXT) | instid1(VALU_DEP_1)
	v_add_f32_e32 v13, 0x40051340, v10
	v_max3_num_f32 v12, v12, v14, v13
                                        ; implicit-def: $vgpr14
	ds_bpermute_b32 v13, v0, v12
	s_wait_dscnt 0x0
	v_max_num_f32_e32 v13, v13, v13
	s_delay_alu instid0(VALU_DEP_1) | instskip(SKIP_3) | instid1(VALU_DEP_1)
	v_max_num_f32_e32 v12, v12, v13
	ds_bpermute_b32 v13, v58, v12
	s_wait_dscnt 0x0
	v_max_num_f32_e32 v13, v13, v13
	v_max_num_f32_e32 v12, v12, v13
	ds_bpermute_b32 v13, v57, v12
	s_wait_dscnt 0x0
	v_max_num_f32_e32 v13, v13, v13
	s_delay_alu instid0(VALU_DEP_1) | instskip(SKIP_3) | instid1(VALU_DEP_1)
	v_max_num_f32_e32 v12, v12, v13
	ds_bpermute_b32 v13, v56, v12
	s_wait_dscnt 0x0
	v_max_num_f32_e32 v13, v13, v13
	v_max_num_f32_e32 v12, v12, v13
	ds_bpermute_b32 v13, v3, v12
	s_and_saveexec_b32 s26, s10
	s_delay_alu instid0(SALU_CYCLE_1)
	s_xor_b32 s10, exec_lo, s26
	s_cbranch_execz .LBB23_55
; %bb.54:                               ;   in Loop: Header=BB23_17 Depth=1
	v_add_f32_e64 v14, |v67|, |v67|
	s_delay_alu instid0(VALU_DEP_1) | instskip(SKIP_1) | instid1(VALU_DEP_2)
	v_mul_f32_e32 v15, 0x3fb8aa3b, v14
	v_cmp_ngt_f32_e32 vcc_lo, 0xc2ce8ed0, v14
	v_rndne_f32_e32 v16, v15
	v_fma_f32 v17, 0x3fb8aa3b, v14, -v15
	s_delay_alu instid0(VALU_DEP_2) | instskip(NEXT) | instid1(VALU_DEP_2)
	v_sub_f32_e32 v15, v15, v16
	v_fmac_f32_e32 v17, 0x32a5705f, v14
	v_cvt_i32_f32_e32 v16, v16
	s_delay_alu instid0(VALU_DEP_2) | instskip(NEXT) | instid1(VALU_DEP_1)
	v_add_f32_e32 v15, v15, v17
	v_exp_f32_e32 v15, v15
	v_nop
	s_delay_alu instid0(TRANS32_DEP_1) | instskip(NEXT) | instid1(VALU_DEP_1)
	v_ldexp_f32 v15, v15, v16
	v_cndmask_b32_e32 v15, 0, v15, vcc_lo
	v_cmp_nlt_f32_e32 vcc_lo, 0x42b17218, v14
	s_delay_alu instid0(VALU_DEP_2) | instskip(NEXT) | instid1(VALU_DEP_1)
	v_cndmask_b32_e32 v14, 0x7f800000, v15, vcc_lo
	v_add_f32_e32 v14, 1.0, v14
	s_delay_alu instid0(VALU_DEP_1) | instskip(SKIP_1) | instid1(TRANS32_DEP_1)
	v_rcp_f32_e32 v14, v14
	v_nop
	v_fma_f32 v14, v14, -2.0, 1.0
.LBB23_55:                              ;   in Loop: Header=BB23_17 Depth=1
	s_and_not1_saveexec_b32 s10, s10
	s_cbranch_execz .LBB23_57
; %bb.56:                               ;   in Loop: Header=BB23_17 Depth=1
	v_mul_f32_e32 v14, v67, v67
	s_delay_alu instid0(VALU_DEP_1) | instskip(NEXT) | instid1(VALU_DEP_1)
	v_fmaak_f32 v15, s3, v14, 0x3ca908c9
	v_fmaak_f32 v15, v14, v15, 0xbd5c1c4e
	s_delay_alu instid0(VALU_DEP_1) | instskip(NEXT) | instid1(VALU_DEP_1)
	v_fmaak_f32 v15, v14, v15, 0x3e088382
	v_fmaak_f32 v15, v14, v15, 0xbeaaaa99
	s_delay_alu instid0(VALU_DEP_1) | instskip(NEXT) | instid1(VALU_DEP_1)
	v_mul_f32_e64 v15, |v67|, v15
	v_fma_f32 v14, v14, v15, |v67|
.LBB23_57:                              ;   in Loop: Header=BB23_17 Depth=1
	s_or_b32 exec_lo, exec_lo, s10
	v_cmp_ngt_f32_e64 s10, 0x3f200000, |v69|
                                        ; implicit-def: $vgpr15
	s_and_saveexec_b32 s26, s10
	s_delay_alu instid0(SALU_CYCLE_1)
	s_xor_b32 s10, exec_lo, s26
	s_cbranch_execz .LBB23_59
; %bb.58:                               ;   in Loop: Header=BB23_17 Depth=1
	v_add_f32_e64 v15, |v69|, |v69|
	s_delay_alu instid0(VALU_DEP_1) | instskip(SKIP_1) | instid1(VALU_DEP_2)
	v_mul_f32_e32 v16, 0x3fb8aa3b, v15
	v_cmp_ngt_f32_e32 vcc_lo, 0xc2ce8ed0, v15
	v_rndne_f32_e32 v17, v16
	v_fma_f32 v18, 0x3fb8aa3b, v15, -v16
	s_delay_alu instid0(VALU_DEP_2) | instskip(NEXT) | instid1(VALU_DEP_2)
	v_sub_f32_e32 v16, v16, v17
	v_fmac_f32_e32 v18, 0x32a5705f, v15
	v_cvt_i32_f32_e32 v17, v17
	s_delay_alu instid0(VALU_DEP_2) | instskip(NEXT) | instid1(VALU_DEP_1)
	v_add_f32_e32 v16, v16, v18
	v_exp_f32_e32 v16, v16
	v_nop
	s_delay_alu instid0(TRANS32_DEP_1) | instskip(NEXT) | instid1(VALU_DEP_1)
	v_ldexp_f32 v16, v16, v17
	v_cndmask_b32_e32 v16, 0, v16, vcc_lo
	v_cmp_nlt_f32_e32 vcc_lo, 0x42b17218, v15
	s_delay_alu instid0(VALU_DEP_2) | instskip(NEXT) | instid1(VALU_DEP_1)
	v_cndmask_b32_e32 v15, 0x7f800000, v16, vcc_lo
	v_add_f32_e32 v15, 1.0, v15
	s_delay_alu instid0(VALU_DEP_1) | instskip(SKIP_1) | instid1(TRANS32_DEP_1)
	v_rcp_f32_e32 v15, v15
	v_nop
	v_fma_f32 v15, v15, -2.0, 1.0
.LBB23_59:                              ;   in Loop: Header=BB23_17 Depth=1
	s_and_not1_saveexec_b32 s10, s10
	s_cbranch_execz .LBB23_61
; %bb.60:                               ;   in Loop: Header=BB23_17 Depth=1
	v_mul_f32_e32 v15, v69, v69
	s_delay_alu instid0(VALU_DEP_1) | instskip(NEXT) | instid1(VALU_DEP_1)
	v_fmaak_f32 v16, s3, v15, 0x3ca908c9
	v_fmaak_f32 v16, v15, v16, 0xbd5c1c4e
	s_delay_alu instid0(VALU_DEP_1) | instskip(NEXT) | instid1(VALU_DEP_1)
	v_fmaak_f32 v16, v15, v16, 0x3e088382
	v_fmaak_f32 v16, v15, v16, 0xbeaaaa99
	s_delay_alu instid0(VALU_DEP_1) | instskip(NEXT) | instid1(VALU_DEP_1)
	v_mul_f32_e64 v16, |v69|, v16
	v_fma_f32 v15, v15, v16, |v69|
.LBB23_61:                              ;   in Loop: Header=BB23_17 Depth=1
	s_or_b32 exec_lo, exec_lo, s10
	v_cmp_ngt_f32_e64 s10, 0x3f200000, |v70|
                                        ; implicit-def: $vgpr16
	s_and_saveexec_b32 s26, s10
	s_delay_alu instid0(SALU_CYCLE_1)
	s_xor_b32 s10, exec_lo, s26
	s_cbranch_execz .LBB23_63
; %bb.62:                               ;   in Loop: Header=BB23_17 Depth=1
	v_add_f32_e64 v16, |v70|, |v70|
	s_delay_alu instid0(VALU_DEP_1) | instskip(SKIP_1) | instid1(VALU_DEP_2)
	v_mul_f32_e32 v17, 0x3fb8aa3b, v16
	v_cmp_ngt_f32_e32 vcc_lo, 0xc2ce8ed0, v16
	v_rndne_f32_e32 v18, v17
	v_fma_f32 v19, 0x3fb8aa3b, v16, -v17
	s_delay_alu instid0(VALU_DEP_2) | instskip(NEXT) | instid1(VALU_DEP_2)
	v_sub_f32_e32 v17, v17, v18
	v_fmac_f32_e32 v19, 0x32a5705f, v16
	v_cvt_i32_f32_e32 v18, v18
	s_delay_alu instid0(VALU_DEP_2) | instskip(NEXT) | instid1(VALU_DEP_1)
	v_add_f32_e32 v17, v17, v19
	v_exp_f32_e32 v17, v17
	v_nop
	s_delay_alu instid0(TRANS32_DEP_1) | instskip(NEXT) | instid1(VALU_DEP_1)
	v_ldexp_f32 v17, v17, v18
	v_cndmask_b32_e32 v17, 0, v17, vcc_lo
	v_cmp_nlt_f32_e32 vcc_lo, 0x42b17218, v16
	s_delay_alu instid0(VALU_DEP_2) | instskip(NEXT) | instid1(VALU_DEP_1)
	v_cndmask_b32_e32 v16, 0x7f800000, v17, vcc_lo
	v_add_f32_e32 v16, 1.0, v16
	s_delay_alu instid0(VALU_DEP_1) | instskip(SKIP_1) | instid1(TRANS32_DEP_1)
	v_rcp_f32_e32 v16, v16
	v_nop
	v_fma_f32 v16, v16, -2.0, 1.0
.LBB23_63:                              ;   in Loop: Header=BB23_17 Depth=1
	s_and_not1_saveexec_b32 s10, s10
	s_cbranch_execz .LBB23_65
; %bb.64:                               ;   in Loop: Header=BB23_17 Depth=1
	v_mul_f32_e32 v16, v70, v70
	s_delay_alu instid0(VALU_DEP_1) | instskip(NEXT) | instid1(VALU_DEP_1)
	v_fmaak_f32 v17, s3, v16, 0x3ca908c9
	v_fmaak_f32 v17, v16, v17, 0xbd5c1c4e
	s_delay_alu instid0(VALU_DEP_1) | instskip(NEXT) | instid1(VALU_DEP_1)
	v_fmaak_f32 v17, v16, v17, 0x3e088382
	v_fmaak_f32 v17, v16, v17, 0xbeaaaa99
	s_delay_alu instid0(VALU_DEP_1) | instskip(NEXT) | instid1(VALU_DEP_1)
	v_mul_f32_e64 v17, |v70|, v17
	v_fma_f32 v16, v16, v17, |v70|
.LBB23_65:                              ;   in Loop: Header=BB23_17 Depth=1
	s_or_b32 exec_lo, exec_lo, s10
	v_cmp_ngt_f32_e64 s10, 0x3f200000, |v68|
                                        ; implicit-def: $vgpr17
	s_and_saveexec_b32 s26, s10
	s_delay_alu instid0(SALU_CYCLE_1)
	s_xor_b32 s10, exec_lo, s26
	s_cbranch_execz .LBB23_67
; %bb.66:                               ;   in Loop: Header=BB23_17 Depth=1
	v_add_f32_e64 v17, |v68|, |v68|
	s_delay_alu instid0(VALU_DEP_1) | instskip(SKIP_1) | instid1(VALU_DEP_2)
	v_mul_f32_e32 v18, 0x3fb8aa3b, v17
	v_cmp_ngt_f32_e32 vcc_lo, 0xc2ce8ed0, v17
	v_rndne_f32_e32 v19, v18
	v_fma_f32 v71, 0x3fb8aa3b, v17, -v18
	s_delay_alu instid0(VALU_DEP_1) | instskip(SKIP_1) | instid1(VALU_DEP_2)
	v_dual_sub_f32 v18, v18, v19 :: v_dual_fmac_f32 v71, 0x32a5705f, v17
	v_cvt_i32_f32_e32 v19, v19
	v_add_f32_e32 v18, v18, v71
	s_delay_alu instid0(VALU_DEP_1) | instskip(SKIP_1) | instid1(TRANS32_DEP_1)
	v_exp_f32_e32 v18, v18
	v_nop
	v_ldexp_f32 v18, v18, v19
	s_delay_alu instid0(VALU_DEP_1) | instskip(SKIP_1) | instid1(VALU_DEP_2)
	v_cndmask_b32_e32 v18, 0, v18, vcc_lo
	v_cmp_nlt_f32_e32 vcc_lo, 0x42b17218, v17
	v_cndmask_b32_e32 v17, 0x7f800000, v18, vcc_lo
	s_delay_alu instid0(VALU_DEP_1) | instskip(NEXT) | instid1(VALU_DEP_1)
	v_add_f32_e32 v17, 1.0, v17
	v_rcp_f32_e32 v17, v17
	v_nop
	s_delay_alu instid0(TRANS32_DEP_1)
	v_fma_f32 v17, v17, -2.0, 1.0
.LBB23_67:                              ;   in Loop: Header=BB23_17 Depth=1
	s_and_not1_saveexec_b32 s10, s10
	s_cbranch_execz .LBB23_69
; %bb.68:                               ;   in Loop: Header=BB23_17 Depth=1
	v_mul_f32_e32 v17, v68, v68
	s_delay_alu instid0(VALU_DEP_1) | instskip(NEXT) | instid1(VALU_DEP_1)
	v_fmaak_f32 v18, s3, v17, 0x3ca908c9
	v_fmaak_f32 v18, v17, v18, 0xbd5c1c4e
	s_delay_alu instid0(VALU_DEP_1) | instskip(NEXT) | instid1(VALU_DEP_1)
	v_fmaak_f32 v18, v17, v18, 0x3e088382
	v_fmaak_f32 v18, v17, v18, 0xbeaaaa99
	s_delay_alu instid0(VALU_DEP_1) | instskip(NEXT) | instid1(VALU_DEP_1)
	v_mul_f32_e64 v18, |v68|, v18
	v_fma_f32 v17, v17, v18, |v68|
.LBB23_69:                              ;   in Loop: Header=BB23_17 Depth=1
	s_or_b32 exec_lo, exec_lo, s10
	v_bfi_b32 v14, 0x7fffffff, v14, v67
	v_bfi_b32 v15, 0x7fffffff, v15, v69
	;; [unrolled: 1-line block ×3, first 2 shown]
	v_cmp_ngt_f32_e64 s10, 0x3f200000, |v60|
	s_delay_alu instid0(VALU_DEP_3) | instskip(SKIP_1) | instid1(VALU_DEP_4)
	v_dual_fma_f32 v70, s34, v14, v23 :: v_dual_fma_f32 v69, s34, v15, v22
	v_bfi_b32 v14, 0x7fffffff, v17, v68
	v_fma_f32 v68, s34, v16, v21
	s_delay_alu instid0(VALU_DEP_3) | instskip(NEXT) | instid1(VALU_DEP_3)
	v_dual_add_f32 v15, 0x40051340, v70 :: v_dual_add_f32 v16, 0x40051340, v69
	v_fma_f32 v67, s34, v14, v20
	s_delay_alu instid0(VALU_DEP_3) | instskip(NEXT) | instid1(VALU_DEP_3)
	v_add_f32_e32 v14, 0x40051340, v68
	v_max3_num_f32 v15, v66, v15, v16
	s_delay_alu instid0(VALU_DEP_3) | instskip(NEXT) | instid1(VALU_DEP_1)
	v_add_f32_e32 v16, 0x40051340, v67
	v_max3_num_f32 v14, v15, v14, v16
                                        ; implicit-def: $vgpr16
	ds_bpermute_b32 v15, v0, v14
	s_wait_dscnt 0x0
	v_max_num_f32_e32 v15, v15, v15
	s_delay_alu instid0(VALU_DEP_1) | instskip(SKIP_3) | instid1(VALU_DEP_1)
	v_max_num_f32_e32 v14, v14, v15
	ds_bpermute_b32 v15, v58, v14
	s_wait_dscnt 0x0
	v_max_num_f32_e32 v15, v15, v15
	v_max_num_f32_e32 v14, v14, v15
	ds_bpermute_b32 v15, v57, v14
	s_wait_dscnt 0x0
	v_max_num_f32_e32 v15, v15, v15
	s_delay_alu instid0(VALU_DEP_1) | instskip(SKIP_3) | instid1(VALU_DEP_1)
	v_max_num_f32_e32 v14, v14, v15
	ds_bpermute_b32 v15, v56, v14
	s_wait_dscnt 0x0
	v_max_num_f32_e32 v15, v15, v15
	v_max_num_f32_e32 v14, v14, v15
	ds_bpermute_b32 v15, v3, v14
	s_and_saveexec_b32 s26, s10
	s_delay_alu instid0(SALU_CYCLE_1)
	s_xor_b32 s10, exec_lo, s26
	s_cbranch_execz .LBB23_71
; %bb.70:                               ;   in Loop: Header=BB23_17 Depth=1
	v_add_f32_e64 v16, |v60|, |v60|
	s_delay_alu instid0(VALU_DEP_1) | instskip(SKIP_1) | instid1(VALU_DEP_2)
	v_mul_f32_e32 v17, 0x3fb8aa3b, v16
	v_cmp_ngt_f32_e32 vcc_lo, 0xc2ce8ed0, v16
	v_rndne_f32_e32 v18, v17
	v_fma_f32 v19, 0x3fb8aa3b, v16, -v17
	s_delay_alu instid0(VALU_DEP_2) | instskip(NEXT) | instid1(VALU_DEP_2)
	v_sub_f32_e32 v17, v17, v18
	v_fmac_f32_e32 v19, 0x32a5705f, v16
	v_cvt_i32_f32_e32 v18, v18
	s_delay_alu instid0(VALU_DEP_2) | instskip(NEXT) | instid1(VALU_DEP_1)
	v_add_f32_e32 v17, v17, v19
	v_exp_f32_e32 v17, v17
	v_nop
	s_delay_alu instid0(TRANS32_DEP_1) | instskip(NEXT) | instid1(VALU_DEP_1)
	v_ldexp_f32 v17, v17, v18
	v_cndmask_b32_e32 v17, 0, v17, vcc_lo
	v_cmp_nlt_f32_e32 vcc_lo, 0x42b17218, v16
	s_delay_alu instid0(VALU_DEP_2) | instskip(NEXT) | instid1(VALU_DEP_1)
	v_cndmask_b32_e32 v16, 0x7f800000, v17, vcc_lo
	v_add_f32_e32 v16, 1.0, v16
	s_delay_alu instid0(VALU_DEP_1) | instskip(SKIP_1) | instid1(TRANS32_DEP_1)
	v_rcp_f32_e32 v16, v16
	v_nop
	v_fma_f32 v16, v16, -2.0, 1.0
.LBB23_71:                              ;   in Loop: Header=BB23_17 Depth=1
	s_and_not1_saveexec_b32 s10, s10
	s_cbranch_execz .LBB23_73
; %bb.72:                               ;   in Loop: Header=BB23_17 Depth=1
	v_mul_f32_e32 v16, v60, v60
	s_delay_alu instid0(VALU_DEP_1) | instskip(NEXT) | instid1(VALU_DEP_1)
	v_fmaak_f32 v17, s3, v16, 0x3ca908c9
	v_fmaak_f32 v17, v16, v17, 0xbd5c1c4e
	s_delay_alu instid0(VALU_DEP_1) | instskip(NEXT) | instid1(VALU_DEP_1)
	v_fmaak_f32 v17, v16, v17, 0x3e088382
	v_fmaak_f32 v17, v16, v17, 0xbeaaaa99
	s_delay_alu instid0(VALU_DEP_1) | instskip(NEXT) | instid1(VALU_DEP_1)
	v_mul_f32_e64 v17, |v60|, v17
	v_fma_f32 v16, v16, v17, |v60|
.LBB23_73:                              ;   in Loop: Header=BB23_17 Depth=1
	s_or_b32 exec_lo, exec_lo, s10
	v_cmp_ngt_f32_e64 s10, 0x3f200000, |v62|
                                        ; implicit-def: $vgpr17
	s_and_saveexec_b32 s26, s10
	s_delay_alu instid0(SALU_CYCLE_1)
	s_xor_b32 s10, exec_lo, s26
	s_cbranch_execz .LBB23_75
; %bb.74:                               ;   in Loop: Header=BB23_17 Depth=1
	v_add_f32_e64 v17, |v62|, |v62|
	s_delay_alu instid0(VALU_DEP_1) | instskip(SKIP_1) | instid1(VALU_DEP_2)
	v_mul_f32_e32 v18, 0x3fb8aa3b, v17
	v_cmp_ngt_f32_e32 vcc_lo, 0xc2ce8ed0, v17
	v_rndne_f32_e32 v19, v18
	v_fma_f32 v71, 0x3fb8aa3b, v17, -v18
	s_delay_alu instid0(VALU_DEP_1) | instskip(SKIP_1) | instid1(VALU_DEP_2)
	v_dual_sub_f32 v18, v18, v19 :: v_dual_fmac_f32 v71, 0x32a5705f, v17
	v_cvt_i32_f32_e32 v19, v19
	v_add_f32_e32 v18, v18, v71
	s_delay_alu instid0(VALU_DEP_1) | instskip(SKIP_1) | instid1(TRANS32_DEP_1)
	v_exp_f32_e32 v18, v18
	v_nop
	v_ldexp_f32 v18, v18, v19
	s_delay_alu instid0(VALU_DEP_1) | instskip(SKIP_1) | instid1(VALU_DEP_2)
	v_cndmask_b32_e32 v18, 0, v18, vcc_lo
	v_cmp_nlt_f32_e32 vcc_lo, 0x42b17218, v17
	v_cndmask_b32_e32 v17, 0x7f800000, v18, vcc_lo
	s_delay_alu instid0(VALU_DEP_1) | instskip(NEXT) | instid1(VALU_DEP_1)
	v_add_f32_e32 v17, 1.0, v17
	v_rcp_f32_e32 v17, v17
	v_nop
	s_delay_alu instid0(TRANS32_DEP_1)
	v_fma_f32 v17, v17, -2.0, 1.0
.LBB23_75:                              ;   in Loop: Header=BB23_17 Depth=1
	s_and_not1_saveexec_b32 s10, s10
	s_cbranch_execz .LBB23_77
; %bb.76:                               ;   in Loop: Header=BB23_17 Depth=1
	v_mul_f32_e32 v17, v62, v62
	s_delay_alu instid0(VALU_DEP_1) | instskip(NEXT) | instid1(VALU_DEP_1)
	v_fmaak_f32 v18, s3, v17, 0x3ca908c9
	v_fmaak_f32 v18, v17, v18, 0xbd5c1c4e
	s_delay_alu instid0(VALU_DEP_1) | instskip(NEXT) | instid1(VALU_DEP_1)
	v_fmaak_f32 v18, v17, v18, 0x3e088382
	v_fmaak_f32 v18, v17, v18, 0xbeaaaa99
	s_delay_alu instid0(VALU_DEP_1) | instskip(NEXT) | instid1(VALU_DEP_1)
	v_mul_f32_e64 v18, |v62|, v18
	v_fma_f32 v17, v17, v18, |v62|
.LBB23_77:                              ;   in Loop: Header=BB23_17 Depth=1
	s_or_b32 exec_lo, exec_lo, s10
	v_cmp_ngt_f32_e64 s10, 0x3f200000, |v59|
                                        ; implicit-def: $vgpr18
	s_and_saveexec_b32 s26, s10
	s_delay_alu instid0(SALU_CYCLE_1)
	s_xor_b32 s10, exec_lo, s26
	s_cbranch_execz .LBB23_79
; %bb.78:                               ;   in Loop: Header=BB23_17 Depth=1
	v_add_f32_e64 v18, |v59|, |v59|
	s_delay_alu instid0(VALU_DEP_1) | instskip(SKIP_1) | instid1(VALU_DEP_2)
	v_mul_f32_e32 v19, 0x3fb8aa3b, v18
	v_cmp_ngt_f32_e32 vcc_lo, 0xc2ce8ed0, v18
	v_rndne_f32_e32 v71, v19
	v_fma_f32 v72, 0x3fb8aa3b, v18, -v19
	s_delay_alu instid0(VALU_DEP_1) | instskip(SKIP_1) | instid1(VALU_DEP_2)
	v_dual_sub_f32 v19, v19, v71 :: v_dual_fmac_f32 v72, 0x32a5705f, v18
	v_cvt_i32_f32_e32 v71, v71
	v_add_f32_e32 v19, v19, v72
	s_delay_alu instid0(VALU_DEP_1) | instskip(SKIP_1) | instid1(TRANS32_DEP_1)
	v_exp_f32_e32 v19, v19
	v_nop
	v_ldexp_f32 v19, v19, v71
	s_delay_alu instid0(VALU_DEP_1) | instskip(SKIP_1) | instid1(VALU_DEP_2)
	v_cndmask_b32_e32 v19, 0, v19, vcc_lo
	v_cmp_nlt_f32_e32 vcc_lo, 0x42b17218, v18
	v_cndmask_b32_e32 v18, 0x7f800000, v19, vcc_lo
	s_delay_alu instid0(VALU_DEP_1) | instskip(NEXT) | instid1(VALU_DEP_1)
	v_add_f32_e32 v18, 1.0, v18
	v_rcp_f32_e32 v18, v18
	v_nop
	s_delay_alu instid0(TRANS32_DEP_1)
	v_fma_f32 v18, v18, -2.0, 1.0
.LBB23_79:                              ;   in Loop: Header=BB23_17 Depth=1
	s_and_not1_saveexec_b32 s10, s10
	s_cbranch_execz .LBB23_81
; %bb.80:                               ;   in Loop: Header=BB23_17 Depth=1
	v_mul_f32_e32 v18, v59, v59
	s_delay_alu instid0(VALU_DEP_1) | instskip(NEXT) | instid1(VALU_DEP_1)
	v_fmaak_f32 v19, s3, v18, 0x3ca908c9
	v_fmaak_f32 v19, v18, v19, 0xbd5c1c4e
	s_delay_alu instid0(VALU_DEP_1) | instskip(NEXT) | instid1(VALU_DEP_1)
	v_fmaak_f32 v19, v18, v19, 0x3e088382
	v_fmaak_f32 v19, v18, v19, 0xbeaaaa99
	s_delay_alu instid0(VALU_DEP_1) | instskip(NEXT) | instid1(VALU_DEP_1)
	v_mul_f32_e64 v19, |v59|, v19
	v_fma_f32 v18, v18, v19, |v59|
.LBB23_81:                              ;   in Loop: Header=BB23_17 Depth=1
	s_or_b32 exec_lo, exec_lo, s10
	v_cmp_ngt_f32_e64 s10, 0x3f200000, |v38|
                                        ; implicit-def: $vgpr19
	s_and_saveexec_b32 s26, s10
	s_delay_alu instid0(SALU_CYCLE_1)
	s_xor_b32 s10, exec_lo, s26
	s_cbranch_execz .LBB23_83
; %bb.82:                               ;   in Loop: Header=BB23_17 Depth=1
	v_add_f32_e64 v19, |v38|, |v38|
	s_delay_alu instid0(VALU_DEP_1) | instskip(SKIP_1) | instid1(VALU_DEP_2)
	v_mul_f32_e32 v71, 0x3fb8aa3b, v19
	v_cmp_ngt_f32_e32 vcc_lo, 0xc2ce8ed0, v19
	v_rndne_f32_e32 v72, v71
	v_fma_f32 v73, 0x3fb8aa3b, v19, -v71
	s_delay_alu instid0(VALU_DEP_2) | instskip(NEXT) | instid1(VALU_DEP_2)
	v_sub_f32_e32 v71, v71, v72
	v_fmac_f32_e32 v73, 0x32a5705f, v19
	v_cvt_i32_f32_e32 v72, v72
	s_delay_alu instid0(VALU_DEP_2) | instskip(NEXT) | instid1(VALU_DEP_1)
	v_add_f32_e32 v71, v71, v73
	v_exp_f32_e32 v71, v71
	v_nop
	s_delay_alu instid0(TRANS32_DEP_1) | instskip(NEXT) | instid1(VALU_DEP_1)
	v_ldexp_f32 v71, v71, v72
	v_cndmask_b32_e32 v71, 0, v71, vcc_lo
	v_cmp_nlt_f32_e32 vcc_lo, 0x42b17218, v19
	s_delay_alu instid0(VALU_DEP_2) | instskip(NEXT) | instid1(VALU_DEP_1)
	v_cndmask_b32_e32 v19, 0x7f800000, v71, vcc_lo
	v_add_f32_e32 v19, 1.0, v19
	s_delay_alu instid0(VALU_DEP_1) | instskip(SKIP_1) | instid1(TRANS32_DEP_1)
	v_rcp_f32_e32 v19, v19
	v_nop
	v_fma_f32 v19, v19, -2.0, 1.0
.LBB23_83:                              ;   in Loop: Header=BB23_17 Depth=1
	s_and_not1_saveexec_b32 s10, s10
	s_cbranch_execz .LBB23_85
; %bb.84:                               ;   in Loop: Header=BB23_17 Depth=1
	v_mul_f32_e32 v19, v38, v38
	s_delay_alu instid0(VALU_DEP_1) | instskip(NEXT) | instid1(VALU_DEP_1)
	v_fmaak_f32 v71, s3, v19, 0x3ca908c9
	v_fmaak_f32 v71, v19, v71, 0xbd5c1c4e
	s_delay_alu instid0(VALU_DEP_1) | instskip(NEXT) | instid1(VALU_DEP_1)
	v_fmaak_f32 v71, v19, v71, 0x3e088382
	v_fmaak_f32 v71, v19, v71, 0xbeaaaa99
	s_delay_alu instid0(VALU_DEP_1) | instskip(NEXT) | instid1(VALU_DEP_1)
	v_mul_f32_e64 v71, |v38|, v71
	v_fma_f32 v19, v19, v71, |v38|
.LBB23_85:                              ;   in Loop: Header=BB23_17 Depth=1
	s_or_b32 exec_lo, exec_lo, s10
	v_bfi_b32 v16, 0x7fffffff, v16, v60
	v_bfi_b32 v17, 0x7fffffff, v17, v62
	;; [unrolled: 1-line block ×4, first 2 shown]
	v_dual_max_num_f32 v2, v2, v2 :: v_dual_max_num_f32 v1, v1, v1
	s_delay_alu instid0(VALU_DEP_4) | instskip(NEXT) | instid1(VALU_DEP_3)
	v_dual_fmac_f32 v23, s34, v16 :: v_dual_fmac_f32 v22, s34, v17
	v_dual_fmac_f32 v21, s34, v18 :: v_dual_fmac_f32 v20, s34, v19
	s_wait_dscnt 0x0
	v_max_num_f32_e32 v15, v15, v15
	s_delay_alu instid0(VALU_DEP_3) | instskip(NEXT) | instid1(VALU_DEP_3)
	v_dual_add_f32 v16, 0x40051340, v23 :: v_dual_add_f32 v17, 0x40051340, v22
	v_dual_add_f32 v18, 0x40051340, v21 :: v_dual_add_f32 v19, 0x40051340, v20
	v_max_num_f32_e32 v14, v14, v14
	s_mul_u64 s[26:27], s[4:5], s[14:15]
	s_delay_alu instid0(VALU_DEP_3) | instskip(SKIP_3) | instid1(VALU_DEP_3)
	v_max3_num_f32 v16, v65, v16, v17
	v_dual_max_num_f32 v13, v13, v13 :: v_dual_max_num_f32 v12, v12, v12
	s_lshl_b64 s[26:27], s[26:27], 2
	v_lshlrev_b32_e32 v38, 2, v75
	v_max3_num_f32 v16, v16, v18, v19
	s_add_nc_u64 s[26:27], s[8:9], s[26:27]
	s_barrier_signal -1
	s_barrier_wait -1
	ds_bpermute_b32 v17, v0, v16
	v_dual_max_num_f32 v0, v1, v2 :: v_dual_max_num_f32 v2, v14, v15
	v_max_num_f32_e32 v1, v12, v13
	v_add_nc_u64_e32 v[12:13], s[26:27], v[50:51]
	v_add_nc_u64_e32 v[14:15], s[26:27], v[52:53]
	s_delay_alu instid0(VALU_DEP_4) | instskip(NEXT) | instid1(VALU_DEP_4)
	v_dual_sub_f32 v59, v54, v0 :: v_dual_sub_f32 v60, v4, v0
	v_dual_sub_f32 v118, v55, v1 :: v_dual_sub_f32 v121, v8, v1
	s_wait_dscnt 0x0
	s_delay_alu instid0(VALU_DEP_4) | instskip(NEXT) | instid1(VALU_DEP_4)
	v_add_nc_u64_e32 v[54:55], v[12:13], v[38:39]
	v_add_nc_u64_e32 v[72:73], v[14:15], v[38:39]
	v_dual_sub_f32 v62, v5, v0 :: v_dual_sub_f32 v71, v6, v0
	v_dual_sub_f32 v117, v7, v0 :: v_dual_sub_f32 v119, v9, v1
	v_dual_sub_f32 v120, v11, v1 :: v_dual_sub_f32 v122, v10, v1
	v_dual_mul_f32 v123, 0x3fb8aa3b, v60 :: v_dual_max_num_f32 v4, v17, v17
	v_cmp_ngt_f32_e32 vcc_lo, 0xc2ce8ed0, v59
	v_sub_f32_e32 v67, v67, v2
	v_mul_f32_e32 v125, 0x3fb8aa3b, v119
	s_delay_alu instid0(VALU_DEP_4)
	v_fma_f32 v130, 0x3fb8aa3b, v60, -v123
	v_max_num_f32_e32 v124, v16, v4
	s_clause 0x3
	global_load_b128 v[4:7], v[54:55], off
	global_load_b128 v[8:11], v[54:55], off offset:512
	global_load_b128 v[12:15], v[72:73], off
	global_load_b128 v[16:19], v[72:73], off offset:512
	s_wait_xcnt 0x0
	v_dual_mul_f32 v73, 0x3fb8aa3b, v59 :: v_dual_mul_f32 v54, 0x3fb8aa3b, v62
	v_rndne_f32_e32 v131, v123
	ds_bpermute_b32 v55, v58, v124
	v_mul_f32_e32 v126, 0x3fb8aa3b, v120
	v_fma_f32 v138, 0x3fb8aa3b, v59, -v73
	v_fma_f32 v132, 0x3fb8aa3b, v62, -v54
	v_rndne_f32_e32 v139, v73
	v_fma_f32 v140, 0x3fb8aa3b, v119, -v125
	v_dual_mul_f32 v58, 0x3fb8aa3b, v71 :: v_dual_mul_f32 v127, 0x3fb8aa3b, v121
	s_delay_alu instid0(VALU_DEP_3) | instskip(SKIP_4) | instid1(VALU_DEP_4)
	v_dual_fmac_f32 v132, 0x32a5705f, v62 :: v_dual_sub_f32 v73, v73, v139
	v_dual_mul_f32 v72, 0x3fb8aa3b, v117 :: v_dual_mul_f32 v129, 0x3fb8aa3b, v118
	v_rndne_f32_e32 v133, v54
	v_dual_fmac_f32 v130, 0x32a5705f, v60 :: v_dual_sub_f32 v123, v123, v131
	v_fma_f32 v134, 0x3fb8aa3b, v71, -v58
	v_fma_f32 v136, 0x3fb8aa3b, v117, -v72
	v_rndne_f32_e32 v141, v125
	v_fma_f32 v145, 0x3fb8aa3b, v118, -v129
	v_rndne_f32_e32 v146, v129
	s_wait_dscnt 0x0
	v_dual_max_num_f32 v55, v55, v55 :: v_dual_mul_f32 v128, 0x3fb8aa3b, v122
	v_fma_f32 v142, 0x3fb8aa3b, v120, -v126
	v_rndne_f32_e32 v143, v126
	v_dual_sub_f32 v54, v54, v133 :: v_dual_fmac_f32 v145, 0x32a5705f, v118
	s_delay_alu instid0(VALU_DEP_4) | instskip(SKIP_1) | instid1(VALU_DEP_4)
	v_max_num_f32_e32 v55, v124, v55
	v_cvt_i32_f32_e32 v139, v139
	v_sub_f32_e32 v126, v126, v143
	v_rndne_f32_e32 v135, v58
	v_dual_fmac_f32 v134, 0x32a5705f, v71 :: v_dual_sub_f32 v125, v125, v141
	ds_bpermute_b32 v57, v57, v55
	v_fmac_f32_e32 v138, 0x32a5705f, v59
	v_dual_fmac_f32 v136, 0x32a5705f, v117 :: v_dual_sub_f32 v129, v129, v146
	v_add_f32_e32 v54, v54, v132
	v_cvt_i32_f32_e32 v131, v131
	v_rndne_f32_e32 v137, v72
	v_sub_f32_e32 v58, v58, v135
	v_cvt_i32_f32_e32 v133, v133
	v_cvt_i32_f32_e32 v135, v135
	;; [unrolled: 1-line block ×3, first 2 shown]
	s_delay_alu instid0(VALU_DEP_4) | instskip(SKIP_3) | instid1(VALU_DEP_4)
	v_dual_sub_f32 v72, v72, v137 :: v_dual_add_f32 v58, v58, v134
	v_cvt_i32_f32_e32 v137, v137
	v_fma_f32 v144, 0x3fb8aa3b, v121, -v127
	v_rndne_f32_e32 v124, v127
	v_add_f32_e32 v72, v72, v136
	v_exp_f32_e32 v58, v58
	v_cvt_i32_f32_e32 v143, v143
	s_or_b32 s26, s4, 16
	s_wait_dscnt 0x0
	v_dual_max_num_f32 v57, v57, v57 :: v_dual_fmac_f32 v140, 0x32a5705f, v119
	v_dual_add_f32 v73, v73, v138 :: v_dual_fmac_f32 v142, 0x32a5705f, v120
	v_exp_f32_e32 v72, v72
	s_delay_alu instid0(VALU_DEP_2) | instskip(SKIP_1) | instid1(VALU_DEP_3)
	v_max_num_f32_e32 v55, v55, v57
	v_add_f32_e32 v57, v123, v130
	v_exp_f32_e32 v73, v73
	v_dual_add_f32 v123, v125, v140 :: v_dual_add_f32 v125, v126, v142
	ds_bpermute_b32 v56, v56, v55
	v_exp_f32_e32 v57, v57
	v_add_f32_e32 v126, v129, v145
	v_exp_f32_e32 v54, v54
	v_ldexp_f32 v73, v73, v139
	v_ldexp_f32 v58, v58, v135
	v_exp_f32_e32 v123, v123
	v_ldexp_f32 v72, v72, v137
	v_ldexp_f32 v57, v57, v131
	v_cndmask_b32_e32 v73, 0, v73, vcc_lo
	v_cmp_ngt_f32_e32 vcc_lo, 0xc2ce8ed0, v60
	v_ldexp_f32 v54, v54, v133
	v_exp_f32_e32 v125, v125
	v_ldexp_f32 v123, v123, v141
	s_ashr_i32 s27, s26, 31
	v_cndmask_b32_e32 v57, 0, v57, vcc_lo
	v_cmp_ngt_f32_e32 vcc_lo, 0xc2ce8ed0, v62
	s_mul_u64 s[26:27], s[26:27], s[14:15]
	v_fmac_f32_e32 v144, 0x32a5705f, v121
	v_ldexp_f32 v125, v125, v143
	s_wait_dscnt 0x0
	v_dual_max_num_f32 v56, v56, v56 :: v_dual_cndmask_b32 v129, 0, v54
	v_cmp_nlt_f32_e32 vcc_lo, 0x42b17218, v59
	s_lshl_b64 s[26:27], s[26:27], 2
	s_delay_alu instid0(VALU_DEP_2)
	v_dual_sub_f32 v70, v70, v2 :: v_dual_max_num_f32 v55, v55, v56
	s_add_nc_u64 s[26:27], s[8:9], s[26:27]
	v_cndmask_b32_e32 v54, 0x7f800000, v73, vcc_lo
	v_cmp_ngt_f32_e32 vcc_lo, 0xc2ce8ed0, v71
	v_add_nc_u64_e32 v[156:157], s[26:27], v[50:51]
	ds_bpermute_b32 v3, v3, v55
	v_add_nc_u64_e32 v[160:161], s[26:27], v[52:53]
	s_or_b32 s26, s4, 32
	v_cndmask_b32_e32 v56, 0, v58, vcc_lo
	v_cmp_ngt_f32_e32 vcc_lo, 0xc2ce8ed0, v117
	s_ashr_i32 s27, s26, 31
	v_add_nc_u64_e32 v[176:177], v[156:157], v[38:39]
	s_mul_u64 s[26:27], s[26:27], s[14:15]
	v_add_nc_u64_e32 v[178:179], v[160:161], v[38:39]
	v_cndmask_b32_e32 v59, 0, v72, vcc_lo
	v_cmp_ngt_f32_e32 vcc_lo, 0xc2ce8ed0, v119
	v_cvt_f16_f32_e32 v72, v54
	s_lshl_b64 s[26:27], s[26:27], 2
	v_sub_f32_e32 v68, v68, v2
	s_add_nc_u64 s[26:27], s[8:9], s[26:27]
	v_cndmask_b32_e32 v73, 0, v123, vcc_lo
	v_cmp_nlt_f32_e32 vcc_lo, 0x42b17218, v60
	s_wait_dscnt 0x0
	v_dual_sub_f32 v69, v69, v2 :: v_dual_max_num_f32 v3, v3, v3
	v_cndmask_b32_e32 v58, 0x7f800000, v57, vcc_lo
	v_cmp_nlt_f32_e32 vcc_lo, 0x42b17218, v62
	v_and_b32_e32 v57, 0xffff, v72
	v_sub_f32_e32 v72, v127, v124
	v_dual_max_num_f32 v3, v55, v3 :: v_dual_cndmask_b32 v62, 0x7f800000, v129
	v_cmp_nlt_f32_e32 vcc_lo, 0x42b17218, v71
	s_delay_alu instid0(VALU_DEP_4)
	v_mul_u32_u24_e32 v123, 0x10001, v57
	v_exp_f32_e32 v57, v126
	v_cvt_i32_f32_e32 v71, v146
	v_sub_f32_e32 v22, v22, v3
	v_cndmask_b32_e32 v60, 0x7f800000, v56, vcc_lo
	v_cmp_nlt_f32_e32 vcc_lo, 0x42b17218, v117
	v_rndne_f32_e32 v117, v128
	v_pk_mul_f16 v126, v61, v123
	v_ldexp_f32 v57, v57, v71
	v_pk_mul_f16 v115, v115, v123
	v_pk_mul_f16 v114, v114, v123
	v_dual_sub_f32 v71, v128, v117 :: v_dual_cndmask_b32 v56, 0x7f800000, v59
	v_cmp_nlt_f32_e32 vcc_lo, 0x42b17218, v119
	v_pk_mul_f16 v119, v63, v123
	v_pk_mul_f16 v113, v113, v123
	;; [unrolled: 1-line block ×4, first 2 shown]
	v_cndmask_b32_e32 v59, 0x7f800000, v73, vcc_lo
	v_fma_f32 v73, 0x3fb8aa3b, v122, -v128
	v_cmp_ngt_f32_e32 vcc_lo, 0xc2ce8ed0, v118
	v_dual_sub_f32 v20, v20, v3 :: v_dual_sub_f32 v21, v21, v3
	s_delay_alu instid0(VALU_DEP_3) | instskip(SKIP_2) | instid1(VALU_DEP_2)
	v_fmac_f32_e32 v73, 0x32a5705f, v122
	v_dual_add_f32 v63, v72, v144 :: v_dual_cndmask_b32 v57, 0, v57, vcc_lo
	v_cmp_nlt_f32_e32 vcc_lo, 0x42b17218, v118
	v_exp_f32_e32 v61, v63
	v_nop
	v_add_f32_e32 v63, v71, v73
	v_cvt_i32_f32_e32 v71, v124
	v_cndmask_b32_e32 v55, 0x7f800000, v57, vcc_lo
	v_cmp_ngt_f32_e32 vcc_lo, 0xc2ce8ed0, v120
	v_mul_f32_e32 v73, 0x3fb8aa3b, v70
	v_exp_f32_e32 v63, v63
	v_ldexp_f32 v61, v61, v71
	v_cvt_i32_f32_e32 v71, v117
	v_cvt_f16_f32_e32 v72, v55
	s_delay_alu instid0(TRANS32_DEP_1) | instid1(VALU_DEP_2)
	v_ldexp_f32 v71, v63, v71
	v_cndmask_b32_e32 v57, 0, v125, vcc_lo
	v_cmp_ngt_f32_e32 vcc_lo, 0xc2ce8ed0, v121
	v_cndmask_b32_e32 v61, 0, v61, vcc_lo
	v_cmp_nlt_f32_e32 vcc_lo, 0x42b17218, v120
	s_delay_alu instid0(VALU_DEP_4) | instskip(SKIP_2) | instid1(VALU_DEP_2)
	v_cndmask_b32_e32 v63, 0x7f800000, v57, vcc_lo
	v_and_b32_e32 v57, 0xffff, v72
	v_cmp_nlt_f32_e32 vcc_lo, 0x42b17218, v121
	v_mul_u32_u24_e32 v118, 0x10001, v57
	s_delay_alu instid0(VALU_DEP_1)
	v_pk_mul_f16 v124, v108, v118
	v_mul_f32_e32 v108, 0x3fb8aa3b, v68
	v_cndmask_b32_e32 v61, 0x7f800000, v61, vcc_lo
	v_cmp_ngt_f32_e32 vcc_lo, 0xc2ce8ed0, v122
	v_fma_f32 v72, 0x3fb8aa3b, v70, -v73
	v_rndne_f32_e32 v117, v73
	v_pk_mul_f16 v121, v109, v118
	v_pk_mul_f16 v120, v111, v118
	v_cndmask_b32_e32 v71, 0, v71, vcc_lo
	v_cmp_nlt_f32_e32 vcc_lo, 0x42b17218, v122
	v_fmac_f32_e32 v72, 0x32a5705f, v70
	v_pk_mul_f16 v122, v110, v118
	v_cvt_i32_f32_e32 v110, v117
	v_pk_mul_f16 v107, v107, v118
	v_cndmask_b32_e32 v57, 0x7f800000, v71, vcc_lo
	v_sub_f32_e32 v71, v73, v117
	v_mul_f32_e32 v73, 0x3fb8aa3b, v69
	v_pk_mul_f16 v117, v64, v118
	v_cmp_ngt_f32_e32 vcc_lo, 0xc2ce8ed0, v70
	v_pk_mul_f16 v105, v105, v118
	v_add_f32_e32 v71, v71, v72
	v_fma_f32 v72, 0x3fb8aa3b, v69, -v73
	v_rndne_f32_e32 v109, v73
	s_delay_alu instid0(VALU_DEP_2) | instskip(NEXT) | instid1(VALU_DEP_2)
	v_fmac_f32_e32 v72, 0x32a5705f, v69
	v_sub_f32_e32 v73, v73, v109
	v_exp_f32_e32 v71, v71
	v_cvt_i32_f32_e32 v109, v109
	s_delay_alu instid0(VALU_DEP_2) | instskip(SKIP_1) | instid1(TRANS32_DEP_1)
	v_add_f32_e32 v64, v73, v72
	v_rndne_f32_e32 v72, v108
	v_ldexp_f32 v71, v71, v110
	v_sub_f32_e32 v73, v66, v2
	s_delay_alu instid0(VALU_DEP_4) | instskip(SKIP_1) | instid1(VALU_DEP_3)
	v_exp_f32_e32 v64, v64
	v_fma_f32 v66, 0x3fb8aa3b, v68, -v108
	v_dual_sub_f32 v108, v108, v72 :: v_dual_cndmask_b32 v71, 0, v71
	v_cmp_ngt_f32_e32 vcc_lo, 0xc2ce8ed0, v69
	v_cvt_i32_f32_e32 v72, v72
	s_delay_alu instid0(VALU_DEP_4) | instskip(NEXT) | instid1(TRANS32_DEP_1)
	v_fmac_f32_e32 v66, 0x32a5705f, v68
	v_ldexp_f32 v64, v64, v109
	s_delay_alu instid0(VALU_DEP_1) | instskip(SKIP_2) | instid1(VALU_DEP_3)
	v_dual_add_f32 v66, v108, v66 :: v_dual_cndmask_b32 v110, 0, v64, vcc_lo
	v_mul_f32_e32 v108, 0x3fb8aa3b, v67
	v_cmp_nlt_f32_e32 vcc_lo, 0x42b17218, v70
	v_exp_f32_e32 v66, v66
	s_delay_alu instid0(VALU_DEP_2)
	v_rndne_f32_e32 v128, v108
	v_mul_f32_e32 v109, 0x3fb8aa3b, v73
	v_fma_f32 v111, 0x3fb8aa3b, v67, -v108
	v_cndmask_b32_e32 v64, 0x7f800000, v71, vcc_lo
	v_cmp_nlt_f32_e32 vcc_lo, 0x42b17218, v69
	v_sub_f32_e32 v108, v108, v128
	v_rndne_f32_e32 v127, v109
	v_fma_f32 v125, 0x3fb8aa3b, v73, -v109
	v_ldexp_f32 v70, v66, v72
	v_cndmask_b32_e32 v66, 0x7f800000, v110, vcc_lo
	v_cmp_ngt_f32_e32 vcc_lo, 0xc2ce8ed0, v68
	v_sub_f32_e32 v109, v109, v127
	s_delay_alu instid0(VALU_DEP_4) | instskip(NEXT) | instid1(VALU_DEP_1)
	v_dual_fmac_f32 v111, 0x32a5705f, v67 :: v_dual_cndmask_b32 v70, 0, v70
	v_dual_fmac_f32 v125, 0x32a5705f, v73 :: v_dual_add_f32 v72, v108, v111
	v_cvt_i32_f32_e32 v108, v128
	v_cmp_ngt_f32_e32 vcc_lo, 0xc2ce8ed0, v73
	v_mul_f32_e32 v111, 0x3fb8aa3b, v22
	s_delay_alu instid0(VALU_DEP_4) | instskip(NEXT) | instid1(VALU_DEP_1)
	v_add_f32_e32 v71, v109, v125
	v_exp_f32_e32 v69, v71
	v_exp_f32_e32 v71, v72
	v_nop
	v_cvt_i32_f32_e32 v72, v127
	s_delay_alu instid0(TRANS32_DEP_2) | instid1(VALU_DEP_1)
	v_ldexp_f32 v69, v69, v72
	v_sub_f32_e32 v23, v23, v3
	s_delay_alu instid0(TRANS32_DEP_1) | instskip(NEXT) | instid1(VALU_DEP_3)
	v_ldexp_f32 v71, v71, v108
	v_cndmask_b32_e32 v69, 0, v69, vcc_lo
	v_cmp_ngt_f32_e32 vcc_lo, 0xc2ce8ed0, v67
	s_delay_alu instid0(VALU_DEP_3)
	v_cndmask_b32_e32 v71, 0, v71, vcc_lo
	v_cmp_nlt_f32_e32 vcc_lo, 0x42b17218, v68
	v_cndmask_b32_e32 v72, 0x7f800000, v70, vcc_lo
	v_cmp_nlt_f32_e32 vcc_lo, 0x42b17218, v73
	v_cndmask_b32_e32 v68, 0x7f800000, v69, vcc_lo
	v_rndne_f32_e32 v69, v111
	v_mul_f32_e32 v109, 0x3fb8aa3b, v23
	v_cmp_nlt_f32_e32 vcc_lo, 0x42b17218, v67
	s_delay_alu instid0(VALU_DEP_2) | instskip(SKIP_1) | instid1(VALU_DEP_1)
	v_fma_f32 v108, 0x3fb8aa3b, v23, -v109
	v_rndne_f32_e32 v110, v109
	v_sub_f32_e32 v109, v109, v110
	v_fma_f32 v67, 0x3fb8aa3b, v22, -v111
	s_delay_alu instid0(VALU_DEP_1) | instskip(NEXT) | instid1(VALU_DEP_1)
	v_dual_fmac_f32 v108, 0x32a5705f, v23 :: v_dual_fmac_f32 v67, 0x32a5705f, v22
	v_add_f32_e32 v108, v109, v108
	v_cndmask_b32_e32 v70, 0x7f800000, v71, vcc_lo
	v_cmp_ngt_f32_e32 vcc_lo, 0xc2ce8ed0, v23
	s_delay_alu instid0(VALU_DEP_3)
	v_exp_f32_e32 v71, v108
	v_nop
	v_cvt_i32_f32_e32 v108, v110
	v_dual_sub_f32 v110, v111, v69 :: v_dual_sub_f32 v111, v65, v3
	v_cvt_f16_f32_e32 v73, v68
	v_mul_f32_e32 v109, 0x3fb8aa3b, v21
	v_cvt_i32_f32_e32 v69, v69
	s_delay_alu instid0(VALU_DEP_4)
	v_add_f32_e32 v67, v110, v67
	v_mul_f32_e32 v110, 0x3fb8aa3b, v111
	v_and_b32_e32 v125, 0xffff, v73
	v_fma_f32 v65, 0x3fb8aa3b, v21, -v109
	v_rndne_f32_e32 v127, v109
	v_ldexp_f32 v71, v71, v108
	v_rndne_f32_e32 v131, v110
	v_mul_f32_e32 v73, 0x3fb8aa3b, v20
	v_fma_f32 v130, 0x3fb8aa3b, v111, -v110
	v_fmac_f32_e32 v65, 0x32a5705f, v21
	v_cndmask_b32_e32 v71, 0, v71, vcc_lo
	v_sub_f32_e32 v110, v110, v131
	v_fma_f32 v128, 0x3fb8aa3b, v20, -v73
	v_rndne_f32_e32 v129, v73
	v_fmac_f32_e32 v130, 0x32a5705f, v111
	v_sub_f32_e32 v109, v109, v127
	v_cmp_ngt_f32_e32 vcc_lo, 0xc2ce8ed0, v22
	v_fmac_f32_e32 v128, 0x32a5705f, v20
	v_exp_f32_e32 v67, v67
	v_dual_sub_f32 v73, v73, v129 :: v_dual_add_f32 v108, v110, v130
	v_add_f32_e32 v65, v109, v65
	v_cvt_i32_f32_e32 v109, v127
	v_cvt_i32_f32_e32 v110, v129
	;; [unrolled: 1-line block ×3, first 2 shown]
	s_delay_alu instid0(TRANS32_DEP_1)
	v_ldexp_f32 v67, v67, v69
	v_add_f32_e32 v73, v73, v128
	v_exp_f32_e32 v65, v65
	v_exp_f32_e32 v108, v108
	v_mul_u32_u24_e32 v125, 0x10001, v125
	v_cndmask_b32_e32 v67, 0, v67, vcc_lo
	v_exp_f32_e32 v73, v73
	v_cmp_ngt_f32_e32 vcc_lo, 0xc2ce8ed0, v21
	s_delay_alu instid0(TRANS32_DEP_3) | instskip(SKIP_3) | instid1(TRANS32_DEP_1)
	v_ldexp_f32 v65, v65, v109
	v_pk_mul_f16 v103, v103, v125
	v_pk_mul_f16 v102, v102, v125
	;; [unrolled: 1-line block ×3, first 2 shown]
	v_ldexp_f32 v69, v73, v110
	v_ldexp_f32 v73, v108, v127
	v_dual_cndmask_b32 v108, 0, v65 :: v_dual_add_nc_u32 v127, v86, v76
	v_cmp_ngt_f32_e32 vcc_lo, 0xc2ce8ed0, v20
	v_cvt_pk_f16_f32 v110, v56, v57
	v_pk_mul_f16 v98, v98, v125
	v_pk_mul_f16 v99, v99, v125
	v_pk_mul_f16 v100, v100, v125
	v_cndmask_b32_e32 v69, 0, v69, vcc_lo
	v_cmp_ngt_f32_e32 vcc_lo, 0xc2ce8ed0, v111
	v_cndmask_b32_e32 v109, 0, v73, vcc_lo
	v_cmp_nlt_f32_e32 vcc_lo, 0x42b17218, v23
	v_cndmask_b32_e32 v65, 0x7f800000, v71, vcc_lo
	v_cmp_nlt_f32_e32 vcc_lo, 0x42b17218, v22
	v_cvt_pk_f16_f32 v22, v62, v63
	v_cndmask_b32_e32 v67, 0x7f800000, v67, vcc_lo
	v_cmp_nlt_f32_e32 vcc_lo, 0x42b17218, v21
	v_cvt_pk_f16_f32 v21, v64, v65
	s_delay_alu instid0(VALU_DEP_3)
	v_cvt_pk_f16_f32 v23, v66, v67
	v_cndmask_b32_e32 v73, 0x7f800000, v108, vcc_lo
	v_cmp_nlt_f32_e32 vcc_lo, 0x42b17218, v20
	v_cvt_pk_f16_f32 v20, v58, v59
	v_cvt_pk_f16_f32 v108, v60, v61
	v_cndmask_b32_e32 v71, 0x7f800000, v69, vcc_lo
	v_cmp_nlt_f32_e32 vcc_lo, 0x42b17218, v111
	s_delay_alu instid0(VALU_DEP_2)
	v_cvt_pk_f16_f32 v111, v70, v71
	v_cndmask_b32_e32 v69, 0x7f800000, v109, vcc_lo
	v_cvt_pk_f16_f32 v109, v72, v73
	ds_store_2addr_b64 v127, v[20:21], v[22:23] offset1:32
	ds_store_2addr_b64 v127, v[108:109], v[110:111] offset0:64 offset1:96
	s_wait_loadcnt 0x3
	ds_store_b128 v87, v[4:7]
	s_wait_loadcnt 0x2
	ds_store_b128 v88, v[8:11]
	;; [unrolled: 2-line block ×4, first 2 shown]
	s_wait_dscnt 0x0
	s_barrier_signal -1
	s_barrier_wait -1
	ds_load_b128 v[4:7], v86
	ds_load_b128 v[12:15], v86 offset:16
	v_cvt_f16_f32_e64 v128, v69
	v_pk_mul_f16 v108, v101, v125
	v_add_nc_u32_e32 v101, 0x9000, v76
	s_delay_alu instid0(VALU_DEP_3) | instskip(NEXT) | instid1(VALU_DEP_1)
	v_and_b32_e32 v8, 0xffff, v128
	v_mul_u32_u24_e32 v16, 0x10001, v8
	ds_load_2addr_b64 v[8:11], v101 offset1:32
	v_pk_mul_f16 v30, v30, v16
	v_pk_mul_f16 v31, v31, v16
	;; [unrolled: 1-line block ×3, first 2 shown]
	s_wait_dscnt 0x2
	v_and_b32_e32 v17, 0xffff, v4
	v_and_b32_e32 v18, 0xffff, v5
	v_pk_mul_f16 v29, v29, v16
	v_pk_mul_f16 v109, v24, v16
	;; [unrolled: 1-line block ×5, first 2 shown]
	v_mul_u32_u24_e32 v128, 0x10001, v17
	v_mul_u32_u24_e32 v129, 0x10001, v18
	ds_load_2addr_b64 v[16:19], v101 offset0:64 offset1:96
	v_dual_lshrrev_b32 v4, 16, v4 :: v_dual_lshrrev_b32 v5, 16, v5
	ds_load_b128 v[20:23], v86 offset:32
	ds_load_b128 v[24:27], v86 offset:48
	s_wait_dscnt 0x3
	v_pk_mul_f16 v132, v8, v129
	v_pk_fma_f16 v115, v9, v128, v115
	v_mul_u32_u24_e32 v4, 0x10001, v4
	v_mul_u32_u24_e32 v130, 0x10001, v5
	v_pk_mul_f16 v5, v8, v128
	v_pk_fma_f16 v103, v9, v129, v103
	v_pk_fma_f16 v114, v10, v128, v114
	v_pk_mul_f16 v131, v8, v4
	v_pk_fma_f16 v30, v8, v130, v30
	v_pk_fma_f16 v106, v106, v123, v5
	;; [unrolled: 1-line block ×12, first 2 shown]
	s_wait_dscnt 0x2
	v_pk_fma_f16 v112, v16, v128, v112
	v_pk_fma_f16 v107, v16, v4, v107
	;; [unrolled: 1-line block ×6, first 2 shown]
	ds_load_2addr_b64 v[8:11], v101 offset0:128 offset1:160
	v_pk_fma_f16 v122, v17, v129, v98
	v_pk_fma_f16 v17, v17, v130, v110
	;; [unrolled: 1-line block ×5, first 2 shown]
	v_and_b32_e32 v98, 0xffff, v6
	v_lshrrev_b32_e32 v119, 16, v6
	v_and_b32_e32 v123, 0xffff, v7
	v_lshrrev_b32_e32 v124, 16, v7
	ds_load_2addr_b64 v[4:7], v101 offset0:192 offset1:224
	v_pk_fma_f16 v96, v96, v125, v132
	v_pk_fma_f16 v99, v18, v129, v99
	;; [unrolled: 1-line block ×3, first 2 shown]
	v_mul_u32_u24_e32 v125, 0x10001, v98
	v_mul_u32_u24_e32 v119, 0x10001, v119
	v_mul_u32_u24_e32 v123, 0x10001, v123
	v_mul_u32_u24_e32 v124, 0x10001, v124
	v_add_nc_u32_e32 v98, 0x9800, v76
	v_pk_fma_f16 v111, v19, v128, v126
	v_pk_fma_f16 v100, v19, v129, v100
	;; [unrolled: 1-line block ×3, first 2 shown]
	s_wait_dscnt 0x1
	v_pk_fma_f16 v106, v8, v125, v106
	v_pk_fma_f16 v104, v8, v119, v104
	;; [unrolled: 1-line block ×16, first 2 shown]
	s_wait_dscnt 0x0
	v_pk_fma_f16 v112, v4, v125, v112
	v_pk_fma_f16 v107, v4, v119, v107
	;; [unrolled: 1-line block ×4, first 2 shown]
	ds_load_2addr_b64 v[8:11], v98 offset1:32
	v_pk_fma_f16 v127, v5, v124, v17
	v_pk_fma_f16 v128, v6, v124, v18
	ds_load_2addr_b64 v[16:19], v98 offset0:64 offset1:96
	v_pk_fma_f16 v109, v5, v125, v109
	v_pk_fma_f16 v116, v5, v119, v116
	;; [unrolled: 1-line block ×6, first 2 shown]
	v_and_b32_e32 v5, 0xffff, v12
	v_lshrrev_b32_e32 v6, 16, v12
	v_and_b32_e32 v12, 0xffff, v13
	v_lshrrev_b32_e32 v13, 16, v13
	v_pk_fma_f16 v105, v7, v119, v105
	v_pk_fma_f16 v100, v7, v123, v100
	v_mul_u32_u24_e32 v119, 0x10001, v5
	v_mul_u32_u24_e32 v123, 0x10001, v6
	;; [unrolled: 1-line block ×4, first 2 shown]
	v_pk_fma_f16 v111, v7, v125, v111
	v_pk_fma_f16 v124, v7, v124, v126
	s_wait_dscnt 0x1
	v_pk_fma_f16 v106, v8, v119, v106
	v_pk_fma_f16 v104, v8, v123, v104
	;; [unrolled: 1-line block ×16, first 2 shown]
	s_wait_dscnt 0x0
	v_pk_fma_f16 v112, v16, v119, v112
	v_pk_fma_f16 v107, v16, v123, v107
	;; [unrolled: 1-line block ×4, first 2 shown]
	ds_load_2addr_b64 v[4:7], v98 offset0:128 offset1:160
	ds_load_2addr_b64 v[8:11], v98 offset0:192 offset1:224
	v_pk_fma_f16 v122, v17, v12, v122
	v_pk_fma_f16 v125, v18, v12, v99
	;; [unrolled: 1-line block ×3, first 2 shown]
	v_and_b32_e32 v99, 0xffff, v14
	v_lshrrev_b32_e32 v14, 16, v14
	v_and_b32_e32 v100, 0xffff, v15
	v_lshrrev_b32_e32 v15, 16, v15
	v_pk_fma_f16 v109, v17, v119, v109
	v_pk_fma_f16 v116, v17, v123, v116
	;; [unrolled: 1-line block ×7, first 2 shown]
	v_mul_u32_u24_e32 v119, 0x10001, v99
	v_mul_u32_u24_e32 v14, 0x10001, v14
	;; [unrolled: 1-line block ×4, first 2 shown]
	v_add_nc_u32_e32 v99, 0xa000, v76
	v_pk_fma_f16 v18, v18, v13, v128
	v_pk_fma_f16 v19, v19, v13, v124
	s_wait_dscnt 0x1
	v_pk_fma_f16 v106, v4, v119, v106
	v_pk_fma_f16 v104, v4, v14, v104
	;; [unrolled: 1-line block ×16, first 2 shown]
	s_wait_dscnt 0x0
	v_pk_fma_f16 v112, v8, v119, v112
	v_pk_fma_f16 v107, v8, v14, v107
	;; [unrolled: 1-line block ×6, first 2 shown]
	ds_load_2addr_b64 v[4:7], v99 offset1:32
	v_pk_fma_f16 v116, v9, v100, v122
	v_pk_fma_f16 v9, v9, v123, v17
	;; [unrolled: 1-line block ×7, first 2 shown]
	ds_load_2addr_b64 v[12:15], v99 offset0:64 offset1:96
	v_pk_fma_f16 v10, v10, v123, v18
	v_pk_fma_f16 v18, v11, v119, v111
	v_and_b32_e32 v111, 0xffff, v20
	v_lshrrev_b32_e32 v20, 16, v20
	v_and_b32_e32 v119, 0xffff, v21
	v_lshrrev_b32_e32 v21, 16, v21
	v_pk_fma_f16 v19, v11, v123, v19
	v_mul_u32_u24_e32 v111, 0x10001, v111
	v_mul_u32_u24_e32 v20, 0x10001, v20
	;; [unrolled: 1-line block ×4, first 2 shown]
	s_wait_dscnt 0x1
	v_pk_fma_f16 v106, v4, v111, v106
	v_pk_fma_f16 v104, v4, v20, v104
	;; [unrolled: 1-line block ×16, first 2 shown]
	s_wait_dscnt 0x0
	v_pk_fma_f16 v112, v12, v111, v112
	v_pk_fma_f16 v107, v12, v20, v107
	;; [unrolled: 1-line block ×6, first 2 shown]
	ds_load_2addr_b64 v[4:7], v99 offset0:128 offset1:160
	v_pk_fma_f16 v116, v13, v119, v116
	v_pk_fma_f16 v13, v13, v21, v9
	;; [unrolled: 1-line block ×6, first 2 shown]
	ds_load_2addr_b64 v[8:11], v99 offset0:192 offset1:224
	v_pk_fma_f16 v18, v15, v111, v18
	v_pk_fma_f16 v20, v15, v20, v105
	;; [unrolled: 1-line block ×3, first 2 shown]
	v_and_b32_e32 v100, 0xffff, v22
	v_lshrrev_b32_e32 v22, 16, v22
	v_and_b32_e32 v111, 0xffff, v23
	v_lshrrev_b32_e32 v23, 16, v23
	v_pk_fma_f16 v19, v15, v21, v19
	v_mul_u32_u24_e32 v119, 0x10001, v100
	v_mul_u32_u24_e32 v22, 0x10001, v22
	;; [unrolled: 1-line block ×4, first 2 shown]
	v_add_nc_u32_e32 v100, 0xa800, v76
	s_wait_dscnt 0x1
	v_pk_fma_f16 v21, v4, v119, v106
	v_pk_fma_f16 v104, v4, v22, v104
	v_pk_fma_f16 v96, v4, v111, v96
	v_pk_fma_f16 v30, v4, v23, v30
	v_pk_fma_f16 v106, v5, v119, v115
	v_pk_fma_f16 v115, v5, v22, v118
	v_pk_fma_f16 v103, v5, v111, v103
	v_pk_fma_f16 v31, v5, v23, v31
	v_pk_fma_f16 v114, v6, v119, v114
	v_pk_fma_f16 v118, v6, v22, v120
	v_pk_fma_f16 v108, v6, v111, v108
	v_pk_fma_f16 v28, v6, v23, v28
	v_pk_fma_f16 v113, v7, v119, v113
	v_pk_fma_f16 v120, v7, v22, v121
	v_pk_fma_f16 v102, v7, v111, v102
	v_pk_fma_f16 v29, v7, v23, v29
	s_wait_dscnt 0x0
	v_pk_fma_f16 v112, v8, v119, v112
	v_pk_fma_f16 v107, v8, v22, v107
	;; [unrolled: 1-line block ×4, first 2 shown]
	ds_load_2addr_b64 v[4:7], v100 offset1:32
	v_pk_fma_f16 v121, v9, v23, v13
	v_pk_fma_f16 v122, v10, v23, v14
	ds_load_2addr_b64 v[12:15], v100 offset0:64 offset1:96
	v_pk_fma_f16 v16, v9, v119, v16
	v_pk_fma_f16 v109, v9, v22, v109
	;; [unrolled: 1-line block ×6, first 2 shown]
	v_and_b32_e32 v9, 0xffff, v24
	v_lshrrev_b32_e32 v10, 16, v24
	v_and_b32_e32 v24, 0xffff, v25
	v_lshrrev_b32_e32 v25, 16, v25
	v_pk_fma_f16 v20, v11, v22, v20
	v_pk_fma_f16 v22, v11, v111, v105
	v_mul_u32_u24_e32 v105, 0x10001, v9
	v_mul_u32_u24_e32 v111, 0x10001, v10
	;; [unrolled: 1-line block ×4, first 2 shown]
	v_pk_fma_f16 v18, v11, v119, v18
	v_pk_fma_f16 v19, v11, v23, v19
	s_wait_dscnt 0x1
	v_pk_fma_f16 v21, v4, v105, v21
	v_pk_fma_f16 v23, v4, v111, v104
	;; [unrolled: 1-line block ×16, first 2 shown]
	s_wait_dscnt 0x0
	v_pk_fma_f16 v180, v12, v25, v8
	ds_load_2addr_b64 v[8:11], v100 offset0:128 offset1:160
	ds_load_2addr_b64 v[4:7], v100 offset0:192 offset1:224
	v_pk_fma_f16 v185, v14, v105, v17
	v_pk_fma_f16 v186, v14, v111, v110
	;; [unrolled: 1-line block ×4, first 2 shown]
	v_and_b32_e32 v14, 0xffff, v27
	v_pk_fma_f16 v112, v12, v105, v112
	v_pk_fma_f16 v107, v12, v111, v107
	;; [unrolled: 1-line block ×7, first 2 shown]
	v_and_b32_e32 v12, 0xffff, v26
	v_dual_lshrrev_b32 v13, 16, v26 :: v_dual_lshrrev_b32 v16, 16, v27
	v_mul_u32_u24_e32 v194, 0x10001, v14
	v_pk_fma_f16 v189, v15, v105, v18
	s_delay_alu instid0(VALU_DEP_4) | instskip(NEXT) | instid1(VALU_DEP_4)
	v_mul_u32_u24_e32 v192, 0x10001, v12
	v_mul_u32_u24_e32 v193, 0x10001, v13
	;; [unrolled: 1-line block ×3, first 2 shown]
	s_wait_dscnt 0x1
	v_pk_fma_f16 v199, v8, v194, v96
	v_pk_fma_f16 v203, v9, v194, v103
	;; [unrolled: 1-line block ×3, first 2 shown]
	v_add_nc_u32_e32 v96, 0xb000, v76
	s_wait_dscnt 0x0
	v_pk_fma_f16 v215, v4, v194, v97
	v_add_nc_u32_e32 v102, 0xb800, v76
	v_add_nc_u32_e32 v97, 0xc000, v76
	;; [unrolled: 1-line block ×3, first 2 shown]
	v_pk_fma_f16 v190, v15, v111, v20
	v_pk_fma_f16 v191, v15, v24, v22
	;; [unrolled: 1-line block ×18, first 2 shown]
	ds_load_2addr_b64 v[8:11], v96 offset1:32
	ds_load_b128 v[24:27], v86 offset:64
	ds_load_b128 v[12:15], v86 offset:80
	ds_load_2addr_b64 v[28:31], v96 offset0:64 offset1:96
	ds_load_2addr_b64 v[104:107], v96 offset0:128 offset1:160
	;; [unrolled: 1-line block ×3, first 2 shown]
	ds_load_2addr_b64 v[20:23], v102 offset1:32
	ds_load_2addr_b64 v[16:19], v102 offset0:64 offset1:96
	ds_load_2addr_b64 v[112:115], v102 offset0:128 offset1:160
	ds_load_2addr_b64 v[116:119], v102 offset0:192 offset1:224
	ds_load_2addr_b64 v[120:123], v97 offset1:32
	ds_load_b128 v[124:127], v86 offset:96
	ds_load_b128 v[128:131], v86 offset:112
	ds_load_2addr_b64 v[132:135], v97 offset0:64 offset1:96
	ds_load_2addr_b64 v[136:139], v97 offset0:128 offset1:160
	;; [unrolled: 1-line block ×3, first 2 shown]
	ds_load_2addr_b64 v[144:147], v103 offset1:32
	ds_load_2addr_b64 v[148:151], v103 offset0:64 offset1:96
	ds_load_2addr_b64 v[152:155], v103 offset0:128 offset1:160
	;; [unrolled: 1-line block ×3, first 2 shown]
	s_wait_dscnt 0x0
	s_barrier_signal -1
	s_barrier_wait -1
	s_clause 0x3
	global_load_b128 v[160:163], v[176:177], off
	global_load_b128 v[164:167], v[176:177], off offset:512
	global_load_b128 v[168:171], v[178:179], off
	global_load_b128 v[172:175], v[178:179], off offset:512
	s_wait_xcnt 0x2
	v_pk_fma_f16 v176, v5, v192, v181
	v_pk_fma_f16 v177, v5, v193, v182
	s_wait_xcnt 0x0
	v_pk_fma_f16 v178, v5, v194, v183
	v_pk_fma_f16 v5, v5, v195, v184
	;; [unrolled: 1-line block ×3, first 2 shown]
	v_and_b32_e32 v184, 0xffff, v24
	v_lshrrev_b32_e32 v24, 16, v24
	v_and_b32_e32 v185, 0xffff, v25
	v_lshrrev_b32_e32 v25, 16, v25
	v_pk_fma_f16 v4, v4, v195, v180
	v_pk_fma_f16 v180, v6, v193, v186
	;; [unrolled: 1-line block ×3, first 2 shown]
	v_mul_u32_u24_e32 v184, 0x10001, v184
	v_mul_u32_u24_e32 v24, 0x10001, v24
	v_mul_u32_u24_e32 v185, 0x10001, v185
	v_mul_u32_u24_e32 v25, 0x10001, v25
	v_pk_fma_f16 v6, v6, v195, v188
	v_pk_fma_f16 v182, v7, v192, v189
	;; [unrolled: 1-line block ×19, first 2 shown]
	v_and_b32_e32 v180, 0xffff, v26
	v_lshrrev_b32_e32 v26, 16, v26
	v_and_b32_e32 v181, 0xffff, v27
	v_lshrrev_b32_e32 v27, 16, v27
	v_pk_fma_f16 v186, v7, v194, v191
	v_pk_fma_f16 v7, v7, v195, v196
	;; [unrolled: 1-line block ×15, first 2 shown]
	v_mul_u32_u24_e32 v180, 0x10001, v180
	v_mul_u32_u24_e32 v26, 0x10001, v26
	;; [unrolled: 1-line block ×4, first 2 shown]
	v_pk_fma_f16 v30, v31, v184, v182
	v_pk_fma_f16 v182, v31, v185, v186
	;; [unrolled: 1-line block ×32, first 2 shown]
	v_and_b32_e32 v26, 0xffff, v12
	v_lshrrev_b32_e32 v12, 16, v12
	v_and_b32_e32 v110, 0xffff, v13
	v_lshrrev_b32_e32 v13, 16, v13
	v_pk_fma_f16 v30, v111, v180, v30
	v_mul_u32_u24_e32 v26, 0x10001, v26
	v_mul_u32_u24_e32 v12, 0x10001, v12
	;; [unrolled: 1-line block ×4, first 2 shown]
	v_pk_fma_f16 v178, v111, v181, v182
	v_pk_fma_f16 v7, v111, v27, v7
	;; [unrolled: 1-line block ×29, first 2 shown]
	v_and_b32_e32 v24, 0xffff, v14
	v_pk_fma_f16 v109, v18, v110, v177
	v_pk_fma_f16 v6, v18, v13, v6
	;; [unrolled: 1-line block ×3, first 2 shown]
	v_lshrrev_b32_e32 v14, 16, v14
	v_and_b32_e32 v26, 0xffff, v15
	v_lshrrev_b32_e32 v15, 16, v15
	v_mul_u32_u24_e32 v24, 0x10001, v24
	v_pk_fma_f16 v7, v19, v13, v7
	v_mul_u32_u24_e32 v14, 0x10001, v14
	v_mul_u32_u24_e32 v26, 0x10001, v26
	v_pk_fma_f16 v30, v19, v110, v178
	v_pk_fma_f16 v13, v112, v24, v25
	v_pk_fma_f16 v20, v113, v24, v20
	v_pk_fma_f16 v21, v114, v24, v21
	v_pk_fma_f16 v22, v115, v24, v22
	v_pk_fma_f16 v23, v116, v24, v23
	v_pk_fma_f16 v16, v117, v24, v16
	v_pk_fma_f16 v17, v118, v24, v17
	v_pk_fma_f16 v18, v119, v24, v18
	v_lshrrev_b32_e32 v24, 16, v124
	v_mul_u32_u24_e32 v15, 0x10001, v15
	v_pk_fma_f16 v19, v112, v14, v27
	v_pk_fma_f16 v25, v112, v26, v31
	;; [unrolled: 1-line block ×5, first 2 shown]
	v_and_b32_e32 v112, 0xffff, v125
	v_pk_fma_f16 v104, v114, v14, v105
	v_pk_fma_f16 v105, v114, v26, v179
	;; [unrolled: 1-line block ×12, first 2 shown]
	v_mul_u32_u24_e32 v24, 0x10001, v24
	v_mul_u32_u24_e32 v30, 0x10001, v112
	v_pk_fma_f16 v9, v113, v15, v9
	v_pk_fma_f16 v10, v114, v15, v10
	;; [unrolled: 1-line block ×6, first 2 shown]
	v_lshrrev_b32_e32 v113, 16, v125
	v_pk_fma_f16 v7, v119, v15, v7
	v_pk_fma_f16 v15, v120, v24, v19
	;; [unrolled: 1-line block ×12, first 2 shown]
	v_lshrrev_b32_e32 v24, 16, v126
	v_mul_u32_u24_e32 v112, 0x10001, v113
	v_pk_fma_f16 v106, v123, v30, v110
	v_pk_fma_f16 v110, v132, v30, v111
	v_and_b32_e32 v111, 0xffff, v127
	v_lshrrev_b32_e32 v113, 16, v127
	v_mul_u32_u24_e32 v24, 0x10001, v24
	v_and_b32_e32 v14, 0xffff, v124
	v_pk_fma_f16 v8, v120, v112, v8
	v_pk_fma_f16 v9, v121, v112, v9
	v_pk_fma_f16 v10, v122, v112, v10
	v_pk_fma_f16 v11, v123, v112, v11
	v_pk_fma_f16 v4, v132, v112, v4
	v_pk_fma_f16 v108, v133, v30, v108
	v_pk_fma_f16 v5, v133, v112, v5
	v_pk_fma_f16 v109, v134, v30, v109
	v_pk_fma_f16 v6, v134, v112, v6
	v_pk_fma_f16 v26, v135, v30, v26
	v_mul_u32_u24_e32 v30, 0x10001, v111
	v_pk_fma_f16 v7, v135, v112, v7
	v_pk_fma_f16 v15, v136, v24, v15
	;; [unrolled: 1-line block ×9, first 2 shown]
	v_lshrrev_b32_e32 v24, 16, v128
	v_mul_u32_u24_e32 v111, 0x10001, v113
	v_and_b32_e32 v112, 0xffff, v129
	v_lshrrev_b32_e32 v113, 16, v129
	v_mul_u32_u24_e32 v14, 0x10001, v14
	v_pk_fma_f16 v19, v136, v30, v19
	v_pk_fma_f16 v27, v137, v30, v27
	v_pk_fma_f16 v104, v138, v30, v104
	v_pk_fma_f16 v106, v139, v30, v106
	v_pk_fma_f16 v110, v140, v30, v110
	v_pk_fma_f16 v4, v140, v111, v4
	v_pk_fma_f16 v108, v141, v30, v108
	v_pk_fma_f16 v5, v141, v111, v5
	v_pk_fma_f16 v109, v142, v30, v109
	v_pk_fma_f16 v6, v142, v111, v6
	v_pk_fma_f16 v26, v143, v30, v26
	v_mul_u32_u24_e32 v30, 0x10001, v112
	v_mul_u32_u24_e32 v112, 0x10001, v113
	v_pk_fma_f16 v13, v120, v14, v13
	v_pk_fma_f16 v20, v121, v14, v20
	;; [unrolled: 1-line block ×8, first 2 shown]
	v_and_b32_e32 v18, 0xffff, v126
	v_pk_fma_f16 v8, v136, v111, v8
	v_pk_fma_f16 v9, v137, v111, v9
	;; [unrolled: 1-line block ×4, first 2 shown]
	v_mul_u32_u24_e32 v24, 0x10001, v24
	v_pk_fma_f16 v7, v143, v111, v7
	v_pk_fma_f16 v111, v148, v112, v4
	v_pk_fma_f16 v113, v149, v112, v5
	v_pk_fma_f16 v114, v150, v112, v6
	v_and_b32_e32 v4, 0xffff, v130
	v_lshrrev_b32_e32 v5, 16, v130
	v_and_b32_e32 v6, 0xffff, v131
	v_mul_u32_u24_e32 v18, 0x10001, v18
	v_pk_fma_f16 v15, v144, v24, v15
	v_pk_fma_f16 v19, v144, v30, v19
	v_pk_fma_f16 v8, v144, v112, v8
	v_pk_fma_f16 v25, v145, v24, v25
	v_pk_fma_f16 v27, v145, v30, v27
	v_pk_fma_f16 v9, v145, v112, v9
	v_pk_fma_f16 v31, v146, v24, v31
	v_pk_fma_f16 v104, v146, v30, v104
	v_pk_fma_f16 v10, v146, v112, v10
	v_pk_fma_f16 v105, v147, v24, v105
	v_pk_fma_f16 v106, v147, v30, v106
	v_pk_fma_f16 v11, v147, v112, v11
	v_pk_fma_f16 v107, v148, v24, v107
	v_pk_fma_f16 v110, v148, v30, v110
	v_pk_fma_f16 v28, v149, v24, v28
	v_pk_fma_f16 v108, v149, v30, v108
	v_pk_fma_f16 v29, v150, v24, v29
	v_pk_fma_f16 v109, v150, v30, v109
	v_pk_fma_f16 v12, v151, v24, v12
	v_pk_fma_f16 v24, v151, v30, v26
	v_mul_u32_u24_e32 v26, 0x10001, v4
	v_mul_u32_u24_e32 v30, 0x10001, v5
	;; [unrolled: 1-line block ×3, first 2 shown]
	v_pk_fma_f16 v112, v151, v112, v7
	s_wait_loadcnt 0x3
	ds_store_b128 v87, v[160:163]
	s_wait_loadcnt 0x2
	ds_store_b128 v88, v[164:167]
	s_wait_loadcnt 0x1
	ds_store_b128 v89, v[168:171]
	s_wait_loadcnt 0x0
	ds_store_b128 v90, v[172:175]
	s_wait_dscnt 0x0
	s_barrier_signal -1
	s_barrier_wait -1
	ds_load_b128 v[4:7], v86 offset:128
	v_pk_fma_f16 v13, v136, v18, v13
	v_pk_fma_f16 v20, v137, v18, v20
	;; [unrolled: 1-line block ×8, first 2 shown]
	v_and_b32_e32 v18, 0xffff, v128
	v_pk_fma_f16 v117, v152, v30, v15
	v_pk_fma_f16 v121, v153, v30, v25
	;; [unrolled: 1-line block ×4, first 2 shown]
	v_mul_u32_u24_e32 v18, 0x10001, v18
	v_pk_fma_f16 v107, v156, v30, v107
	v_pk_fma_f16 v28, v157, v30, v28
	;; [unrolled: 1-line block ×12, first 2 shown]
	v_lshrrev_b32_e32 v18, 16, v131
	v_pk_fma_f16 v116, v152, v26, v13
	v_pk_fma_f16 v120, v153, v26, v20
	;; [unrolled: 1-line block ×4, first 2 shown]
	ds_load_b128 v[12:15], v86 offset:144
	s_wait_dscnt 0x1
	v_and_b32_e32 v20, 0xffff, v4
	v_lshrrev_b32_e32 v4, 16, v4
	v_mul_u32_u24_e32 v18, 0x10001, v18
	v_pk_fma_f16 v129, v157, v26, v16
	v_pk_fma_f16 v130, v158, v26, v17
	;; [unrolled: 1-line block ×3, first 2 shown]
	v_and_b32_e32 v21, 0xffff, v5
	v_pk_fma_f16 v119, v152, v18, v8
	v_pk_fma_f16 v123, v153, v18, v9
	;; [unrolled: 1-line block ×6, first 2 shown]
	ds_load_2addr_b64 v[8:11], v101 offset1:32
	v_pk_fma_f16 v114, v158, v18, v114
	v_pk_fma_f16 v112, v159, v18, v112
	ds_load_2addr_b64 v[16:19], v101 offset0:64 offset1:96
	v_lshrrev_b32_e32 v5, 16, v5
	v_pk_fma_f16 v122, v153, v115, v27
	v_pk_fma_f16 v104, v154, v115, v104
	;; [unrolled: 1-line block ×8, first 2 shown]
	v_mul_u32_u24_e32 v132, 0x10001, v20
	v_mul_u32_u24_e32 v4, 0x10001, v4
	;; [unrolled: 1-line block ×4, first 2 shown]
	v_pk_fma_f16 v115, v159, v115, v24
	ds_load_b128 v[20:23], v86 offset:160
	ds_load_b128 v[24:27], v86 offset:176
	v_add_nc_u64_e32 v[156:157], s[26:27], v[50:51]
	s_wait_dscnt 0x3
	v_pk_fma_f16 v116, v8, v132, v116
	v_pk_fma_f16 v117, v8, v4, v117
	;; [unrolled: 1-line block ×16, first 2 shown]
	s_wait_dscnt 0x2
	v_pk_fma_f16 v128, v16, v132, v128
	v_pk_fma_f16 v107, v16, v4, v107
	v_pk_fma_f16 v110, v16, v133, v110
	v_pk_fma_f16 v16, v16, v134, v111
	v_pk_fma_f16 v111, v17, v132, v129
	v_pk_fma_f16 v28, v17, v4, v28
	ds_load_2addr_b64 v[8:11], v101 offset0:128 offset1:160
	v_pk_fma_f16 v108, v17, v133, v108
	v_pk_fma_f16 v17, v17, v134, v113
	;; [unrolled: 1-line block ×8, first 2 shown]
	v_and_b32_e32 v129, 0xffff, v6
	v_lshrrev_b32_e32 v130, 16, v6
	v_and_b32_e32 v131, 0xffff, v7
	v_lshrrev_b32_e32 v132, 16, v7
	ds_load_2addr_b64 v[4:7], v101 offset0:192 offset1:224
	v_mul_u32_u24_e32 v129, 0x10001, v129
	v_mul_u32_u24_e32 v130, 0x10001, v130
	;; [unrolled: 1-line block ×4, first 2 shown]
	v_pk_fma_f16 v115, v19, v133, v115
	v_pk_fma_f16 v112, v19, v134, v112
	s_wait_dscnt 0x1
	v_pk_fma_f16 v116, v8, v129, v116
	v_pk_fma_f16 v117, v8, v130, v117
	v_pk_fma_f16 v118, v8, v131, v118
	v_pk_fma_f16 v119, v8, v132, v119
	v_pk_fma_f16 v120, v9, v129, v120
	v_pk_fma_f16 v121, v9, v130, v121
	v_pk_fma_f16 v122, v9, v131, v122
	v_pk_fma_f16 v123, v9, v132, v123
	v_pk_fma_f16 v124, v10, v129, v124
	v_pk_fma_f16 v31, v10, v130, v31
	v_pk_fma_f16 v104, v10, v131, v104
	v_pk_fma_f16 v125, v10, v132, v125
	v_pk_fma_f16 v126, v11, v129, v126
	v_pk_fma_f16 v105, v11, v130, v105
	v_pk_fma_f16 v106, v11, v131, v106
	v_pk_fma_f16 v127, v11, v132, v127
	s_wait_dscnt 0x0
	v_pk_fma_f16 v128, v4, v129, v128
	v_pk_fma_f16 v107, v4, v130, v107
	;; [unrolled: 1-line block ×4, first 2 shown]
	ds_load_2addr_b64 v[8:11], v98 offset1:32
	v_pk_fma_f16 v133, v5, v132, v17
	v_pk_fma_f16 v134, v6, v132, v18
	ds_load_2addr_b64 v[16:19], v98 offset0:64 offset1:96
	v_pk_fma_f16 v111, v5, v129, v111
	v_pk_fma_f16 v28, v5, v130, v28
	;; [unrolled: 1-line block ×6, first 2 shown]
	v_and_b32_e32 v5, 0xffff, v12
	v_lshrrev_b32_e32 v6, 16, v12
	v_and_b32_e32 v12, 0xffff, v13
	v_pk_fma_f16 v115, v7, v131, v115
	v_lshrrev_b32_e32 v13, 16, v13
	v_pk_fma_f16 v114, v7, v129, v114
	v_pk_fma_f16 v30, v7, v130, v30
	v_mul_u32_u24_e32 v12, 0x10001, v12
	v_mul_u32_u24_e32 v129, 0x10001, v5
	;; [unrolled: 1-line block ×3, first 2 shown]
	v_pk_fma_f16 v112, v7, v132, v112
	v_add_nc_u64_e32 v[160:161], s[26:27], v[52:53]
	s_wait_dscnt 0x1
	v_pk_fma_f16 v118, v8, v12, v118
	v_pk_fma_f16 v122, v9, v12, v122
	;; [unrolled: 1-line block ×4, first 2 shown]
	s_wait_dscnt 0x0
	v_pk_fma_f16 v110, v16, v12, v110
	v_pk_fma_f16 v108, v17, v12, v108
	;; [unrolled: 1-line block ×4, first 2 shown]
	v_and_b32_e32 v115, 0xffff, v14
	v_lshrrev_b32_e32 v14, 16, v14
	v_mul_u32_u24_e32 v13, 0x10001, v13
	v_pk_fma_f16 v116, v8, v129, v116
	v_pk_fma_f16 v117, v8, v130, v117
	;; [unrolled: 1-line block ×15, first 2 shown]
	ds_load_2addr_b64 v[4:7], v98 offset0:128 offset1:160
	ds_load_2addr_b64 v[8:11], v98 offset0:192 offset1:224
	v_pk_fma_f16 v111, v17, v129, v111
	v_pk_fma_f16 v113, v18, v129, v113
	;; [unrolled: 1-line block ×3, first 2 shown]
	v_and_b32_e32 v129, 0xffff, v15
	v_lshrrev_b32_e32 v15, 16, v15
	v_pk_fma_f16 v28, v17, v130, v28
	v_pk_fma_f16 v29, v18, v130, v29
	;; [unrolled: 1-line block ×3, first 2 shown]
	v_mul_u32_u24_e32 v115, 0x10001, v115
	v_mul_u32_u24_e32 v14, 0x10001, v14
	;; [unrolled: 1-line block ×4, first 2 shown]
	v_pk_fma_f16 v17, v17, v13, v133
	v_pk_fma_f16 v18, v18, v13, v134
	;; [unrolled: 1-line block ×3, first 2 shown]
	v_add_nc_u64_e32 v[176:177], v[156:157], v[38:39]
	v_add_nc_u64_e32 v[178:179], v[160:161], v[38:39]
	s_or_b32 s26, s4, 48
	s_wait_dscnt 0x1
	v_pk_fma_f16 v112, v4, v115, v116
	v_pk_fma_f16 v116, v4, v14, v117
	;; [unrolled: 1-line block ×16, first 2 shown]
	s_wait_dscnt 0x0
	v_pk_fma_f16 v127, v8, v115, v128
	v_pk_fma_f16 v107, v8, v14, v107
	;; [unrolled: 1-line block ×6, first 2 shown]
	ds_load_2addr_b64 v[4:7], v99 offset1:32
	v_pk_fma_f16 v29, v10, v14, v29
	v_pk_fma_f16 v30, v11, v14, v30
	;; [unrolled: 1-line block ×3, first 2 shown]
	ds_load_2addr_b64 v[12:15], v99 offset0:64 offset1:96
	v_pk_fma_f16 v108, v9, v129, v108
	v_pk_fma_f16 v9, v9, v130, v17
	;; [unrolled: 1-line block ×6, first 2 shown]
	v_and_b32_e32 v113, 0xffff, v20
	v_lshrrev_b32_e32 v20, 16, v20
	v_and_b32_e32 v114, 0xffff, v21
	v_lshrrev_b32_e32 v21, 16, v21
	v_pk_fma_f16 v19, v11, v130, v19
	v_mul_u32_u24_e32 v113, 0x10001, v113
	v_mul_u32_u24_e32 v20, 0x10001, v20
	;; [unrolled: 1-line block ×4, first 2 shown]
	s_ashr_i32 s27, s26, 31
	s_wait_dscnt 0x1
	v_pk_fma_f16 v112, v4, v113, v112
	v_pk_fma_f16 v115, v4, v20, v116
	v_pk_fma_f16 v116, v4, v114, v117
	v_pk_fma_f16 v117, v4, v21, v118
	v_pk_fma_f16 v118, v5, v113, v119
	v_pk_fma_f16 v119, v5, v20, v120
	v_pk_fma_f16 v120, v5, v114, v121
	v_pk_fma_f16 v121, v5, v21, v122
	v_pk_fma_f16 v122, v6, v113, v123
	v_pk_fma_f16 v31, v6, v20, v31
	v_pk_fma_f16 v104, v6, v114, v104
	v_pk_fma_f16 v123, v6, v21, v124
	v_pk_fma_f16 v124, v7, v113, v125
	v_pk_fma_f16 v105, v7, v20, v105
	v_pk_fma_f16 v106, v7, v114, v106
	v_pk_fma_f16 v125, v7, v21, v126
	s_wait_dscnt 0x0
	v_pk_fma_f16 v126, v12, v113, v127
	v_pk_fma_f16 v107, v12, v20, v107
	v_pk_fma_f16 v110, v12, v114, v110
	v_pk_fma_f16 v12, v12, v21, v8
	v_pk_fma_f16 v16, v13, v113, v16
	v_pk_fma_f16 v28, v13, v20, v28
	ds_load_2addr_b64 v[4:7], v99 offset0:128 offset1:160
	v_pk_fma_f16 v108, v13, v114, v108
	v_pk_fma_f16 v13, v13, v21, v9
	;; [unrolled: 1-line block ×6, first 2 shown]
	ds_load_2addr_b64 v[8:11], v99 offset0:192 offset1:224
	v_pk_fma_f16 v18, v15, v113, v18
	v_pk_fma_f16 v20, v15, v20, v30
	;; [unrolled: 1-line block ×3, first 2 shown]
	v_and_b32_e32 v111, 0xffff, v22
	v_lshrrev_b32_e32 v22, 16, v22
	v_and_b32_e32 v113, 0xffff, v23
	v_lshrrev_b32_e32 v23, 16, v23
	v_pk_fma_f16 v19, v15, v21, v19
	v_mul_u32_u24_e32 v111, 0x10001, v111
	v_mul_u32_u24_e32 v22, 0x10001, v22
	;; [unrolled: 1-line block ×4, first 2 shown]
	s_mul_u64 s[26:27], s[26:27], s[14:15]
	s_wait_dscnt 0x1
	v_pk_fma_f16 v21, v4, v111, v112
	v_pk_fma_f16 v112, v4, v22, v115
	;; [unrolled: 1-line block ×16, first 2 shown]
	s_wait_dscnt 0x0
	v_pk_fma_f16 v124, v8, v111, v126
	v_pk_fma_f16 v107, v8, v22, v107
	;; [unrolled: 1-line block ×4, first 2 shown]
	ds_load_2addr_b64 v[4:7], v100 offset1:32
	v_pk_fma_f16 v125, v9, v23, v13
	v_pk_fma_f16 v126, v10, v23, v14
	ds_load_2addr_b64 v[12:15], v100 offset0:64 offset1:96
	v_pk_fma_f16 v16, v9, v111, v16
	v_pk_fma_f16 v28, v9, v22, v28
	;; [unrolled: 1-line block ×6, first 2 shown]
	v_and_b32_e32 v9, 0xffff, v24
	v_lshrrev_b32_e32 v10, 16, v24
	v_and_b32_e32 v24, 0xffff, v25
	v_lshrrev_b32_e32 v25, 16, v25
	v_pk_fma_f16 v18, v11, v111, v18
	v_pk_fma_f16 v20, v11, v22, v20
	;; [unrolled: 1-line block ×3, first 2 shown]
	v_mul_u32_u24_e32 v30, 0x10001, v9
	v_mul_u32_u24_e32 v111, 0x10001, v10
	;; [unrolled: 1-line block ×4, first 2 shown]
	v_pk_fma_f16 v19, v11, v23, v19
	s_wait_dscnt 0x1
	v_pk_fma_f16 v21, v4, v30, v21
	v_pk_fma_f16 v23, v4, v111, v112
	;; [unrolled: 1-line block ×16, first 2 shown]
	s_wait_dscnt 0x0
	v_pk_fma_f16 v180, v12, v25, v8
	ds_load_2addr_b64 v[8:11], v100 offset0:128 offset1:160
	ds_load_2addr_b64 v[4:7], v100 offset0:192 offset1:224
	v_pk_fma_f16 v122, v12, v30, v124
	v_pk_fma_f16 v107, v12, v111, v107
	;; [unrolled: 1-line block ×11, first 2 shown]
	v_and_b32_e32 v12, 0xffff, v26
	v_lshrrev_b32_e32 v13, 16, v26
	v_and_b32_e32 v14, 0xffff, v27
	v_lshrrev_b32_e32 v16, 16, v27
	v_pk_fma_f16 v189, v15, v30, v18
	v_mul_u32_u24_e32 v192, 0x10001, v12
	v_mul_u32_u24_e32 v193, 0x10001, v13
	;; [unrolled: 1-line block ×4, first 2 shown]
	v_pk_fma_f16 v190, v15, v111, v20
	v_pk_fma_f16 v191, v15, v24, v22
	v_pk_fma_f16 v196, v15, v25, v19
	s_wait_dscnt 0x1
	v_pk_fma_f16 v197, v8, v192, v21
	v_pk_fma_f16 v198, v8, v193, v23
	;; [unrolled: 1-line block ×16, first 2 shown]
	s_wait_dscnt 0x0
	v_pk_fma_f16 v213, v4, v192, v122
	v_pk_fma_f16 v214, v4, v193, v107
	;; [unrolled: 1-line block ×3, first 2 shown]
	ds_load_2addr_b64 v[12:15], v96 offset1:32
	ds_load_b128 v[8:11], v86 offset:192
	ds_load_b128 v[16:19], v86 offset:208
	ds_load_2addr_b64 v[20:23], v96 offset0:64 offset1:96
	ds_load_2addr_b64 v[104:107], v96 offset0:128 offset1:160
	;; [unrolled: 1-line block ×3, first 2 shown]
	ds_load_2addr_b64 v[108:111], v102 offset1:32
	ds_load_2addr_b64 v[28:31], v102 offset0:64 offset1:96
	ds_load_2addr_b64 v[112:115], v102 offset0:128 offset1:160
	;; [unrolled: 1-line block ×3, first 2 shown]
	ds_load_2addr_b64 v[120:123], v97 offset1:32
	ds_load_b128 v[124:127], v86 offset:224
	ds_load_b128 v[128:131], v86 offset:240
	ds_load_2addr_b64 v[132:135], v97 offset0:64 offset1:96
	ds_load_2addr_b64 v[136:139], v97 offset0:128 offset1:160
	;; [unrolled: 1-line block ×3, first 2 shown]
	ds_load_2addr_b64 v[144:147], v103 offset1:32
	ds_load_2addr_b64 v[148:151], v103 offset0:64 offset1:96
	ds_load_2addr_b64 v[152:155], v103 offset0:128 offset1:160
	;; [unrolled: 1-line block ×3, first 2 shown]
	s_wait_dscnt 0x0
	s_barrier_signal -1
	s_barrier_wait -1
	s_clause 0x3
	global_load_b128 v[160:163], v[176:177], off
	global_load_b128 v[164:167], v[176:177], off offset:512
	global_load_b128 v[168:171], v[178:179], off
	global_load_b128 v[172:175], v[178:179], off offset:512
	s_wait_xcnt 0x2
	v_pk_fma_f16 v176, v5, v192, v181
	v_pk_fma_f16 v177, v5, v193, v182
	s_wait_xcnt 0x0
	v_pk_fma_f16 v178, v5, v194, v183
	v_pk_fma_f16 v5, v5, v195, v184
	;; [unrolled: 1-line block ×3, first 2 shown]
	v_and_b32_e32 v184, 0xffff, v8
	v_lshrrev_b32_e32 v8, 16, v8
	v_and_b32_e32 v185, 0xffff, v9
	v_lshrrev_b32_e32 v9, 16, v9
	v_pk_fma_f16 v4, v4, v195, v180
	v_pk_fma_f16 v180, v6, v193, v186
	;; [unrolled: 1-line block ×3, first 2 shown]
	v_mul_u32_u24_e32 v184, 0x10001, v184
	v_mul_u32_u24_e32 v8, 0x10001, v8
	;; [unrolled: 1-line block ×4, first 2 shown]
	v_pk_fma_f16 v6, v6, v195, v188
	v_pk_fma_f16 v182, v7, v192, v189
	;; [unrolled: 1-line block ×19, first 2 shown]
	v_and_b32_e32 v180, 0xffff, v10
	v_lshrrev_b32_e32 v10, 16, v10
	v_and_b32_e32 v181, 0xffff, v11
	v_lshrrev_b32_e32 v11, 16, v11
	v_pk_fma_f16 v186, v7, v194, v191
	v_pk_fma_f16 v7, v7, v195, v196
	;; [unrolled: 1-line block ×15, first 2 shown]
	v_mul_u32_u24_e32 v180, 0x10001, v180
	v_mul_u32_u24_e32 v10, 0x10001, v10
	;; [unrolled: 1-line block ×4, first 2 shown]
	v_pk_fma_f16 v22, v23, v184, v182
	v_pk_fma_f16 v182, v23, v185, v186
	;; [unrolled: 1-line block ×32, first 2 shown]
	v_and_b32_e32 v10, 0xffff, v16
	v_lshrrev_b32_e32 v16, 16, v16
	v_and_b32_e32 v26, 0xffff, v17
	v_lshrrev_b32_e32 v17, 16, v17
	v_pk_fma_f16 v22, v27, v180, v22
	v_mul_u32_u24_e32 v10, 0x10001, v10
	v_mul_u32_u24_e32 v16, 0x10001, v16
	;; [unrolled: 1-line block ×4, first 2 shown]
	v_pk_fma_f16 v178, v27, v181, v182
	v_pk_fma_f16 v7, v27, v11, v7
	;; [unrolled: 1-line block ×26, first 2 shown]
	v_and_b32_e32 v16, 0xffff, v18
	v_lshrrev_b32_e32 v18, 16, v18
	v_and_b32_e32 v22, 0xffff, v19
	v_lshrrev_b32_e32 v19, 16, v19
	v_pk_fma_f16 v181, v28, v26, v191
	v_mul_u32_u24_e32 v16, 0x10001, v16
	v_mul_u32_u24_e32 v18, 0x10001, v18
	;; [unrolled: 1-line block ×3, first 2 shown]
	v_pk_fma_f16 v4, v28, v17, v4
	v_pk_fma_f16 v28, v29, v26, v176
	;; [unrolled: 1-line block ×17, first 2 shown]
	v_lshrrev_b32_e32 v18, 16, v124
	v_mul_u32_u24_e32 v19, 0x10001, v19
	v_pk_fma_f16 v26, v31, v26, v178
	v_pk_fma_f16 v9, v112, v16, v9
	;; [unrolled: 1-line block ×9, first 2 shown]
	v_and_b32_e32 v16, 0xffff, v124
	v_and_b32_e32 v112, 0xffff, v125
	v_pk_fma_f16 v105, v114, v22, v179
	v_pk_fma_f16 v109, v115, v22, v180
	;; [unrolled: 1-line block ×6, first 2 shown]
	v_mul_u32_u24_e32 v16, 0x10001, v16
	v_mul_u32_u24_e32 v18, 0x10001, v18
	;; [unrolled: 1-line block ×3, first 2 shown]
	v_pk_fma_f16 v13, v113, v19, v13
	v_pk_fma_f16 v14, v114, v19, v14
	;; [unrolled: 1-line block ×6, first 2 shown]
	v_lshrrev_b32_e32 v113, 16, v125
	v_pk_fma_f16 v7, v119, v19, v7
	v_pk_fma_f16 v11, v120, v18, v11
	;; [unrolled: 1-line block ×15, first 2 shown]
	v_lshrrev_b32_e32 v18, 16, v126
	v_mul_u32_u24_e32 v112, 0x10001, v113
	v_pk_fma_f16 v110, v132, v26, v111
	v_and_b32_e32 v111, 0xffff, v127
	v_lshrrev_b32_e32 v113, 16, v127
	v_mul_u32_u24_e32 v18, 0x10001, v18
	v_pk_fma_f16 v9, v120, v16, v9
	v_pk_fma_f16 v17, v120, v26, v17
	;; [unrolled: 1-line block ×15, first 2 shown]
	v_and_b32_e32 v16, 0xffff, v126
	v_pk_fma_f16 v22, v135, v26, v22
	v_mul_u32_u24_e32 v26, 0x10001, v111
	v_pk_fma_f16 v7, v135, v112, v7
	v_pk_fma_f16 v11, v136, v18, v11
	;; [unrolled: 1-line block ×9, first 2 shown]
	v_lshrrev_b32_e32 v18, 16, v128
	v_mul_u32_u24_e32 v111, 0x10001, v113
	v_and_b32_e32 v112, 0xffff, v129
	v_lshrrev_b32_e32 v113, 16, v129
	v_mul_u32_u24_e32 v16, 0x10001, v16
	v_pk_fma_f16 v17, v136, v26, v17
	v_pk_fma_f16 v27, v137, v26, v27
	;; [unrolled: 1-line block ×11, first 2 shown]
	v_mul_u32_u24_e32 v26, 0x10001, v112
	v_mul_u32_u24_e32 v112, 0x10001, v113
	v_pk_fma_f16 v9, v136, v16, v9
	v_pk_fma_f16 v12, v136, v111, v12
	;; [unrolled: 1-line block ×12, first 2 shown]
	v_and_b32_e32 v16, 0xffff, v128
	v_pk_fma_f16 v7, v143, v111, v7
	v_pk_fma_f16 v111, v148, v112, v4
	;; [unrolled: 1-line block ×4, first 2 shown]
	v_and_b32_e32 v4, 0xffff, v130
	v_lshrrev_b32_e32 v5, 16, v130
	v_and_b32_e32 v6, 0xffff, v131
	v_mul_u32_u24_e32 v16, 0x10001, v16
	v_mul_u32_u24_e32 v18, 0x10001, v18
	v_pk_fma_f16 v17, v144, v26, v17
	v_pk_fma_f16 v12, v144, v112, v12
	;; [unrolled: 1-line block ×12, first 2 shown]
	v_mul_u32_u24_e32 v26, 0x10001, v4
	v_mul_u32_u24_e32 v115, 0x10001, v5
	;; [unrolled: 1-line block ×3, first 2 shown]
	v_pk_fma_f16 v112, v151, v112, v7
	s_wait_loadcnt 0x3
	ds_store_b128 v87, v[160:163]
	s_wait_loadcnt 0x2
	ds_store_b128 v88, v[164:167]
	;; [unrolled: 2-line block ×4, first 2 shown]
	s_wait_dscnt 0x0
	s_barrier_signal -1
	s_barrier_wait -1
	ds_load_b128 v[4:7], v86 offset:256
	v_pk_fma_f16 v9, v144, v16, v9
	v_pk_fma_f16 v11, v144, v18, v11
	;; [unrolled: 1-line block ×16, first 2 shown]
	v_lshrrev_b32_e32 v8, 16, v131
	v_pk_fma_f16 v118, v152, v26, v9
	v_pk_fma_f16 v119, v152, v115, v11
	;; [unrolled: 1-line block ×4, first 2 shown]
	v_mul_u32_u24_e32 v117, 0x10001, v8
	v_pk_fma_f16 v123, v153, v115, v23
	v_pk_fma_f16 v31, v154, v115, v31
	;; [unrolled: 1-line block ×5, first 2 shown]
	ds_load_2addr_b64 v[8:11], v101 offset1:32
	v_pk_fma_f16 v131, v158, v115, v25
	v_pk_fma_f16 v132, v159, v26, v16
	;; [unrolled: 1-line block ×3, first 2 shown]
	ds_load_2addr_b64 v[16:19], v101 offset0:64 offset1:96
	v_pk_fma_f16 v121, v152, v117, v12
	v_pk_fma_f16 v125, v153, v117, v13
	;; [unrolled: 1-line block ×6, first 2 shown]
	ds_load_b128 v[12:15], v86 offset:272
	s_wait_dscnt 0x3
	v_and_b32_e32 v20, 0xffff, v4
	v_lshrrev_b32_e32 v4, 16, v4
	v_and_b32_e32 v21, 0xffff, v5
	v_lshrrev_b32_e32 v5, 16, v5
	v_pk_fma_f16 v124, v153, v116, v27
	v_pk_fma_f16 v30, v154, v26, v30
	;; [unrolled: 1-line block ×13, first 2 shown]
	v_mul_u32_u24_e32 v117, 0x10001, v20
	v_mul_u32_u24_e32 v4, 0x10001, v4
	;; [unrolled: 1-line block ×4, first 2 shown]
	v_pk_fma_f16 v116, v159, v116, v22
	ds_load_b128 v[20:23], v86 offset:288
	ds_load_b128 v[24:27], v86 offset:304
	s_wait_dscnt 0x4
	v_pk_fma_f16 v118, v8, v117, v118
	v_pk_fma_f16 v119, v8, v4, v119
	;; [unrolled: 1-line block ×16, first 2 shown]
	s_wait_dscnt 0x3
	v_pk_fma_f16 v107, v16, v117, v107
	v_pk_fma_f16 v109, v16, v4, v109
	v_pk_fma_f16 v110, v16, v133, v110
	v_pk_fma_f16 v16, v16, v134, v111
	v_pk_fma_f16 v111, v17, v117, v128
	v_pk_fma_f16 v128, v17, v4, v129
	ds_load_2addr_b64 v[8:11], v101 offset0:128 offset1:160
	v_pk_fma_f16 v28, v17, v133, v28
	v_pk_fma_f16 v17, v17, v134, v113
	;; [unrolled: 1-line block ×8, first 2 shown]
	v_and_b32_e32 v117, 0xffff, v6
	v_lshrrev_b32_e32 v130, 16, v6
	v_and_b32_e32 v131, 0xffff, v7
	v_lshrrev_b32_e32 v132, 16, v7
	ds_load_2addr_b64 v[4:7], v101 offset0:192 offset1:224
	v_mul_u32_u24_e32 v117, 0x10001, v117
	v_mul_u32_u24_e32 v130, 0x10001, v130
	;; [unrolled: 1-line block ×4, first 2 shown]
	v_pk_fma_f16 v116, v19, v133, v116
	v_pk_fma_f16 v112, v19, v134, v112
	s_wait_dscnt 0x1
	v_pk_fma_f16 v118, v8, v117, v118
	v_pk_fma_f16 v119, v8, v130, v119
	;; [unrolled: 1-line block ×16, first 2 shown]
	s_wait_dscnt 0x0
	v_pk_fma_f16 v107, v4, v117, v107
	v_pk_fma_f16 v109, v4, v130, v109
	v_pk_fma_f16 v110, v4, v131, v110
	v_pk_fma_f16 v4, v4, v132, v16
	ds_load_2addr_b64 v[8:11], v98 offset1:32
	v_pk_fma_f16 v133, v5, v132, v17
	v_pk_fma_f16 v134, v6, v132, v18
	ds_load_2addr_b64 v[16:19], v98 offset0:64 offset1:96
	v_pk_fma_f16 v111, v5, v117, v111
	v_pk_fma_f16 v128, v5, v130, v128
	;; [unrolled: 1-line block ×6, first 2 shown]
	v_and_b32_e32 v5, 0xffff, v12
	v_lshrrev_b32_e32 v6, 16, v12
	v_and_b32_e32 v12, 0xffff, v13
	v_pk_fma_f16 v116, v7, v131, v116
	v_lshrrev_b32_e32 v13, 16, v13
	v_pk_fma_f16 v114, v7, v117, v114
	v_pk_fma_f16 v115, v7, v130, v115
	v_mul_u32_u24_e32 v12, 0x10001, v12
	v_mul_u32_u24_e32 v117, 0x10001, v5
	;; [unrolled: 1-line block ×3, first 2 shown]
	v_pk_fma_f16 v112, v7, v132, v112
	s_lshl_b64 s[26:27], s[26:27], 2
	s_wait_dscnt 0x1
	v_pk_fma_f16 v120, v8, v12, v120
	v_pk_fma_f16 v124, v9, v12, v124
	;; [unrolled: 1-line block ×4, first 2 shown]
	s_wait_dscnt 0x0
	v_pk_fma_f16 v110, v16, v12, v110
	v_pk_fma_f16 v28, v17, v12, v28
	;; [unrolled: 1-line block ×4, first 2 shown]
	v_and_b32_e32 v116, 0xffff, v14
	v_lshrrev_b32_e32 v14, 16, v14
	v_mul_u32_u24_e32 v13, 0x10001, v13
	v_pk_fma_f16 v118, v8, v117, v118
	v_pk_fma_f16 v119, v8, v130, v119
	v_pk_fma_f16 v122, v9, v117, v122
	v_pk_fma_f16 v123, v9, v130, v123
	v_pk_fma_f16 v121, v8, v13, v121
	v_pk_fma_f16 v125, v9, v13, v125
	v_pk_fma_f16 v30, v10, v117, v30
	v_pk_fma_f16 v31, v10, v130, v31
	v_pk_fma_f16 v126, v10, v13, v126
	v_pk_fma_f16 v105, v11, v117, v105
	v_pk_fma_f16 v106, v11, v130, v106
	v_pk_fma_f16 v127, v11, v13, v127
	v_pk_fma_f16 v107, v16, v117, v107
	v_pk_fma_f16 v109, v16, v130, v109
	v_pk_fma_f16 v16, v16, v13, v4
	ds_load_2addr_b64 v[4:7], v98 offset0:128 offset1:160
	ds_load_2addr_b64 v[8:11], v98 offset0:192 offset1:224
	v_pk_fma_f16 v111, v17, v117, v111
	v_pk_fma_f16 v113, v18, v117, v113
	;; [unrolled: 1-line block ×3, first 2 shown]
	v_and_b32_e32 v117, 0xffff, v15
	v_lshrrev_b32_e32 v15, 16, v15
	v_pk_fma_f16 v128, v17, v130, v128
	v_pk_fma_f16 v17, v17, v13, v133
	v_pk_fma_f16 v129, v18, v130, v129
	v_pk_fma_f16 v18, v18, v13, v134
	v_pk_fma_f16 v115, v19, v130, v115
	v_mul_u32_u24_e32 v116, 0x10001, v116
	v_mul_u32_u24_e32 v14, 0x10001, v14
	;; [unrolled: 1-line block ×4, first 2 shown]
	v_pk_fma_f16 v19, v19, v13, v112
	s_add_nc_u64 s[26:27], s[8:9], s[26:27]
	s_delay_alu instid0(SALU_CYCLE_1)
	v_add_nc_u64_e32 v[156:157], s[26:27], v[50:51]
	s_wait_dscnt 0x1
	v_pk_fma_f16 v112, v4, v116, v118
	v_pk_fma_f16 v118, v4, v14, v119
	;; [unrolled: 1-line block ×16, first 2 shown]
	s_wait_dscnt 0x0
	v_pk_fma_f16 v107, v8, v116, v107
	v_pk_fma_f16 v109, v8, v14, v109
	;; [unrolled: 1-line block ×6, first 2 shown]
	ds_load_2addr_b64 v[4:7], v99 offset1:32
	v_pk_fma_f16 v28, v9, v117, v28
	v_pk_fma_f16 v9, v9, v130, v17
	;; [unrolled: 1-line block ×9, first 2 shown]
	ds_load_2addr_b64 v[12:15], v99 offset0:64 offset1:96
	v_and_b32_e32 v116, 0xffff, v20
	v_lshrrev_b32_e32 v20, 16, v20
	v_and_b32_e32 v117, 0xffff, v21
	v_lshrrev_b32_e32 v21, 16, v21
	v_pk_fma_f16 v19, v11, v130, v19
	v_mul_u32_u24_e32 v116, 0x10001, v116
	v_mul_u32_u24_e32 v20, 0x10001, v20
	;; [unrolled: 1-line block ×3, first 2 shown]
	v_add_nc_u64_e32 v[160:161], s[26:27], v[52:53]
	v_add_nc_u64_e32 v[176:177], v[156:157], v[38:39]
	s_wait_dscnt 0x1
	v_pk_fma_f16 v112, v4, v116, v112
	v_pk_fma_f16 v118, v4, v20, v118
	;; [unrolled: 1-line block ×9, first 2 shown]
	s_wait_dscnt 0x0
	v_pk_fma_f16 v109, v12, v20, v109
	v_pk_fma_f16 v111, v13, v20, v111
	;; [unrolled: 1-line block ×5, first 2 shown]
	v_and_b32_e32 v115, 0xffff, v22
	v_lshrrev_b32_e32 v22, 16, v22
	v_mul_u32_u24_e32 v21, 0x10001, v21
	v_pk_fma_f16 v104, v6, v117, v104
	v_pk_fma_f16 v105, v7, v116, v105
	;; [unrolled: 1-line block ×11, first 2 shown]
	ds_load_2addr_b64 v[4:7], v99 offset0:128 offset1:160
	v_pk_fma_f16 v28, v13, v117, v28
	v_pk_fma_f16 v13, v13, v21, v9
	;; [unrolled: 1-line block ×5, first 2 shown]
	ds_load_2addr_b64 v[8:11], v99 offset0:192 offset1:224
	v_pk_fma_f16 v18, v15, v116, v18
	v_and_b32_e32 v116, 0xffff, v23
	v_lshrrev_b32_e32 v23, 16, v23
	v_mul_u32_u24_e32 v115, 0x10001, v115
	v_mul_u32_u24_e32 v22, 0x10001, v22
	v_pk_fma_f16 v19, v15, v21, v19
	v_mul_u32_u24_e32 v116, 0x10001, v116
	v_mul_u32_u24_e32 v23, 0x10001, v23
	v_add_nc_u64_e32 v[178:179], v[160:161], v[38:39]
	s_or_b32 s26, s4, 64
	s_delay_alu instid0(SALU_CYCLE_1)
	s_ashr_i32 s27, s26, 31
	s_wait_dscnt 0x1
	v_pk_fma_f16 v21, v4, v115, v112
	v_pk_fma_f16 v112, v4, v22, v118
	;; [unrolled: 1-line block ×16, first 2 shown]
	s_wait_dscnt 0x0
	v_pk_fma_f16 v107, v8, v115, v107
	v_pk_fma_f16 v109, v8, v22, v109
	;; [unrolled: 1-line block ×4, first 2 shown]
	ds_load_2addr_b64 v[4:7], v100 offset1:32
	v_pk_fma_f16 v125, v9, v23, v13
	v_pk_fma_f16 v126, v10, v23, v14
	ds_load_2addr_b64 v[12:15], v100 offset0:64 offset1:96
	v_pk_fma_f16 v16, v9, v115, v16
	v_pk_fma_f16 v111, v9, v22, v111
	;; [unrolled: 1-line block ×6, first 2 shown]
	v_and_b32_e32 v9, 0xffff, v24
	v_lshrrev_b32_e32 v10, 16, v24
	v_and_b32_e32 v24, 0xffff, v25
	v_lshrrev_b32_e32 v25, 16, v25
	v_pk_fma_f16 v18, v11, v115, v18
	v_pk_fma_f16 v20, v11, v22, v20
	;; [unrolled: 1-line block ×3, first 2 shown]
	v_mul_u32_u24_e32 v114, 0x10001, v9
	v_mul_u32_u24_e32 v115, 0x10001, v10
	;; [unrolled: 1-line block ×4, first 2 shown]
	v_pk_fma_f16 v19, v11, v23, v19
	s_wait_dscnt 0x1
	v_pk_fma_f16 v21, v4, v114, v21
	v_pk_fma_f16 v23, v4, v115, v112
	v_pk_fma_f16 v112, v4, v24, v117
	v_pk_fma_f16 v116, v4, v25, v118
	v_pk_fma_f16 v117, v5, v114, v119
	v_pk_fma_f16 v118, v5, v115, v120
	v_pk_fma_f16 v119, v5, v24, v121
	v_pk_fma_f16 v120, v5, v25, v122
	v_pk_fma_f16 v30, v6, v114, v30
	v_pk_fma_f16 v31, v6, v115, v31
	v_pk_fma_f16 v104, v6, v24, v104
	v_pk_fma_f16 v121, v6, v25, v123
	v_pk_fma_f16 v105, v7, v114, v105
	v_pk_fma_f16 v106, v7, v115, v106
	v_pk_fma_f16 v108, v7, v24, v108
	v_pk_fma_f16 v122, v7, v25, v124
	s_wait_dscnt 0x0
	v_pk_fma_f16 v180, v12, v25, v8
	ds_load_2addr_b64 v[8:11], v100 offset0:128 offset1:160
	ds_load_2addr_b64 v[4:7], v100 offset0:192 offset1:224
	v_pk_fma_f16 v107, v12, v114, v107
	v_pk_fma_f16 v109, v12, v115, v109
	;; [unrolled: 1-line block ×11, first 2 shown]
	v_and_b32_e32 v12, 0xffff, v26
	v_lshrrev_b32_e32 v13, 16, v26
	v_and_b32_e32 v14, 0xffff, v27
	v_lshrrev_b32_e32 v16, 16, v27
	v_pk_fma_f16 v189, v15, v114, v18
	v_mul_u32_u24_e32 v192, 0x10001, v12
	v_mul_u32_u24_e32 v193, 0x10001, v13
	;; [unrolled: 1-line block ×4, first 2 shown]
	v_pk_fma_f16 v190, v15, v115, v20
	v_pk_fma_f16 v191, v15, v24, v22
	;; [unrolled: 1-line block ×3, first 2 shown]
	s_wait_dscnt 0x1
	v_pk_fma_f16 v197, v8, v192, v21
	v_pk_fma_f16 v198, v8, v193, v23
	;; [unrolled: 1-line block ×16, first 2 shown]
	s_wait_dscnt 0x0
	v_pk_fma_f16 v213, v4, v192, v107
	v_pk_fma_f16 v214, v4, v193, v109
	;; [unrolled: 1-line block ×3, first 2 shown]
	ds_load_2addr_b64 v[12:15], v96 offset1:32
	ds_load_b128 v[8:11], v86 offset:320
	ds_load_b128 v[16:19], v86 offset:336
	ds_load_2addr_b64 v[20:23], v96 offset0:64 offset1:96
	ds_load_2addr_b64 v[104:107], v96 offset0:128 offset1:160
	;; [unrolled: 1-line block ×3, first 2 shown]
	ds_load_2addr_b64 v[108:111], v102 offset1:32
	ds_load_2addr_b64 v[28:31], v102 offset0:64 offset1:96
	ds_load_2addr_b64 v[112:115], v102 offset0:128 offset1:160
	;; [unrolled: 1-line block ×3, first 2 shown]
	ds_load_2addr_b64 v[120:123], v97 offset1:32
	ds_load_b128 v[124:127], v86 offset:352
	ds_load_b128 v[128:131], v86 offset:368
	ds_load_2addr_b64 v[132:135], v97 offset0:64 offset1:96
	ds_load_2addr_b64 v[136:139], v97 offset0:128 offset1:160
	;; [unrolled: 1-line block ×3, first 2 shown]
	ds_load_2addr_b64 v[144:147], v103 offset1:32
	ds_load_2addr_b64 v[148:151], v103 offset0:64 offset1:96
	ds_load_2addr_b64 v[152:155], v103 offset0:128 offset1:160
	;; [unrolled: 1-line block ×3, first 2 shown]
	s_wait_dscnt 0x0
	s_barrier_signal -1
	s_barrier_wait -1
	s_clause 0x3
	global_load_b128 v[160:163], v[176:177], off
	global_load_b128 v[164:167], v[176:177], off offset:512
	global_load_b128 v[168:171], v[178:179], off
	global_load_b128 v[172:175], v[178:179], off offset:512
	s_wait_xcnt 0x2
	v_pk_fma_f16 v176, v5, v192, v181
	v_pk_fma_f16 v177, v5, v193, v182
	s_wait_xcnt 0x0
	v_pk_fma_f16 v178, v5, v194, v183
	v_pk_fma_f16 v5, v5, v195, v184
	;; [unrolled: 1-line block ×3, first 2 shown]
	v_and_b32_e32 v184, 0xffff, v8
	v_lshrrev_b32_e32 v8, 16, v8
	v_and_b32_e32 v185, 0xffff, v9
	v_lshrrev_b32_e32 v9, 16, v9
	v_pk_fma_f16 v4, v4, v195, v180
	v_pk_fma_f16 v180, v6, v193, v186
	;; [unrolled: 1-line block ×3, first 2 shown]
	v_mul_u32_u24_e32 v184, 0x10001, v184
	v_mul_u32_u24_e32 v8, 0x10001, v8
	;; [unrolled: 1-line block ×4, first 2 shown]
	v_pk_fma_f16 v6, v6, v195, v188
	v_pk_fma_f16 v182, v7, v192, v189
	;; [unrolled: 1-line block ×19, first 2 shown]
	v_and_b32_e32 v180, 0xffff, v10
	v_lshrrev_b32_e32 v10, 16, v10
	v_and_b32_e32 v181, 0xffff, v11
	v_lshrrev_b32_e32 v11, 16, v11
	v_pk_fma_f16 v186, v7, v194, v191
	v_pk_fma_f16 v7, v7, v195, v196
	;; [unrolled: 1-line block ×15, first 2 shown]
	v_mul_u32_u24_e32 v180, 0x10001, v180
	v_mul_u32_u24_e32 v10, 0x10001, v10
	;; [unrolled: 1-line block ×4, first 2 shown]
	v_pk_fma_f16 v22, v23, v184, v182
	v_pk_fma_f16 v182, v23, v185, v186
	;; [unrolled: 1-line block ×32, first 2 shown]
	v_and_b32_e32 v10, 0xffff, v16
	v_lshrrev_b32_e32 v16, 16, v16
	v_and_b32_e32 v26, 0xffff, v17
	v_lshrrev_b32_e32 v17, 16, v17
	v_pk_fma_f16 v22, v27, v180, v22
	v_mul_u32_u24_e32 v10, 0x10001, v10
	v_mul_u32_u24_e32 v16, 0x10001, v16
	;; [unrolled: 1-line block ×4, first 2 shown]
	v_pk_fma_f16 v178, v27, v181, v182
	v_pk_fma_f16 v7, v27, v11, v7
	;; [unrolled: 1-line block ×26, first 2 shown]
	v_and_b32_e32 v16, 0xffff, v18
	v_lshrrev_b32_e32 v18, 16, v18
	v_and_b32_e32 v22, 0xffff, v19
	v_lshrrev_b32_e32 v19, 16, v19
	v_pk_fma_f16 v181, v28, v26, v191
	v_mul_u32_u24_e32 v16, 0x10001, v16
	v_mul_u32_u24_e32 v18, 0x10001, v18
	;; [unrolled: 1-line block ×3, first 2 shown]
	v_pk_fma_f16 v4, v28, v17, v4
	v_pk_fma_f16 v28, v29, v26, v176
	;; [unrolled: 1-line block ×17, first 2 shown]
	v_lshrrev_b32_e32 v18, 16, v124
	v_mul_u32_u24_e32 v19, 0x10001, v19
	v_pk_fma_f16 v26, v31, v26, v178
	v_pk_fma_f16 v9, v112, v16, v9
	;; [unrolled: 1-line block ×9, first 2 shown]
	v_and_b32_e32 v16, 0xffff, v124
	v_and_b32_e32 v112, 0xffff, v125
	v_pk_fma_f16 v105, v114, v22, v179
	v_pk_fma_f16 v109, v115, v22, v180
	;; [unrolled: 1-line block ×6, first 2 shown]
	v_mul_u32_u24_e32 v16, 0x10001, v16
	v_mul_u32_u24_e32 v18, 0x10001, v18
	;; [unrolled: 1-line block ×3, first 2 shown]
	v_pk_fma_f16 v13, v113, v19, v13
	v_pk_fma_f16 v14, v114, v19, v14
	;; [unrolled: 1-line block ×6, first 2 shown]
	v_lshrrev_b32_e32 v113, 16, v125
	v_pk_fma_f16 v7, v119, v19, v7
	v_pk_fma_f16 v11, v120, v18, v11
	;; [unrolled: 1-line block ×15, first 2 shown]
	v_lshrrev_b32_e32 v18, 16, v126
	v_mul_u32_u24_e32 v112, 0x10001, v113
	v_pk_fma_f16 v110, v132, v26, v111
	v_and_b32_e32 v111, 0xffff, v127
	v_lshrrev_b32_e32 v113, 16, v127
	v_mul_u32_u24_e32 v18, 0x10001, v18
	v_pk_fma_f16 v9, v120, v16, v9
	v_pk_fma_f16 v17, v120, v26, v17
	;; [unrolled: 1-line block ×15, first 2 shown]
	v_and_b32_e32 v16, 0xffff, v126
	v_pk_fma_f16 v22, v135, v26, v22
	v_mul_u32_u24_e32 v26, 0x10001, v111
	v_pk_fma_f16 v7, v135, v112, v7
	v_pk_fma_f16 v11, v136, v18, v11
	;; [unrolled: 1-line block ×9, first 2 shown]
	v_lshrrev_b32_e32 v18, 16, v128
	v_mul_u32_u24_e32 v111, 0x10001, v113
	v_and_b32_e32 v112, 0xffff, v129
	v_lshrrev_b32_e32 v113, 16, v129
	v_mul_u32_u24_e32 v16, 0x10001, v16
	v_pk_fma_f16 v17, v136, v26, v17
	v_pk_fma_f16 v27, v137, v26, v27
	;; [unrolled: 1-line block ×11, first 2 shown]
	v_mul_u32_u24_e32 v26, 0x10001, v112
	v_mul_u32_u24_e32 v112, 0x10001, v113
	v_pk_fma_f16 v9, v136, v16, v9
	v_pk_fma_f16 v12, v136, v111, v12
	;; [unrolled: 1-line block ×12, first 2 shown]
	v_and_b32_e32 v16, 0xffff, v128
	v_pk_fma_f16 v7, v143, v111, v7
	v_pk_fma_f16 v111, v148, v112, v4
	;; [unrolled: 1-line block ×4, first 2 shown]
	v_and_b32_e32 v4, 0xffff, v130
	v_lshrrev_b32_e32 v5, 16, v130
	v_and_b32_e32 v6, 0xffff, v131
	v_mul_u32_u24_e32 v16, 0x10001, v16
	v_mul_u32_u24_e32 v18, 0x10001, v18
	v_pk_fma_f16 v17, v144, v26, v17
	v_pk_fma_f16 v12, v144, v112, v12
	v_pk_fma_f16 v27, v145, v26, v27
	v_pk_fma_f16 v13, v145, v112, v13
	v_pk_fma_f16 v104, v146, v26, v104
	v_pk_fma_f16 v14, v146, v112, v14
	v_pk_fma_f16 v108, v147, v26, v108
	v_pk_fma_f16 v15, v147, v112, v15
	v_pk_fma_f16 v110, v148, v26, v110
	v_pk_fma_f16 v28, v149, v26, v28
	v_pk_fma_f16 v29, v150, v26, v29
	v_pk_fma_f16 v22, v151, v26, v22
	v_mul_u32_u24_e32 v26, 0x10001, v4
	v_mul_u32_u24_e32 v115, 0x10001, v5
	;; [unrolled: 1-line block ×3, first 2 shown]
	v_pk_fma_f16 v112, v151, v112, v7
	s_wait_loadcnt 0x3
	ds_store_b128 v87, v[160:163]
	s_wait_loadcnt 0x2
	ds_store_b128 v88, v[164:167]
	;; [unrolled: 2-line block ×4, first 2 shown]
	s_wait_dscnt 0x0
	s_barrier_signal -1
	s_barrier_wait -1
	ds_load_b128 v[4:7], v86 offset:384
	v_pk_fma_f16 v9, v144, v16, v9
	v_pk_fma_f16 v11, v144, v18, v11
	;; [unrolled: 1-line block ×16, first 2 shown]
	v_lshrrev_b32_e32 v8, 16, v131
	v_pk_fma_f16 v118, v152, v26, v9
	v_pk_fma_f16 v119, v152, v115, v11
	;; [unrolled: 1-line block ×4, first 2 shown]
	v_mul_u32_u24_e32 v117, 0x10001, v8
	v_pk_fma_f16 v123, v153, v115, v23
	v_pk_fma_f16 v31, v154, v115, v31
	;; [unrolled: 1-line block ×5, first 2 shown]
	ds_load_2addr_b64 v[8:11], v101 offset1:32
	v_pk_fma_f16 v131, v158, v115, v25
	v_pk_fma_f16 v132, v159, v26, v16
	;; [unrolled: 1-line block ×3, first 2 shown]
	ds_load_2addr_b64 v[16:19], v101 offset0:64 offset1:96
	v_pk_fma_f16 v121, v152, v117, v12
	v_pk_fma_f16 v125, v153, v117, v13
	;; [unrolled: 1-line block ×6, first 2 shown]
	ds_load_b128 v[12:15], v86 offset:400
	s_wait_dscnt 0x3
	v_and_b32_e32 v20, 0xffff, v4
	v_lshrrev_b32_e32 v4, 16, v4
	v_and_b32_e32 v21, 0xffff, v5
	v_lshrrev_b32_e32 v5, 16, v5
	v_pk_fma_f16 v124, v153, v116, v27
	v_pk_fma_f16 v30, v154, v26, v30
	;; [unrolled: 1-line block ×13, first 2 shown]
	v_mul_u32_u24_e32 v117, 0x10001, v20
	v_mul_u32_u24_e32 v4, 0x10001, v4
	;; [unrolled: 1-line block ×4, first 2 shown]
	v_pk_fma_f16 v116, v159, v116, v22
	ds_load_b128 v[20:23], v86 offset:416
	ds_load_b128 v[24:27], v86 offset:432
	s_wait_dscnt 0x4
	v_pk_fma_f16 v118, v8, v117, v118
	v_pk_fma_f16 v119, v8, v4, v119
	;; [unrolled: 1-line block ×16, first 2 shown]
	s_wait_dscnt 0x3
	v_pk_fma_f16 v107, v16, v117, v107
	v_pk_fma_f16 v109, v16, v4, v109
	;; [unrolled: 1-line block ×6, first 2 shown]
	ds_load_2addr_b64 v[8:11], v101 offset0:128 offset1:160
	v_pk_fma_f16 v28, v17, v133, v28
	v_pk_fma_f16 v17, v17, v134, v113
	v_pk_fma_f16 v113, v18, v117, v130
	v_pk_fma_f16 v129, v18, v4, v131
	v_pk_fma_f16 v29, v18, v133, v29
	v_pk_fma_f16 v18, v18, v134, v114
	v_pk_fma_f16 v114, v19, v117, v132
	v_pk_fma_f16 v115, v19, v4, v115
	v_and_b32_e32 v117, 0xffff, v6
	v_lshrrev_b32_e32 v130, 16, v6
	v_and_b32_e32 v131, 0xffff, v7
	v_lshrrev_b32_e32 v132, 16, v7
	ds_load_2addr_b64 v[4:7], v101 offset0:192 offset1:224
	v_mul_u32_u24_e32 v117, 0x10001, v117
	v_mul_u32_u24_e32 v130, 0x10001, v130
	v_mul_u32_u24_e32 v131, 0x10001, v131
	v_mul_u32_u24_e32 v132, 0x10001, v132
	v_pk_fma_f16 v116, v19, v133, v116
	v_pk_fma_f16 v112, v19, v134, v112
	s_wait_dscnt 0x1
	v_pk_fma_f16 v118, v8, v117, v118
	v_pk_fma_f16 v119, v8, v130, v119
	;; [unrolled: 1-line block ×16, first 2 shown]
	s_wait_dscnt 0x0
	v_pk_fma_f16 v107, v4, v117, v107
	v_pk_fma_f16 v109, v4, v130, v109
	;; [unrolled: 1-line block ×4, first 2 shown]
	ds_load_2addr_b64 v[8:11], v98 offset1:32
	v_pk_fma_f16 v133, v5, v132, v17
	v_pk_fma_f16 v134, v6, v132, v18
	ds_load_2addr_b64 v[16:19], v98 offset0:64 offset1:96
	v_pk_fma_f16 v111, v5, v117, v111
	v_pk_fma_f16 v128, v5, v130, v128
	;; [unrolled: 1-line block ×6, first 2 shown]
	v_and_b32_e32 v5, 0xffff, v12
	v_lshrrev_b32_e32 v6, 16, v12
	v_and_b32_e32 v12, 0xffff, v13
	v_pk_fma_f16 v116, v7, v131, v116
	v_lshrrev_b32_e32 v13, 16, v13
	v_pk_fma_f16 v114, v7, v117, v114
	v_pk_fma_f16 v115, v7, v130, v115
	v_mul_u32_u24_e32 v12, 0x10001, v12
	v_mul_u32_u24_e32 v117, 0x10001, v5
	;; [unrolled: 1-line block ×3, first 2 shown]
	v_pk_fma_f16 v112, v7, v132, v112
	s_mul_u64 s[26:27], s[26:27], s[14:15]
	s_wait_dscnt 0x1
	v_pk_fma_f16 v120, v8, v12, v120
	v_pk_fma_f16 v124, v9, v12, v124
	;; [unrolled: 1-line block ×4, first 2 shown]
	s_wait_dscnt 0x0
	v_pk_fma_f16 v110, v16, v12, v110
	v_pk_fma_f16 v28, v17, v12, v28
	;; [unrolled: 1-line block ×4, first 2 shown]
	v_and_b32_e32 v116, 0xffff, v14
	v_lshrrev_b32_e32 v14, 16, v14
	v_mul_u32_u24_e32 v13, 0x10001, v13
	v_pk_fma_f16 v118, v8, v117, v118
	v_pk_fma_f16 v119, v8, v130, v119
	v_pk_fma_f16 v122, v9, v117, v122
	v_pk_fma_f16 v123, v9, v130, v123
	v_pk_fma_f16 v121, v8, v13, v121
	v_pk_fma_f16 v125, v9, v13, v125
	v_pk_fma_f16 v30, v10, v117, v30
	v_pk_fma_f16 v31, v10, v130, v31
	v_pk_fma_f16 v126, v10, v13, v126
	v_pk_fma_f16 v105, v11, v117, v105
	v_pk_fma_f16 v106, v11, v130, v106
	v_pk_fma_f16 v127, v11, v13, v127
	v_pk_fma_f16 v107, v16, v117, v107
	v_pk_fma_f16 v109, v16, v130, v109
	v_pk_fma_f16 v16, v16, v13, v4
	ds_load_2addr_b64 v[4:7], v98 offset0:128 offset1:160
	ds_load_2addr_b64 v[8:11], v98 offset0:192 offset1:224
	v_pk_fma_f16 v111, v17, v117, v111
	v_pk_fma_f16 v113, v18, v117, v113
	;; [unrolled: 1-line block ×3, first 2 shown]
	v_and_b32_e32 v117, 0xffff, v15
	v_lshrrev_b32_e32 v15, 16, v15
	v_pk_fma_f16 v128, v17, v130, v128
	v_pk_fma_f16 v17, v17, v13, v133
	;; [unrolled: 1-line block ×5, first 2 shown]
	v_mul_u32_u24_e32 v116, 0x10001, v116
	v_mul_u32_u24_e32 v14, 0x10001, v14
	;; [unrolled: 1-line block ×4, first 2 shown]
	v_pk_fma_f16 v19, v19, v13, v112
	s_lshl_b64 s[26:27], s[26:27], 2
	s_delay_alu instid0(SALU_CYCLE_1)
	s_add_nc_u64 s[26:27], s[8:9], s[26:27]
	s_wait_dscnt 0x1
	v_pk_fma_f16 v112, v4, v116, v118
	v_pk_fma_f16 v118, v4, v14, v119
	;; [unrolled: 1-line block ×16, first 2 shown]
	s_wait_dscnt 0x0
	v_pk_fma_f16 v107, v8, v116, v107
	v_pk_fma_f16 v109, v8, v14, v109
	;; [unrolled: 1-line block ×6, first 2 shown]
	ds_load_2addr_b64 v[4:7], v99 offset1:32
	v_pk_fma_f16 v28, v9, v117, v28
	v_pk_fma_f16 v9, v9, v130, v17
	;; [unrolled: 1-line block ×9, first 2 shown]
	ds_load_2addr_b64 v[12:15], v99 offset0:64 offset1:96
	v_and_b32_e32 v116, 0xffff, v20
	v_lshrrev_b32_e32 v20, 16, v20
	v_and_b32_e32 v117, 0xffff, v21
	v_lshrrev_b32_e32 v21, 16, v21
	v_pk_fma_f16 v19, v11, v130, v19
	v_mul_u32_u24_e32 v116, 0x10001, v116
	v_mul_u32_u24_e32 v20, 0x10001, v20
	v_mul_u32_u24_e32 v117, 0x10001, v117
	v_add_nc_u64_e32 v[156:157], s[26:27], v[50:51]
	v_add_nc_u64_e32 v[160:161], s[26:27], v[52:53]
	s_wait_dscnt 0x1
	v_pk_fma_f16 v112, v4, v116, v112
	v_pk_fma_f16 v118, v4, v20, v118
	;; [unrolled: 1-line block ×9, first 2 shown]
	s_wait_dscnt 0x0
	v_pk_fma_f16 v109, v12, v20, v109
	v_pk_fma_f16 v111, v13, v20, v111
	;; [unrolled: 1-line block ×5, first 2 shown]
	v_and_b32_e32 v115, 0xffff, v22
	v_lshrrev_b32_e32 v22, 16, v22
	v_mul_u32_u24_e32 v21, 0x10001, v21
	v_pk_fma_f16 v104, v6, v117, v104
	v_pk_fma_f16 v105, v7, v116, v105
	;; [unrolled: 1-line block ×11, first 2 shown]
	ds_load_2addr_b64 v[4:7], v99 offset0:128 offset1:160
	v_pk_fma_f16 v28, v13, v117, v28
	v_pk_fma_f16 v13, v13, v21, v9
	;; [unrolled: 1-line block ×5, first 2 shown]
	ds_load_2addr_b64 v[8:11], v99 offset0:192 offset1:224
	v_pk_fma_f16 v18, v15, v116, v18
	v_and_b32_e32 v116, 0xffff, v23
	v_lshrrev_b32_e32 v23, 16, v23
	v_mul_u32_u24_e32 v115, 0x10001, v115
	v_mul_u32_u24_e32 v22, 0x10001, v22
	v_pk_fma_f16 v19, v15, v21, v19
	v_mul_u32_u24_e32 v116, 0x10001, v116
	v_mul_u32_u24_e32 v23, 0x10001, v23
	v_add_nc_u64_e32 v[176:177], v[156:157], v[38:39]
	v_add_nc_u64_e32 v[178:179], v[160:161], v[38:39]
	s_or_b32 s26, s4, 0x50
	s_delay_alu instid0(SALU_CYCLE_1)
	s_ashr_i32 s27, s26, 31
	s_wait_dscnt 0x1
	v_pk_fma_f16 v21, v4, v115, v112
	v_pk_fma_f16 v112, v4, v22, v118
	;; [unrolled: 1-line block ×16, first 2 shown]
	s_wait_dscnt 0x0
	v_pk_fma_f16 v107, v8, v115, v107
	v_pk_fma_f16 v109, v8, v22, v109
	;; [unrolled: 1-line block ×4, first 2 shown]
	ds_load_2addr_b64 v[4:7], v100 offset1:32
	v_pk_fma_f16 v125, v9, v23, v13
	v_pk_fma_f16 v126, v10, v23, v14
	ds_load_2addr_b64 v[12:15], v100 offset0:64 offset1:96
	v_pk_fma_f16 v16, v9, v115, v16
	v_pk_fma_f16 v111, v9, v22, v111
	;; [unrolled: 1-line block ×6, first 2 shown]
	v_and_b32_e32 v9, 0xffff, v24
	v_lshrrev_b32_e32 v10, 16, v24
	v_and_b32_e32 v24, 0xffff, v25
	v_lshrrev_b32_e32 v25, 16, v25
	v_pk_fma_f16 v18, v11, v115, v18
	v_pk_fma_f16 v20, v11, v22, v20
	;; [unrolled: 1-line block ×3, first 2 shown]
	v_mul_u32_u24_e32 v114, 0x10001, v9
	v_mul_u32_u24_e32 v115, 0x10001, v10
	;; [unrolled: 1-line block ×4, first 2 shown]
	v_pk_fma_f16 v19, v11, v23, v19
	s_wait_dscnt 0x1
	v_pk_fma_f16 v21, v4, v114, v21
	v_pk_fma_f16 v23, v4, v115, v112
	;; [unrolled: 1-line block ×16, first 2 shown]
	s_wait_dscnt 0x0
	v_pk_fma_f16 v180, v12, v25, v8
	ds_load_2addr_b64 v[8:11], v100 offset0:128 offset1:160
	ds_load_2addr_b64 v[4:7], v100 offset0:192 offset1:224
	v_pk_fma_f16 v107, v12, v114, v107
	v_pk_fma_f16 v109, v12, v115, v109
	v_pk_fma_f16 v110, v12, v24, v110
	v_pk_fma_f16 v181, v13, v114, v16
	v_pk_fma_f16 v182, v13, v115, v111
	v_pk_fma_f16 v183, v13, v24, v28
	v_pk_fma_f16 v184, v13, v25, v125
	v_pk_fma_f16 v185, v14, v114, v17
	v_pk_fma_f16 v186, v14, v115, v113
	v_pk_fma_f16 v187, v14, v24, v29
	v_pk_fma_f16 v188, v14, v25, v126
	v_and_b32_e32 v12, 0xffff, v26
	v_lshrrev_b32_e32 v13, 16, v26
	v_and_b32_e32 v14, 0xffff, v27
	v_lshrrev_b32_e32 v16, 16, v27
	v_pk_fma_f16 v189, v15, v114, v18
	v_mul_u32_u24_e32 v192, 0x10001, v12
	v_mul_u32_u24_e32 v193, 0x10001, v13
	;; [unrolled: 1-line block ×4, first 2 shown]
	v_pk_fma_f16 v190, v15, v115, v20
	v_pk_fma_f16 v191, v15, v24, v22
	;; [unrolled: 1-line block ×3, first 2 shown]
	s_wait_dscnt 0x1
	v_pk_fma_f16 v197, v8, v192, v21
	v_pk_fma_f16 v198, v8, v193, v23
	;; [unrolled: 1-line block ×16, first 2 shown]
	s_wait_dscnt 0x0
	v_pk_fma_f16 v213, v4, v192, v107
	v_pk_fma_f16 v214, v4, v193, v109
	v_pk_fma_f16 v215, v4, v194, v110
	ds_load_2addr_b64 v[12:15], v96 offset1:32
	ds_load_b128 v[8:11], v86 offset:448
	ds_load_b128 v[16:19], v86 offset:464
	ds_load_2addr_b64 v[20:23], v96 offset0:64 offset1:96
	ds_load_2addr_b64 v[104:107], v96 offset0:128 offset1:160
	;; [unrolled: 1-line block ×3, first 2 shown]
	ds_load_2addr_b64 v[108:111], v102 offset1:32
	ds_load_2addr_b64 v[28:31], v102 offset0:64 offset1:96
	ds_load_2addr_b64 v[112:115], v102 offset0:128 offset1:160
	ds_load_2addr_b64 v[116:119], v102 offset0:192 offset1:224
	ds_load_2addr_b64 v[120:123], v97 offset1:32
	ds_load_b128 v[124:127], v86 offset:480
	ds_load_b128 v[128:131], v86 offset:496
	ds_load_2addr_b64 v[132:135], v97 offset0:64 offset1:96
	ds_load_2addr_b64 v[136:139], v97 offset0:128 offset1:160
	;; [unrolled: 1-line block ×3, first 2 shown]
	ds_load_2addr_b64 v[144:147], v103 offset1:32
	ds_load_2addr_b64 v[148:151], v103 offset0:64 offset1:96
	ds_load_2addr_b64 v[152:155], v103 offset0:128 offset1:160
	;; [unrolled: 1-line block ×3, first 2 shown]
	s_wait_dscnt 0x0
	s_barrier_signal -1
	s_barrier_wait -1
	s_clause 0x3
	global_load_b128 v[160:163], v[176:177], off
	global_load_b128 v[164:167], v[176:177], off offset:512
	global_load_b128 v[168:171], v[178:179], off
	global_load_b128 v[172:175], v[178:179], off offset:512
	s_wait_xcnt 0x2
	v_pk_fma_f16 v176, v5, v192, v181
	v_pk_fma_f16 v177, v5, v193, v182
	s_wait_xcnt 0x0
	v_pk_fma_f16 v178, v5, v194, v183
	v_pk_fma_f16 v5, v5, v195, v184
	;; [unrolled: 1-line block ×3, first 2 shown]
	v_and_b32_e32 v184, 0xffff, v8
	v_lshrrev_b32_e32 v8, 16, v8
	v_and_b32_e32 v185, 0xffff, v9
	v_lshrrev_b32_e32 v9, 16, v9
	v_pk_fma_f16 v4, v4, v195, v180
	v_pk_fma_f16 v180, v6, v193, v186
	;; [unrolled: 1-line block ×3, first 2 shown]
	v_mul_u32_u24_e32 v184, 0x10001, v184
	v_mul_u32_u24_e32 v8, 0x10001, v8
	;; [unrolled: 1-line block ×4, first 2 shown]
	v_pk_fma_f16 v6, v6, v195, v188
	v_pk_fma_f16 v182, v7, v192, v189
	;; [unrolled: 1-line block ×19, first 2 shown]
	v_and_b32_e32 v180, 0xffff, v10
	v_lshrrev_b32_e32 v10, 16, v10
	v_and_b32_e32 v181, 0xffff, v11
	v_lshrrev_b32_e32 v11, 16, v11
	v_pk_fma_f16 v186, v7, v194, v191
	v_pk_fma_f16 v7, v7, v195, v196
	;; [unrolled: 1-line block ×15, first 2 shown]
	v_mul_u32_u24_e32 v180, 0x10001, v180
	v_mul_u32_u24_e32 v10, 0x10001, v10
	;; [unrolled: 1-line block ×4, first 2 shown]
	v_pk_fma_f16 v22, v23, v184, v182
	v_pk_fma_f16 v182, v23, v185, v186
	;; [unrolled: 1-line block ×32, first 2 shown]
	v_and_b32_e32 v10, 0xffff, v16
	v_lshrrev_b32_e32 v16, 16, v16
	v_and_b32_e32 v26, 0xffff, v17
	v_lshrrev_b32_e32 v17, 16, v17
	v_pk_fma_f16 v22, v27, v180, v22
	v_mul_u32_u24_e32 v10, 0x10001, v10
	v_mul_u32_u24_e32 v16, 0x10001, v16
	;; [unrolled: 1-line block ×4, first 2 shown]
	v_pk_fma_f16 v178, v27, v181, v182
	v_pk_fma_f16 v7, v27, v11, v7
	;; [unrolled: 1-line block ×26, first 2 shown]
	v_and_b32_e32 v16, 0xffff, v18
	v_lshrrev_b32_e32 v18, 16, v18
	v_and_b32_e32 v22, 0xffff, v19
	v_lshrrev_b32_e32 v19, 16, v19
	v_pk_fma_f16 v181, v28, v26, v191
	v_mul_u32_u24_e32 v16, 0x10001, v16
	v_mul_u32_u24_e32 v18, 0x10001, v18
	;; [unrolled: 1-line block ×3, first 2 shown]
	v_pk_fma_f16 v4, v28, v17, v4
	v_pk_fma_f16 v28, v29, v26, v176
	;; [unrolled: 1-line block ×17, first 2 shown]
	v_lshrrev_b32_e32 v18, 16, v124
	v_mul_u32_u24_e32 v19, 0x10001, v19
	v_pk_fma_f16 v26, v31, v26, v178
	v_pk_fma_f16 v9, v112, v16, v9
	;; [unrolled: 1-line block ×9, first 2 shown]
	v_and_b32_e32 v16, 0xffff, v124
	v_and_b32_e32 v112, 0xffff, v125
	v_pk_fma_f16 v105, v114, v22, v179
	v_pk_fma_f16 v109, v115, v22, v180
	;; [unrolled: 1-line block ×6, first 2 shown]
	v_mul_u32_u24_e32 v16, 0x10001, v16
	v_mul_u32_u24_e32 v18, 0x10001, v18
	;; [unrolled: 1-line block ×3, first 2 shown]
	v_pk_fma_f16 v13, v113, v19, v13
	v_pk_fma_f16 v14, v114, v19, v14
	;; [unrolled: 1-line block ×6, first 2 shown]
	v_lshrrev_b32_e32 v113, 16, v125
	v_pk_fma_f16 v7, v119, v19, v7
	v_pk_fma_f16 v11, v120, v18, v11
	;; [unrolled: 1-line block ×15, first 2 shown]
	v_lshrrev_b32_e32 v18, 16, v126
	v_mul_u32_u24_e32 v112, 0x10001, v113
	v_pk_fma_f16 v110, v132, v26, v111
	v_and_b32_e32 v111, 0xffff, v127
	v_lshrrev_b32_e32 v113, 16, v127
	v_mul_u32_u24_e32 v18, 0x10001, v18
	v_pk_fma_f16 v9, v120, v16, v9
	v_pk_fma_f16 v17, v120, v26, v17
	;; [unrolled: 1-line block ×15, first 2 shown]
	v_and_b32_e32 v16, 0xffff, v126
	v_pk_fma_f16 v22, v135, v26, v22
	v_mul_u32_u24_e32 v26, 0x10001, v111
	v_pk_fma_f16 v7, v135, v112, v7
	v_pk_fma_f16 v11, v136, v18, v11
	;; [unrolled: 1-line block ×9, first 2 shown]
	v_lshrrev_b32_e32 v18, 16, v128
	v_mul_u32_u24_e32 v111, 0x10001, v113
	v_and_b32_e32 v112, 0xffff, v129
	v_lshrrev_b32_e32 v113, 16, v129
	v_mul_u32_u24_e32 v16, 0x10001, v16
	v_pk_fma_f16 v17, v136, v26, v17
	v_pk_fma_f16 v27, v137, v26, v27
	v_pk_fma_f16 v104, v138, v26, v104
	v_pk_fma_f16 v108, v139, v26, v108
	v_pk_fma_f16 v110, v140, v26, v110
	v_pk_fma_f16 v4, v140, v111, v4
	v_pk_fma_f16 v28, v141, v26, v28
	v_pk_fma_f16 v5, v141, v111, v5
	v_pk_fma_f16 v29, v142, v26, v29
	v_pk_fma_f16 v6, v142, v111, v6
	v_pk_fma_f16 v22, v143, v26, v22
	v_mul_u32_u24_e32 v26, 0x10001, v112
	v_mul_u32_u24_e32 v112, 0x10001, v113
	v_pk_fma_f16 v9, v136, v16, v9
	v_pk_fma_f16 v12, v136, v111, v12
	;; [unrolled: 1-line block ×12, first 2 shown]
	v_and_b32_e32 v16, 0xffff, v128
	v_pk_fma_f16 v7, v143, v111, v7
	v_pk_fma_f16 v111, v148, v112, v4
	;; [unrolled: 1-line block ×4, first 2 shown]
	v_and_b32_e32 v4, 0xffff, v130
	v_lshrrev_b32_e32 v5, 16, v130
	v_and_b32_e32 v6, 0xffff, v131
	v_mul_u32_u24_e32 v16, 0x10001, v16
	v_mul_u32_u24_e32 v18, 0x10001, v18
	v_pk_fma_f16 v17, v144, v26, v17
	v_pk_fma_f16 v12, v144, v112, v12
	v_pk_fma_f16 v27, v145, v26, v27
	v_pk_fma_f16 v13, v145, v112, v13
	v_pk_fma_f16 v104, v146, v26, v104
	v_pk_fma_f16 v14, v146, v112, v14
	v_pk_fma_f16 v108, v147, v26, v108
	v_pk_fma_f16 v15, v147, v112, v15
	v_pk_fma_f16 v110, v148, v26, v110
	v_pk_fma_f16 v28, v149, v26, v28
	v_pk_fma_f16 v29, v150, v26, v29
	v_pk_fma_f16 v22, v151, v26, v22
	v_mul_u32_u24_e32 v26, 0x10001, v4
	v_mul_u32_u24_e32 v115, 0x10001, v5
	;; [unrolled: 1-line block ×3, first 2 shown]
	v_pk_fma_f16 v112, v151, v112, v7
	s_wait_loadcnt 0x3
	ds_store_b128 v87, v[160:163]
	s_wait_loadcnt 0x2
	ds_store_b128 v88, v[164:167]
	;; [unrolled: 2-line block ×4, first 2 shown]
	s_wait_dscnt 0x0
	s_barrier_signal -1
	s_barrier_wait -1
	ds_load_b128 v[4:7], v86 offset:512
	v_pk_fma_f16 v9, v144, v16, v9
	v_pk_fma_f16 v11, v144, v18, v11
	;; [unrolled: 1-line block ×16, first 2 shown]
	v_lshrrev_b32_e32 v8, 16, v131
	v_pk_fma_f16 v118, v152, v26, v9
	v_pk_fma_f16 v119, v152, v115, v11
	;; [unrolled: 1-line block ×4, first 2 shown]
	v_mul_u32_u24_e32 v117, 0x10001, v8
	v_pk_fma_f16 v123, v153, v115, v23
	v_pk_fma_f16 v31, v154, v115, v31
	;; [unrolled: 1-line block ×5, first 2 shown]
	ds_load_2addr_b64 v[8:11], v101 offset1:32
	v_pk_fma_f16 v131, v158, v115, v25
	v_pk_fma_f16 v132, v159, v26, v16
	;; [unrolled: 1-line block ×3, first 2 shown]
	ds_load_2addr_b64 v[16:19], v101 offset0:64 offset1:96
	v_pk_fma_f16 v121, v152, v117, v12
	v_pk_fma_f16 v125, v153, v117, v13
	;; [unrolled: 1-line block ×6, first 2 shown]
	ds_load_b128 v[12:15], v86 offset:528
	s_wait_dscnt 0x3
	v_and_b32_e32 v20, 0xffff, v4
	v_lshrrev_b32_e32 v4, 16, v4
	v_and_b32_e32 v21, 0xffff, v5
	v_lshrrev_b32_e32 v5, 16, v5
	v_pk_fma_f16 v124, v153, v116, v27
	v_pk_fma_f16 v30, v154, v26, v30
	v_pk_fma_f16 v104, v154, v116, v104
	v_pk_fma_f16 v105, v155, v26, v105
	v_pk_fma_f16 v108, v155, v116, v108
	v_pk_fma_f16 v107, v156, v26, v107
	v_pk_fma_f16 v110, v156, v116, v110
	v_pk_fma_f16 v111, v156, v117, v111
	v_pk_fma_f16 v28, v157, v116, v28
	v_pk_fma_f16 v113, v157, v117, v113
	v_pk_fma_f16 v29, v158, v116, v29
	v_pk_fma_f16 v114, v158, v117, v114
	v_pk_fma_f16 v112, v159, v117, v112
	v_mul_u32_u24_e32 v117, 0x10001, v20
	v_mul_u32_u24_e32 v4, 0x10001, v4
	v_mul_u32_u24_e32 v133, 0x10001, v21
	v_mul_u32_u24_e32 v134, 0x10001, v5
	v_pk_fma_f16 v116, v159, v116, v22
	ds_load_b128 v[20:23], v86 offset:544
	ds_load_b128 v[24:27], v86 offset:560
	s_wait_dscnt 0x4
	v_pk_fma_f16 v118, v8, v117, v118
	v_pk_fma_f16 v119, v8, v4, v119
	v_pk_fma_f16 v120, v8, v133, v120
	v_pk_fma_f16 v121, v8, v134, v121
	v_pk_fma_f16 v122, v9, v117, v122
	v_pk_fma_f16 v123, v9, v4, v123
	v_pk_fma_f16 v124, v9, v133, v124
	v_pk_fma_f16 v125, v9, v134, v125
	v_pk_fma_f16 v30, v10, v117, v30
	v_pk_fma_f16 v31, v10, v4, v31
	v_pk_fma_f16 v104, v10, v133, v104
	v_pk_fma_f16 v126, v10, v134, v126
	v_pk_fma_f16 v105, v11, v117, v105
	v_pk_fma_f16 v106, v11, v4, v106
	v_pk_fma_f16 v108, v11, v133, v108
	v_pk_fma_f16 v127, v11, v134, v127
	s_wait_dscnt 0x3
	v_pk_fma_f16 v107, v16, v117, v107
	v_pk_fma_f16 v109, v16, v4, v109
	;; [unrolled: 1-line block ×6, first 2 shown]
	ds_load_2addr_b64 v[8:11], v101 offset0:128 offset1:160
	v_pk_fma_f16 v28, v17, v133, v28
	v_pk_fma_f16 v17, v17, v134, v113
	;; [unrolled: 1-line block ×8, first 2 shown]
	v_and_b32_e32 v117, 0xffff, v6
	v_lshrrev_b32_e32 v130, 16, v6
	v_and_b32_e32 v131, 0xffff, v7
	v_lshrrev_b32_e32 v132, 16, v7
	ds_load_2addr_b64 v[4:7], v101 offset0:192 offset1:224
	v_mul_u32_u24_e32 v117, 0x10001, v117
	v_mul_u32_u24_e32 v130, 0x10001, v130
	;; [unrolled: 1-line block ×4, first 2 shown]
	v_pk_fma_f16 v116, v19, v133, v116
	v_pk_fma_f16 v112, v19, v134, v112
	s_wait_dscnt 0x1
	v_pk_fma_f16 v118, v8, v117, v118
	v_pk_fma_f16 v119, v8, v130, v119
	;; [unrolled: 1-line block ×16, first 2 shown]
	s_wait_dscnt 0x0
	v_pk_fma_f16 v107, v4, v117, v107
	v_pk_fma_f16 v109, v4, v130, v109
	;; [unrolled: 1-line block ×4, first 2 shown]
	ds_load_2addr_b64 v[8:11], v98 offset1:32
	v_pk_fma_f16 v133, v5, v132, v17
	v_pk_fma_f16 v134, v6, v132, v18
	ds_load_2addr_b64 v[16:19], v98 offset0:64 offset1:96
	v_pk_fma_f16 v111, v5, v117, v111
	v_pk_fma_f16 v128, v5, v130, v128
	;; [unrolled: 1-line block ×6, first 2 shown]
	v_and_b32_e32 v5, 0xffff, v12
	v_lshrrev_b32_e32 v6, 16, v12
	v_and_b32_e32 v12, 0xffff, v13
	v_pk_fma_f16 v116, v7, v131, v116
	v_lshrrev_b32_e32 v13, 16, v13
	v_pk_fma_f16 v114, v7, v117, v114
	v_pk_fma_f16 v115, v7, v130, v115
	v_mul_u32_u24_e32 v12, 0x10001, v12
	v_mul_u32_u24_e32 v117, 0x10001, v5
	;; [unrolled: 1-line block ×3, first 2 shown]
	v_pk_fma_f16 v112, v7, v132, v112
	s_mul_u64 s[26:27], s[26:27], s[14:15]
	s_wait_dscnt 0x1
	v_pk_fma_f16 v120, v8, v12, v120
	v_pk_fma_f16 v124, v9, v12, v124
	;; [unrolled: 1-line block ×4, first 2 shown]
	s_wait_dscnt 0x0
	v_pk_fma_f16 v110, v16, v12, v110
	v_pk_fma_f16 v28, v17, v12, v28
	;; [unrolled: 1-line block ×4, first 2 shown]
	v_and_b32_e32 v116, 0xffff, v14
	v_lshrrev_b32_e32 v14, 16, v14
	v_mul_u32_u24_e32 v13, 0x10001, v13
	v_pk_fma_f16 v118, v8, v117, v118
	v_pk_fma_f16 v119, v8, v130, v119
	v_pk_fma_f16 v122, v9, v117, v122
	v_pk_fma_f16 v123, v9, v130, v123
	v_pk_fma_f16 v121, v8, v13, v121
	v_pk_fma_f16 v125, v9, v13, v125
	v_pk_fma_f16 v30, v10, v117, v30
	v_pk_fma_f16 v31, v10, v130, v31
	v_pk_fma_f16 v126, v10, v13, v126
	v_pk_fma_f16 v105, v11, v117, v105
	v_pk_fma_f16 v106, v11, v130, v106
	v_pk_fma_f16 v127, v11, v13, v127
	v_pk_fma_f16 v107, v16, v117, v107
	v_pk_fma_f16 v109, v16, v130, v109
	v_pk_fma_f16 v16, v16, v13, v4
	ds_load_2addr_b64 v[4:7], v98 offset0:128 offset1:160
	ds_load_2addr_b64 v[8:11], v98 offset0:192 offset1:224
	v_pk_fma_f16 v111, v17, v117, v111
	v_pk_fma_f16 v113, v18, v117, v113
	;; [unrolled: 1-line block ×3, first 2 shown]
	v_and_b32_e32 v117, 0xffff, v15
	v_lshrrev_b32_e32 v15, 16, v15
	v_pk_fma_f16 v128, v17, v130, v128
	v_pk_fma_f16 v17, v17, v13, v133
	;; [unrolled: 1-line block ×5, first 2 shown]
	v_mul_u32_u24_e32 v116, 0x10001, v116
	v_mul_u32_u24_e32 v14, 0x10001, v14
	;; [unrolled: 1-line block ×4, first 2 shown]
	v_pk_fma_f16 v19, v19, v13, v112
	s_lshl_b64 s[26:27], s[26:27], 2
	s_delay_alu instid0(SALU_CYCLE_1)
	s_add_nc_u64 s[26:27], s[8:9], s[26:27]
	s_wait_dscnt 0x1
	v_pk_fma_f16 v112, v4, v116, v118
	v_pk_fma_f16 v118, v4, v14, v119
	;; [unrolled: 1-line block ×16, first 2 shown]
	s_wait_dscnt 0x0
	v_pk_fma_f16 v107, v8, v116, v107
	v_pk_fma_f16 v109, v8, v14, v109
	;; [unrolled: 1-line block ×6, first 2 shown]
	ds_load_2addr_b64 v[4:7], v99 offset1:32
	v_pk_fma_f16 v28, v9, v117, v28
	v_pk_fma_f16 v9, v9, v130, v17
	;; [unrolled: 1-line block ×9, first 2 shown]
	ds_load_2addr_b64 v[12:15], v99 offset0:64 offset1:96
	v_and_b32_e32 v116, 0xffff, v20
	v_lshrrev_b32_e32 v20, 16, v20
	v_and_b32_e32 v117, 0xffff, v21
	v_lshrrev_b32_e32 v21, 16, v21
	v_pk_fma_f16 v19, v11, v130, v19
	v_mul_u32_u24_e32 v116, 0x10001, v116
	v_mul_u32_u24_e32 v20, 0x10001, v20
	;; [unrolled: 1-line block ×3, first 2 shown]
	v_add_nc_u64_e32 v[156:157], s[26:27], v[50:51]
	v_add_nc_u64_e32 v[160:161], s[26:27], v[52:53]
	s_wait_dscnt 0x1
	v_pk_fma_f16 v112, v4, v116, v112
	v_pk_fma_f16 v118, v4, v20, v118
	;; [unrolled: 1-line block ×9, first 2 shown]
	s_wait_dscnt 0x0
	v_pk_fma_f16 v109, v12, v20, v109
	v_pk_fma_f16 v111, v13, v20, v111
	;; [unrolled: 1-line block ×5, first 2 shown]
	v_and_b32_e32 v115, 0xffff, v22
	v_lshrrev_b32_e32 v22, 16, v22
	v_mul_u32_u24_e32 v21, 0x10001, v21
	v_pk_fma_f16 v104, v6, v117, v104
	v_pk_fma_f16 v105, v7, v116, v105
	;; [unrolled: 1-line block ×11, first 2 shown]
	ds_load_2addr_b64 v[4:7], v99 offset0:128 offset1:160
	v_pk_fma_f16 v28, v13, v117, v28
	v_pk_fma_f16 v13, v13, v21, v9
	;; [unrolled: 1-line block ×5, first 2 shown]
	ds_load_2addr_b64 v[8:11], v99 offset0:192 offset1:224
	v_pk_fma_f16 v18, v15, v116, v18
	v_and_b32_e32 v116, 0xffff, v23
	v_lshrrev_b32_e32 v23, 16, v23
	v_mul_u32_u24_e32 v115, 0x10001, v115
	v_mul_u32_u24_e32 v22, 0x10001, v22
	v_pk_fma_f16 v19, v15, v21, v19
	v_mul_u32_u24_e32 v116, 0x10001, v116
	v_mul_u32_u24_e32 v23, 0x10001, v23
	v_add_nc_u64_e32 v[176:177], v[156:157], v[38:39]
	v_add_nc_u64_e32 v[178:179], v[160:161], v[38:39]
	s_or_b32 s26, s4, 0x60
	s_delay_alu instid0(SALU_CYCLE_1)
	s_ashr_i32 s27, s26, 31
	s_wait_dscnt 0x1
	v_pk_fma_f16 v21, v4, v115, v112
	v_pk_fma_f16 v112, v4, v22, v118
	;; [unrolled: 1-line block ×16, first 2 shown]
	s_wait_dscnt 0x0
	v_pk_fma_f16 v107, v8, v115, v107
	v_pk_fma_f16 v109, v8, v22, v109
	;; [unrolled: 1-line block ×4, first 2 shown]
	ds_load_2addr_b64 v[4:7], v100 offset1:32
	v_pk_fma_f16 v125, v9, v23, v13
	v_pk_fma_f16 v126, v10, v23, v14
	ds_load_2addr_b64 v[12:15], v100 offset0:64 offset1:96
	v_pk_fma_f16 v16, v9, v115, v16
	v_pk_fma_f16 v111, v9, v22, v111
	;; [unrolled: 1-line block ×6, first 2 shown]
	v_and_b32_e32 v9, 0xffff, v24
	v_lshrrev_b32_e32 v10, 16, v24
	v_and_b32_e32 v24, 0xffff, v25
	v_lshrrev_b32_e32 v25, 16, v25
	v_pk_fma_f16 v18, v11, v115, v18
	v_pk_fma_f16 v20, v11, v22, v20
	;; [unrolled: 1-line block ×3, first 2 shown]
	v_mul_u32_u24_e32 v114, 0x10001, v9
	v_mul_u32_u24_e32 v115, 0x10001, v10
	;; [unrolled: 1-line block ×4, first 2 shown]
	v_pk_fma_f16 v19, v11, v23, v19
	s_wait_dscnt 0x1
	v_pk_fma_f16 v21, v4, v114, v21
	v_pk_fma_f16 v23, v4, v115, v112
	;; [unrolled: 1-line block ×16, first 2 shown]
	s_wait_dscnt 0x0
	v_pk_fma_f16 v180, v12, v25, v8
	ds_load_2addr_b64 v[8:11], v100 offset0:128 offset1:160
	ds_load_2addr_b64 v[4:7], v100 offset0:192 offset1:224
	v_pk_fma_f16 v107, v12, v114, v107
	v_pk_fma_f16 v109, v12, v115, v109
	;; [unrolled: 1-line block ×11, first 2 shown]
	v_and_b32_e32 v12, 0xffff, v26
	v_lshrrev_b32_e32 v13, 16, v26
	v_and_b32_e32 v14, 0xffff, v27
	v_lshrrev_b32_e32 v16, 16, v27
	v_pk_fma_f16 v189, v15, v114, v18
	v_mul_u32_u24_e32 v192, 0x10001, v12
	v_mul_u32_u24_e32 v193, 0x10001, v13
	;; [unrolled: 1-line block ×4, first 2 shown]
	v_pk_fma_f16 v190, v15, v115, v20
	v_pk_fma_f16 v191, v15, v24, v22
	;; [unrolled: 1-line block ×3, first 2 shown]
	s_wait_dscnt 0x1
	v_pk_fma_f16 v197, v8, v192, v21
	v_pk_fma_f16 v198, v8, v193, v23
	;; [unrolled: 1-line block ×16, first 2 shown]
	s_wait_dscnt 0x0
	v_pk_fma_f16 v213, v4, v192, v107
	v_pk_fma_f16 v214, v4, v193, v109
	;; [unrolled: 1-line block ×3, first 2 shown]
	ds_load_2addr_b64 v[12:15], v96 offset1:32
	ds_load_b128 v[8:11], v86 offset:576
	ds_load_b128 v[16:19], v86 offset:592
	ds_load_2addr_b64 v[20:23], v96 offset0:64 offset1:96
	ds_load_2addr_b64 v[104:107], v96 offset0:128 offset1:160
	;; [unrolled: 1-line block ×3, first 2 shown]
	ds_load_2addr_b64 v[108:111], v102 offset1:32
	ds_load_2addr_b64 v[28:31], v102 offset0:64 offset1:96
	ds_load_2addr_b64 v[112:115], v102 offset0:128 offset1:160
	;; [unrolled: 1-line block ×3, first 2 shown]
	ds_load_2addr_b64 v[120:123], v97 offset1:32
	ds_load_b128 v[124:127], v86 offset:608
	ds_load_b128 v[128:131], v86 offset:624
	ds_load_2addr_b64 v[132:135], v97 offset0:64 offset1:96
	ds_load_2addr_b64 v[136:139], v97 offset0:128 offset1:160
	;; [unrolled: 1-line block ×3, first 2 shown]
	ds_load_2addr_b64 v[144:147], v103 offset1:32
	ds_load_2addr_b64 v[148:151], v103 offset0:64 offset1:96
	ds_load_2addr_b64 v[152:155], v103 offset0:128 offset1:160
	;; [unrolled: 1-line block ×3, first 2 shown]
	s_wait_dscnt 0x0
	s_barrier_signal -1
	s_barrier_wait -1
	s_clause 0x3
	global_load_b128 v[160:163], v[176:177], off
	global_load_b128 v[164:167], v[176:177], off offset:512
	global_load_b128 v[168:171], v[178:179], off
	global_load_b128 v[172:175], v[178:179], off offset:512
	s_wait_xcnt 0x2
	v_pk_fma_f16 v176, v5, v192, v181
	v_pk_fma_f16 v177, v5, v193, v182
	s_wait_xcnt 0x0
	v_pk_fma_f16 v178, v5, v194, v183
	v_pk_fma_f16 v5, v5, v195, v184
	;; [unrolled: 1-line block ×3, first 2 shown]
	v_and_b32_e32 v184, 0xffff, v8
	v_lshrrev_b32_e32 v8, 16, v8
	v_and_b32_e32 v185, 0xffff, v9
	v_lshrrev_b32_e32 v9, 16, v9
	v_pk_fma_f16 v4, v4, v195, v180
	v_pk_fma_f16 v180, v6, v193, v186
	;; [unrolled: 1-line block ×3, first 2 shown]
	v_mul_u32_u24_e32 v184, 0x10001, v184
	v_mul_u32_u24_e32 v8, 0x10001, v8
	;; [unrolled: 1-line block ×4, first 2 shown]
	v_pk_fma_f16 v6, v6, v195, v188
	v_pk_fma_f16 v182, v7, v192, v189
	;; [unrolled: 1-line block ×19, first 2 shown]
	v_and_b32_e32 v180, 0xffff, v10
	v_lshrrev_b32_e32 v10, 16, v10
	v_and_b32_e32 v181, 0xffff, v11
	v_lshrrev_b32_e32 v11, 16, v11
	v_pk_fma_f16 v186, v7, v194, v191
	v_pk_fma_f16 v7, v7, v195, v196
	;; [unrolled: 1-line block ×15, first 2 shown]
	v_mul_u32_u24_e32 v180, 0x10001, v180
	v_mul_u32_u24_e32 v10, 0x10001, v10
	;; [unrolled: 1-line block ×4, first 2 shown]
	v_pk_fma_f16 v22, v23, v184, v182
	v_pk_fma_f16 v182, v23, v185, v186
	;; [unrolled: 1-line block ×32, first 2 shown]
	v_and_b32_e32 v10, 0xffff, v16
	v_lshrrev_b32_e32 v16, 16, v16
	v_and_b32_e32 v26, 0xffff, v17
	v_lshrrev_b32_e32 v17, 16, v17
	v_pk_fma_f16 v22, v27, v180, v22
	v_mul_u32_u24_e32 v10, 0x10001, v10
	v_mul_u32_u24_e32 v16, 0x10001, v16
	;; [unrolled: 1-line block ×4, first 2 shown]
	v_pk_fma_f16 v178, v27, v181, v182
	v_pk_fma_f16 v7, v27, v11, v7
	;; [unrolled: 1-line block ×26, first 2 shown]
	v_and_b32_e32 v16, 0xffff, v18
	v_lshrrev_b32_e32 v18, 16, v18
	v_and_b32_e32 v22, 0xffff, v19
	v_lshrrev_b32_e32 v19, 16, v19
	v_pk_fma_f16 v181, v28, v26, v191
	v_mul_u32_u24_e32 v16, 0x10001, v16
	v_mul_u32_u24_e32 v18, 0x10001, v18
	;; [unrolled: 1-line block ×3, first 2 shown]
	v_pk_fma_f16 v4, v28, v17, v4
	v_pk_fma_f16 v28, v29, v26, v176
	;; [unrolled: 1-line block ×17, first 2 shown]
	v_lshrrev_b32_e32 v18, 16, v124
	v_mul_u32_u24_e32 v19, 0x10001, v19
	v_pk_fma_f16 v26, v31, v26, v178
	v_pk_fma_f16 v9, v112, v16, v9
	;; [unrolled: 1-line block ×9, first 2 shown]
	v_and_b32_e32 v16, 0xffff, v124
	v_and_b32_e32 v112, 0xffff, v125
	v_pk_fma_f16 v105, v114, v22, v179
	v_pk_fma_f16 v109, v115, v22, v180
	;; [unrolled: 1-line block ×6, first 2 shown]
	v_mul_u32_u24_e32 v16, 0x10001, v16
	v_mul_u32_u24_e32 v18, 0x10001, v18
	;; [unrolled: 1-line block ×3, first 2 shown]
	v_pk_fma_f16 v13, v113, v19, v13
	v_pk_fma_f16 v14, v114, v19, v14
	;; [unrolled: 1-line block ×6, first 2 shown]
	v_lshrrev_b32_e32 v113, 16, v125
	v_pk_fma_f16 v7, v119, v19, v7
	v_pk_fma_f16 v11, v120, v18, v11
	;; [unrolled: 1-line block ×15, first 2 shown]
	v_lshrrev_b32_e32 v18, 16, v126
	v_mul_u32_u24_e32 v112, 0x10001, v113
	v_pk_fma_f16 v110, v132, v26, v111
	v_and_b32_e32 v111, 0xffff, v127
	v_lshrrev_b32_e32 v113, 16, v127
	v_mul_u32_u24_e32 v18, 0x10001, v18
	v_pk_fma_f16 v9, v120, v16, v9
	v_pk_fma_f16 v17, v120, v26, v17
	;; [unrolled: 1-line block ×15, first 2 shown]
	v_and_b32_e32 v16, 0xffff, v126
	v_pk_fma_f16 v22, v135, v26, v22
	v_mul_u32_u24_e32 v26, 0x10001, v111
	v_pk_fma_f16 v7, v135, v112, v7
	v_pk_fma_f16 v11, v136, v18, v11
	;; [unrolled: 1-line block ×9, first 2 shown]
	v_lshrrev_b32_e32 v18, 16, v128
	v_mul_u32_u24_e32 v111, 0x10001, v113
	v_and_b32_e32 v112, 0xffff, v129
	v_lshrrev_b32_e32 v113, 16, v129
	v_mul_u32_u24_e32 v16, 0x10001, v16
	v_pk_fma_f16 v17, v136, v26, v17
	v_pk_fma_f16 v27, v137, v26, v27
	;; [unrolled: 1-line block ×11, first 2 shown]
	v_mul_u32_u24_e32 v26, 0x10001, v112
	v_mul_u32_u24_e32 v112, 0x10001, v113
	v_pk_fma_f16 v9, v136, v16, v9
	v_pk_fma_f16 v12, v136, v111, v12
	;; [unrolled: 1-line block ×12, first 2 shown]
	v_and_b32_e32 v16, 0xffff, v128
	v_pk_fma_f16 v7, v143, v111, v7
	v_pk_fma_f16 v111, v148, v112, v4
	;; [unrolled: 1-line block ×4, first 2 shown]
	v_and_b32_e32 v4, 0xffff, v130
	v_lshrrev_b32_e32 v5, 16, v130
	v_and_b32_e32 v6, 0xffff, v131
	v_mul_u32_u24_e32 v16, 0x10001, v16
	v_mul_u32_u24_e32 v18, 0x10001, v18
	v_pk_fma_f16 v17, v144, v26, v17
	v_pk_fma_f16 v12, v144, v112, v12
	v_pk_fma_f16 v27, v145, v26, v27
	v_pk_fma_f16 v13, v145, v112, v13
	v_pk_fma_f16 v104, v146, v26, v104
	v_pk_fma_f16 v14, v146, v112, v14
	v_pk_fma_f16 v108, v147, v26, v108
	v_pk_fma_f16 v15, v147, v112, v15
	v_pk_fma_f16 v110, v148, v26, v110
	v_pk_fma_f16 v28, v149, v26, v28
	v_pk_fma_f16 v29, v150, v26, v29
	v_pk_fma_f16 v22, v151, v26, v22
	v_mul_u32_u24_e32 v26, 0x10001, v4
	v_mul_u32_u24_e32 v115, 0x10001, v5
	;; [unrolled: 1-line block ×3, first 2 shown]
	v_pk_fma_f16 v112, v151, v112, v7
	s_wait_loadcnt 0x3
	ds_store_b128 v87, v[160:163]
	s_wait_loadcnt 0x2
	ds_store_b128 v88, v[164:167]
	;; [unrolled: 2-line block ×4, first 2 shown]
	s_wait_dscnt 0x0
	s_barrier_signal -1
	s_barrier_wait -1
	ds_load_b128 v[4:7], v86 offset:640
	v_pk_fma_f16 v9, v144, v16, v9
	v_pk_fma_f16 v11, v144, v18, v11
	v_pk_fma_f16 v19, v145, v16, v19
	v_pk_fma_f16 v23, v145, v18, v23
	v_pk_fma_f16 v30, v146, v16, v30
	v_pk_fma_f16 v31, v146, v18, v31
	v_pk_fma_f16 v105, v147, v16, v105
	v_pk_fma_f16 v106, v147, v18, v106
	v_pk_fma_f16 v107, v148, v16, v107
	v_pk_fma_f16 v109, v148, v18, v109
	v_pk_fma_f16 v20, v149, v16, v20
	v_pk_fma_f16 v24, v149, v18, v24
	v_pk_fma_f16 v21, v150, v16, v21
	v_pk_fma_f16 v25, v150, v18, v25
	v_pk_fma_f16 v16, v151, v16, v10
	v_pk_fma_f16 v18, v151, v18, v8
	v_lshrrev_b32_e32 v8, 16, v131
	v_pk_fma_f16 v118, v152, v26, v9
	v_pk_fma_f16 v119, v152, v115, v11
	;; [unrolled: 1-line block ×4, first 2 shown]
	v_mul_u32_u24_e32 v117, 0x10001, v8
	v_pk_fma_f16 v123, v153, v115, v23
	v_pk_fma_f16 v31, v154, v115, v31
	;; [unrolled: 1-line block ×5, first 2 shown]
	ds_load_2addr_b64 v[8:11], v101 offset1:32
	v_pk_fma_f16 v131, v158, v115, v25
	v_pk_fma_f16 v132, v159, v26, v16
	;; [unrolled: 1-line block ×3, first 2 shown]
	ds_load_2addr_b64 v[16:19], v101 offset0:64 offset1:96
	v_pk_fma_f16 v121, v152, v117, v12
	v_pk_fma_f16 v125, v153, v117, v13
	;; [unrolled: 1-line block ×6, first 2 shown]
	ds_load_b128 v[12:15], v86 offset:656
	s_wait_dscnt 0x3
	v_and_b32_e32 v20, 0xffff, v4
	v_lshrrev_b32_e32 v4, 16, v4
	v_and_b32_e32 v21, 0xffff, v5
	v_lshrrev_b32_e32 v5, 16, v5
	v_pk_fma_f16 v124, v153, v116, v27
	v_pk_fma_f16 v30, v154, v26, v30
	;; [unrolled: 1-line block ×13, first 2 shown]
	v_mul_u32_u24_e32 v117, 0x10001, v20
	v_mul_u32_u24_e32 v4, 0x10001, v4
	;; [unrolled: 1-line block ×4, first 2 shown]
	v_pk_fma_f16 v116, v159, v116, v22
	ds_load_b128 v[20:23], v86 offset:672
	ds_load_b128 v[24:27], v86 offset:688
	s_wait_dscnt 0x4
	v_pk_fma_f16 v118, v8, v117, v118
	v_pk_fma_f16 v119, v8, v4, v119
	;; [unrolled: 1-line block ×16, first 2 shown]
	s_wait_dscnt 0x3
	v_pk_fma_f16 v107, v16, v117, v107
	v_pk_fma_f16 v109, v16, v4, v109
	v_pk_fma_f16 v110, v16, v133, v110
	v_pk_fma_f16 v16, v16, v134, v111
	v_pk_fma_f16 v111, v17, v117, v128
	v_pk_fma_f16 v128, v17, v4, v129
	ds_load_2addr_b64 v[8:11], v101 offset0:128 offset1:160
	v_pk_fma_f16 v28, v17, v133, v28
	v_pk_fma_f16 v17, v17, v134, v113
	;; [unrolled: 1-line block ×8, first 2 shown]
	v_and_b32_e32 v117, 0xffff, v6
	v_lshrrev_b32_e32 v130, 16, v6
	v_and_b32_e32 v131, 0xffff, v7
	v_lshrrev_b32_e32 v132, 16, v7
	ds_load_2addr_b64 v[4:7], v101 offset0:192 offset1:224
	v_mul_u32_u24_e32 v117, 0x10001, v117
	v_mul_u32_u24_e32 v130, 0x10001, v130
	;; [unrolled: 1-line block ×4, first 2 shown]
	v_pk_fma_f16 v116, v19, v133, v116
	v_pk_fma_f16 v112, v19, v134, v112
	s_wait_dscnt 0x1
	v_pk_fma_f16 v118, v8, v117, v118
	v_pk_fma_f16 v119, v8, v130, v119
	;; [unrolled: 1-line block ×16, first 2 shown]
	s_wait_dscnt 0x0
	v_pk_fma_f16 v107, v4, v117, v107
	v_pk_fma_f16 v109, v4, v130, v109
	;; [unrolled: 1-line block ×4, first 2 shown]
	ds_load_2addr_b64 v[8:11], v98 offset1:32
	v_pk_fma_f16 v133, v5, v132, v17
	v_pk_fma_f16 v134, v6, v132, v18
	ds_load_2addr_b64 v[16:19], v98 offset0:64 offset1:96
	v_pk_fma_f16 v111, v5, v117, v111
	v_pk_fma_f16 v128, v5, v130, v128
	;; [unrolled: 1-line block ×6, first 2 shown]
	v_and_b32_e32 v5, 0xffff, v12
	v_lshrrev_b32_e32 v6, 16, v12
	v_and_b32_e32 v12, 0xffff, v13
	v_pk_fma_f16 v116, v7, v131, v116
	v_lshrrev_b32_e32 v13, 16, v13
	v_pk_fma_f16 v114, v7, v117, v114
	v_pk_fma_f16 v115, v7, v130, v115
	v_mul_u32_u24_e32 v12, 0x10001, v12
	v_mul_u32_u24_e32 v117, 0x10001, v5
	;; [unrolled: 1-line block ×3, first 2 shown]
	v_pk_fma_f16 v112, v7, v132, v112
	s_mul_u64 s[26:27], s[26:27], s[14:15]
	s_wait_dscnt 0x1
	v_pk_fma_f16 v120, v8, v12, v120
	v_pk_fma_f16 v124, v9, v12, v124
	;; [unrolled: 1-line block ×4, first 2 shown]
	s_wait_dscnt 0x0
	v_pk_fma_f16 v110, v16, v12, v110
	v_pk_fma_f16 v28, v17, v12, v28
	;; [unrolled: 1-line block ×4, first 2 shown]
	v_and_b32_e32 v116, 0xffff, v14
	v_lshrrev_b32_e32 v14, 16, v14
	v_mul_u32_u24_e32 v13, 0x10001, v13
	v_pk_fma_f16 v118, v8, v117, v118
	v_pk_fma_f16 v119, v8, v130, v119
	;; [unrolled: 1-line block ×15, first 2 shown]
	ds_load_2addr_b64 v[4:7], v98 offset0:128 offset1:160
	ds_load_2addr_b64 v[8:11], v98 offset0:192 offset1:224
	v_pk_fma_f16 v111, v17, v117, v111
	v_pk_fma_f16 v113, v18, v117, v113
	;; [unrolled: 1-line block ×3, first 2 shown]
	v_and_b32_e32 v117, 0xffff, v15
	v_lshrrev_b32_e32 v15, 16, v15
	v_pk_fma_f16 v128, v17, v130, v128
	v_pk_fma_f16 v17, v17, v13, v133
	;; [unrolled: 1-line block ×5, first 2 shown]
	v_mul_u32_u24_e32 v116, 0x10001, v116
	v_mul_u32_u24_e32 v14, 0x10001, v14
	;; [unrolled: 1-line block ×4, first 2 shown]
	v_pk_fma_f16 v19, v19, v13, v112
	s_lshl_b64 s[26:27], s[26:27], 2
	s_delay_alu instid0(SALU_CYCLE_1)
	s_add_nc_u64 s[26:27], s[8:9], s[26:27]
	s_wait_dscnt 0x1
	v_pk_fma_f16 v112, v4, v116, v118
	v_pk_fma_f16 v118, v4, v14, v119
	;; [unrolled: 1-line block ×16, first 2 shown]
	s_wait_dscnt 0x0
	v_pk_fma_f16 v107, v8, v116, v107
	v_pk_fma_f16 v109, v8, v14, v109
	;; [unrolled: 1-line block ×6, first 2 shown]
	ds_load_2addr_b64 v[4:7], v99 offset1:32
	v_pk_fma_f16 v28, v9, v117, v28
	v_pk_fma_f16 v9, v9, v130, v17
	;; [unrolled: 1-line block ×9, first 2 shown]
	ds_load_2addr_b64 v[12:15], v99 offset0:64 offset1:96
	v_and_b32_e32 v116, 0xffff, v20
	v_lshrrev_b32_e32 v20, 16, v20
	v_and_b32_e32 v117, 0xffff, v21
	v_lshrrev_b32_e32 v21, 16, v21
	v_pk_fma_f16 v19, v11, v130, v19
	v_mul_u32_u24_e32 v116, 0x10001, v116
	v_mul_u32_u24_e32 v20, 0x10001, v20
	;; [unrolled: 1-line block ×3, first 2 shown]
	v_add_nc_u64_e32 v[156:157], s[26:27], v[50:51]
	v_add_nc_u64_e32 v[160:161], s[26:27], v[52:53]
	s_wait_dscnt 0x1
	v_pk_fma_f16 v112, v4, v116, v112
	v_pk_fma_f16 v118, v4, v20, v118
	;; [unrolled: 1-line block ×9, first 2 shown]
	s_wait_dscnt 0x0
	v_pk_fma_f16 v109, v12, v20, v109
	v_pk_fma_f16 v111, v13, v20, v111
	;; [unrolled: 1-line block ×5, first 2 shown]
	v_and_b32_e32 v115, 0xffff, v22
	v_lshrrev_b32_e32 v22, 16, v22
	v_mul_u32_u24_e32 v21, 0x10001, v21
	v_pk_fma_f16 v104, v6, v117, v104
	v_pk_fma_f16 v105, v7, v116, v105
	;; [unrolled: 1-line block ×11, first 2 shown]
	ds_load_2addr_b64 v[4:7], v99 offset0:128 offset1:160
	v_pk_fma_f16 v28, v13, v117, v28
	v_pk_fma_f16 v13, v13, v21, v9
	;; [unrolled: 1-line block ×5, first 2 shown]
	ds_load_2addr_b64 v[8:11], v99 offset0:192 offset1:224
	v_pk_fma_f16 v18, v15, v116, v18
	v_and_b32_e32 v116, 0xffff, v23
	v_lshrrev_b32_e32 v23, 16, v23
	v_mul_u32_u24_e32 v115, 0x10001, v115
	v_mul_u32_u24_e32 v22, 0x10001, v22
	v_pk_fma_f16 v19, v15, v21, v19
	v_mul_u32_u24_e32 v116, 0x10001, v116
	v_mul_u32_u24_e32 v23, 0x10001, v23
	v_add_nc_u64_e32 v[176:177], v[156:157], v[38:39]
	v_add_nc_u64_e32 v[178:179], v[160:161], v[38:39]
	s_or_b32 s26, s4, 0x70
	s_delay_alu instid0(SALU_CYCLE_1)
	s_ashr_i32 s27, s26, 31
	s_wait_dscnt 0x1
	v_pk_fma_f16 v21, v4, v115, v112
	v_pk_fma_f16 v112, v4, v22, v118
	;; [unrolled: 1-line block ×16, first 2 shown]
	s_wait_dscnt 0x0
	v_pk_fma_f16 v107, v8, v115, v107
	v_pk_fma_f16 v109, v8, v22, v109
	;; [unrolled: 1-line block ×4, first 2 shown]
	ds_load_2addr_b64 v[4:7], v100 offset1:32
	v_pk_fma_f16 v125, v9, v23, v13
	v_pk_fma_f16 v126, v10, v23, v14
	ds_load_2addr_b64 v[12:15], v100 offset0:64 offset1:96
	v_pk_fma_f16 v16, v9, v115, v16
	v_pk_fma_f16 v111, v9, v22, v111
	v_pk_fma_f16 v28, v9, v116, v28
	v_pk_fma_f16 v17, v10, v115, v17
	v_pk_fma_f16 v113, v10, v22, v113
	v_pk_fma_f16 v29, v10, v116, v29
	v_and_b32_e32 v9, 0xffff, v24
	v_lshrrev_b32_e32 v10, 16, v24
	v_and_b32_e32 v24, 0xffff, v25
	v_lshrrev_b32_e32 v25, 16, v25
	v_pk_fma_f16 v18, v11, v115, v18
	v_pk_fma_f16 v20, v11, v22, v20
	;; [unrolled: 1-line block ×3, first 2 shown]
	v_mul_u32_u24_e32 v114, 0x10001, v9
	v_mul_u32_u24_e32 v115, 0x10001, v10
	;; [unrolled: 1-line block ×4, first 2 shown]
	v_pk_fma_f16 v19, v11, v23, v19
	s_wait_dscnt 0x1
	v_pk_fma_f16 v21, v4, v114, v21
	v_pk_fma_f16 v23, v4, v115, v112
	;; [unrolled: 1-line block ×16, first 2 shown]
	s_wait_dscnt 0x0
	v_pk_fma_f16 v180, v12, v25, v8
	ds_load_2addr_b64 v[8:11], v100 offset0:128 offset1:160
	ds_load_2addr_b64 v[4:7], v100 offset0:192 offset1:224
	v_pk_fma_f16 v107, v12, v114, v107
	v_pk_fma_f16 v109, v12, v115, v109
	;; [unrolled: 1-line block ×11, first 2 shown]
	v_and_b32_e32 v12, 0xffff, v26
	v_lshrrev_b32_e32 v13, 16, v26
	v_and_b32_e32 v14, 0xffff, v27
	v_lshrrev_b32_e32 v16, 16, v27
	v_pk_fma_f16 v189, v15, v114, v18
	v_mul_u32_u24_e32 v192, 0x10001, v12
	v_mul_u32_u24_e32 v193, 0x10001, v13
	;; [unrolled: 1-line block ×4, first 2 shown]
	v_pk_fma_f16 v190, v15, v115, v20
	v_pk_fma_f16 v191, v15, v24, v22
	;; [unrolled: 1-line block ×3, first 2 shown]
	s_wait_dscnt 0x1
	v_pk_fma_f16 v197, v8, v192, v21
	v_pk_fma_f16 v198, v8, v193, v23
	;; [unrolled: 1-line block ×16, first 2 shown]
	s_wait_dscnt 0x0
	v_pk_fma_f16 v213, v4, v192, v107
	v_pk_fma_f16 v214, v4, v193, v109
	;; [unrolled: 1-line block ×3, first 2 shown]
	ds_load_2addr_b64 v[12:15], v96 offset1:32
	ds_load_b128 v[8:11], v86 offset:704
	ds_load_b128 v[16:19], v86 offset:720
	ds_load_2addr_b64 v[20:23], v96 offset0:64 offset1:96
	ds_load_2addr_b64 v[104:107], v96 offset0:128 offset1:160
	ds_load_2addr_b64 v[24:27], v96 offset0:192 offset1:224
	ds_load_2addr_b64 v[108:111], v102 offset1:32
	ds_load_2addr_b64 v[28:31], v102 offset0:64 offset1:96
	ds_load_2addr_b64 v[112:115], v102 offset0:128 offset1:160
	;; [unrolled: 1-line block ×3, first 2 shown]
	ds_load_2addr_b64 v[120:123], v97 offset1:32
	ds_load_b128 v[124:127], v86 offset:736
	ds_load_b128 v[128:131], v86 offset:752
	ds_load_2addr_b64 v[132:135], v97 offset0:64 offset1:96
	ds_load_2addr_b64 v[136:139], v97 offset0:128 offset1:160
	;; [unrolled: 1-line block ×3, first 2 shown]
	ds_load_2addr_b64 v[144:147], v103 offset1:32
	ds_load_2addr_b64 v[148:151], v103 offset0:64 offset1:96
	ds_load_2addr_b64 v[152:155], v103 offset0:128 offset1:160
	;; [unrolled: 1-line block ×3, first 2 shown]
	s_wait_dscnt 0x0
	s_barrier_signal -1
	s_barrier_wait -1
	s_clause 0x3
	global_load_b128 v[160:163], v[176:177], off
	global_load_b128 v[164:167], v[176:177], off offset:512
	global_load_b128 v[168:171], v[178:179], off
	global_load_b128 v[172:175], v[178:179], off offset:512
	s_wait_xcnt 0x2
	v_pk_fma_f16 v176, v5, v192, v181
	v_pk_fma_f16 v177, v5, v193, v182
	s_wait_xcnt 0x0
	v_pk_fma_f16 v178, v5, v194, v183
	v_pk_fma_f16 v5, v5, v195, v184
	;; [unrolled: 1-line block ×3, first 2 shown]
	v_and_b32_e32 v184, 0xffff, v8
	v_lshrrev_b32_e32 v8, 16, v8
	v_and_b32_e32 v185, 0xffff, v9
	v_lshrrev_b32_e32 v9, 16, v9
	v_pk_fma_f16 v4, v4, v195, v180
	v_pk_fma_f16 v180, v6, v193, v186
	v_pk_fma_f16 v181, v6, v194, v187
	v_mul_u32_u24_e32 v184, 0x10001, v184
	v_mul_u32_u24_e32 v8, 0x10001, v8
	;; [unrolled: 1-line block ×4, first 2 shown]
	v_pk_fma_f16 v6, v6, v195, v188
	v_pk_fma_f16 v182, v7, v192, v189
	;; [unrolled: 1-line block ×19, first 2 shown]
	v_and_b32_e32 v180, 0xffff, v10
	v_lshrrev_b32_e32 v10, 16, v10
	v_and_b32_e32 v181, 0xffff, v11
	v_lshrrev_b32_e32 v11, 16, v11
	v_pk_fma_f16 v186, v7, v194, v191
	v_pk_fma_f16 v7, v7, v195, v196
	;; [unrolled: 1-line block ×15, first 2 shown]
	v_mul_u32_u24_e32 v180, 0x10001, v180
	v_mul_u32_u24_e32 v10, 0x10001, v10
	;; [unrolled: 1-line block ×4, first 2 shown]
	v_pk_fma_f16 v22, v23, v184, v182
	v_pk_fma_f16 v182, v23, v185, v186
	;; [unrolled: 1-line block ×32, first 2 shown]
	v_and_b32_e32 v10, 0xffff, v16
	v_lshrrev_b32_e32 v16, 16, v16
	v_and_b32_e32 v26, 0xffff, v17
	v_lshrrev_b32_e32 v17, 16, v17
	v_pk_fma_f16 v22, v27, v180, v22
	v_mul_u32_u24_e32 v10, 0x10001, v10
	v_mul_u32_u24_e32 v16, 0x10001, v16
	;; [unrolled: 1-line block ×4, first 2 shown]
	v_pk_fma_f16 v178, v27, v181, v182
	v_pk_fma_f16 v7, v27, v11, v7
	;; [unrolled: 1-line block ×26, first 2 shown]
	v_and_b32_e32 v16, 0xffff, v18
	v_lshrrev_b32_e32 v18, 16, v18
	v_and_b32_e32 v22, 0xffff, v19
	v_lshrrev_b32_e32 v19, 16, v19
	v_pk_fma_f16 v181, v28, v26, v191
	v_mul_u32_u24_e32 v16, 0x10001, v16
	v_mul_u32_u24_e32 v18, 0x10001, v18
	;; [unrolled: 1-line block ×3, first 2 shown]
	v_pk_fma_f16 v4, v28, v17, v4
	v_pk_fma_f16 v28, v29, v26, v176
	;; [unrolled: 1-line block ×17, first 2 shown]
	v_lshrrev_b32_e32 v18, 16, v124
	v_mul_u32_u24_e32 v19, 0x10001, v19
	v_pk_fma_f16 v26, v31, v26, v178
	v_pk_fma_f16 v9, v112, v16, v9
	;; [unrolled: 1-line block ×9, first 2 shown]
	v_and_b32_e32 v16, 0xffff, v124
	v_and_b32_e32 v112, 0xffff, v125
	v_pk_fma_f16 v105, v114, v22, v179
	v_pk_fma_f16 v109, v115, v22, v180
	;; [unrolled: 1-line block ×6, first 2 shown]
	v_mul_u32_u24_e32 v16, 0x10001, v16
	v_mul_u32_u24_e32 v18, 0x10001, v18
	;; [unrolled: 1-line block ×3, first 2 shown]
	v_pk_fma_f16 v13, v113, v19, v13
	v_pk_fma_f16 v14, v114, v19, v14
	;; [unrolled: 1-line block ×6, first 2 shown]
	v_lshrrev_b32_e32 v113, 16, v125
	v_pk_fma_f16 v7, v119, v19, v7
	v_pk_fma_f16 v11, v120, v18, v11
	;; [unrolled: 1-line block ×15, first 2 shown]
	v_lshrrev_b32_e32 v18, 16, v126
	v_mul_u32_u24_e32 v112, 0x10001, v113
	v_pk_fma_f16 v110, v132, v26, v111
	v_and_b32_e32 v111, 0xffff, v127
	v_lshrrev_b32_e32 v113, 16, v127
	v_mul_u32_u24_e32 v18, 0x10001, v18
	v_pk_fma_f16 v9, v120, v16, v9
	v_pk_fma_f16 v17, v120, v26, v17
	;; [unrolled: 1-line block ×15, first 2 shown]
	v_and_b32_e32 v16, 0xffff, v126
	v_pk_fma_f16 v22, v135, v26, v22
	v_mul_u32_u24_e32 v26, 0x10001, v111
	v_pk_fma_f16 v7, v135, v112, v7
	v_pk_fma_f16 v11, v136, v18, v11
	;; [unrolled: 1-line block ×9, first 2 shown]
	v_lshrrev_b32_e32 v18, 16, v128
	v_mul_u32_u24_e32 v111, 0x10001, v113
	v_and_b32_e32 v112, 0xffff, v129
	v_lshrrev_b32_e32 v113, 16, v129
	v_mul_u32_u24_e32 v16, 0x10001, v16
	v_pk_fma_f16 v17, v136, v26, v17
	v_pk_fma_f16 v27, v137, v26, v27
	;; [unrolled: 1-line block ×11, first 2 shown]
	v_mul_u32_u24_e32 v26, 0x10001, v112
	v_mul_u32_u24_e32 v112, 0x10001, v113
	v_pk_fma_f16 v9, v136, v16, v9
	v_pk_fma_f16 v12, v136, v111, v12
	;; [unrolled: 1-line block ×12, first 2 shown]
	v_and_b32_e32 v16, 0xffff, v128
	v_pk_fma_f16 v7, v143, v111, v7
	v_pk_fma_f16 v111, v148, v112, v4
	;; [unrolled: 1-line block ×4, first 2 shown]
	v_and_b32_e32 v4, 0xffff, v130
	v_lshrrev_b32_e32 v5, 16, v130
	v_and_b32_e32 v6, 0xffff, v131
	v_mul_u32_u24_e32 v16, 0x10001, v16
	v_mul_u32_u24_e32 v18, 0x10001, v18
	v_pk_fma_f16 v17, v144, v26, v17
	v_pk_fma_f16 v12, v144, v112, v12
	;; [unrolled: 1-line block ×12, first 2 shown]
	v_mul_u32_u24_e32 v26, 0x10001, v4
	v_mul_u32_u24_e32 v115, 0x10001, v5
	;; [unrolled: 1-line block ×3, first 2 shown]
	v_pk_fma_f16 v112, v151, v112, v7
	s_wait_loadcnt 0x3
	ds_store_b128 v87, v[160:163]
	s_wait_loadcnt 0x2
	ds_store_b128 v88, v[164:167]
	;; [unrolled: 2-line block ×4, first 2 shown]
	s_wait_dscnt 0x0
	s_barrier_signal -1
	s_barrier_wait -1
	ds_load_b128 v[4:7], v86 offset:768
	v_pk_fma_f16 v9, v144, v16, v9
	v_pk_fma_f16 v11, v144, v18, v11
	;; [unrolled: 1-line block ×16, first 2 shown]
	v_lshrrev_b32_e32 v8, 16, v131
	v_pk_fma_f16 v118, v152, v26, v9
	v_pk_fma_f16 v119, v152, v115, v11
	v_pk_fma_f16 v120, v152, v116, v17
	v_pk_fma_f16 v122, v153, v26, v19
	v_mul_u32_u24_e32 v117, 0x10001, v8
	v_pk_fma_f16 v123, v153, v115, v23
	v_pk_fma_f16 v31, v154, v115, v31
	;; [unrolled: 1-line block ×5, first 2 shown]
	ds_load_2addr_b64 v[8:11], v101 offset1:32
	v_pk_fma_f16 v131, v158, v115, v25
	v_pk_fma_f16 v132, v159, v26, v16
	;; [unrolled: 1-line block ×3, first 2 shown]
	ds_load_2addr_b64 v[16:19], v101 offset0:64 offset1:96
	v_pk_fma_f16 v121, v152, v117, v12
	v_pk_fma_f16 v125, v153, v117, v13
	;; [unrolled: 1-line block ×6, first 2 shown]
	ds_load_b128 v[12:15], v86 offset:784
	s_wait_dscnt 0x3
	v_and_b32_e32 v20, 0xffff, v4
	v_lshrrev_b32_e32 v4, 16, v4
	v_and_b32_e32 v21, 0xffff, v5
	v_lshrrev_b32_e32 v5, 16, v5
	v_pk_fma_f16 v124, v153, v116, v27
	v_pk_fma_f16 v30, v154, v26, v30
	;; [unrolled: 1-line block ×13, first 2 shown]
	v_mul_u32_u24_e32 v117, 0x10001, v20
	v_mul_u32_u24_e32 v4, 0x10001, v4
	;; [unrolled: 1-line block ×4, first 2 shown]
	v_pk_fma_f16 v116, v159, v116, v22
	ds_load_b128 v[20:23], v86 offset:800
	ds_load_b128 v[24:27], v86 offset:816
	s_wait_dscnt 0x4
	v_pk_fma_f16 v118, v8, v117, v118
	v_pk_fma_f16 v119, v8, v4, v119
	;; [unrolled: 1-line block ×16, first 2 shown]
	s_wait_dscnt 0x3
	v_pk_fma_f16 v107, v16, v117, v107
	v_pk_fma_f16 v109, v16, v4, v109
	;; [unrolled: 1-line block ×6, first 2 shown]
	ds_load_2addr_b64 v[8:11], v101 offset0:128 offset1:160
	v_pk_fma_f16 v28, v17, v133, v28
	v_pk_fma_f16 v17, v17, v134, v113
	;; [unrolled: 1-line block ×8, first 2 shown]
	v_and_b32_e32 v117, 0xffff, v6
	v_lshrrev_b32_e32 v130, 16, v6
	v_and_b32_e32 v131, 0xffff, v7
	v_lshrrev_b32_e32 v132, 16, v7
	ds_load_2addr_b64 v[4:7], v101 offset0:192 offset1:224
	v_mul_u32_u24_e32 v117, 0x10001, v117
	v_mul_u32_u24_e32 v130, 0x10001, v130
	;; [unrolled: 1-line block ×4, first 2 shown]
	v_pk_fma_f16 v116, v19, v133, v116
	v_pk_fma_f16 v112, v19, v134, v112
	s_wait_dscnt 0x1
	v_pk_fma_f16 v118, v8, v117, v118
	v_pk_fma_f16 v119, v8, v130, v119
	;; [unrolled: 1-line block ×16, first 2 shown]
	s_wait_dscnt 0x0
	v_pk_fma_f16 v107, v4, v117, v107
	v_pk_fma_f16 v109, v4, v130, v109
	;; [unrolled: 1-line block ×4, first 2 shown]
	ds_load_2addr_b64 v[8:11], v98 offset1:32
	v_pk_fma_f16 v133, v5, v132, v17
	v_pk_fma_f16 v134, v6, v132, v18
	ds_load_2addr_b64 v[16:19], v98 offset0:64 offset1:96
	v_pk_fma_f16 v111, v5, v117, v111
	v_pk_fma_f16 v128, v5, v130, v128
	;; [unrolled: 1-line block ×6, first 2 shown]
	v_and_b32_e32 v5, 0xffff, v12
	v_lshrrev_b32_e32 v6, 16, v12
	v_and_b32_e32 v12, 0xffff, v13
	v_pk_fma_f16 v116, v7, v131, v116
	v_lshrrev_b32_e32 v13, 16, v13
	v_pk_fma_f16 v114, v7, v117, v114
	v_pk_fma_f16 v115, v7, v130, v115
	v_mul_u32_u24_e32 v12, 0x10001, v12
	v_mul_u32_u24_e32 v117, 0x10001, v5
	;; [unrolled: 1-line block ×3, first 2 shown]
	v_pk_fma_f16 v112, v7, v132, v112
	s_mul_u64 s[26:27], s[26:27], s[14:15]
	s_wait_dscnt 0x1
	v_pk_fma_f16 v120, v8, v12, v120
	v_pk_fma_f16 v124, v9, v12, v124
	;; [unrolled: 1-line block ×4, first 2 shown]
	s_wait_dscnt 0x0
	v_pk_fma_f16 v110, v16, v12, v110
	v_pk_fma_f16 v28, v17, v12, v28
	;; [unrolled: 1-line block ×4, first 2 shown]
	v_and_b32_e32 v116, 0xffff, v14
	v_lshrrev_b32_e32 v14, 16, v14
	v_mul_u32_u24_e32 v13, 0x10001, v13
	v_pk_fma_f16 v118, v8, v117, v118
	v_pk_fma_f16 v119, v8, v130, v119
	;; [unrolled: 1-line block ×15, first 2 shown]
	ds_load_2addr_b64 v[4:7], v98 offset0:128 offset1:160
	ds_load_2addr_b64 v[8:11], v98 offset0:192 offset1:224
	v_pk_fma_f16 v111, v17, v117, v111
	v_pk_fma_f16 v113, v18, v117, v113
	v_pk_fma_f16 v114, v19, v117, v114
	v_and_b32_e32 v117, 0xffff, v15
	v_lshrrev_b32_e32 v15, 16, v15
	v_pk_fma_f16 v128, v17, v130, v128
	v_pk_fma_f16 v17, v17, v13, v133
	;; [unrolled: 1-line block ×5, first 2 shown]
	v_mul_u32_u24_e32 v116, 0x10001, v116
	v_mul_u32_u24_e32 v14, 0x10001, v14
	;; [unrolled: 1-line block ×4, first 2 shown]
	v_pk_fma_f16 v19, v19, v13, v112
	s_lshl_b64 s[26:27], s[26:27], 2
	s_delay_alu instid0(SALU_CYCLE_1)
	s_add_nc_u64 s[26:27], s[8:9], s[26:27]
	s_wait_dscnt 0x1
	v_pk_fma_f16 v112, v4, v116, v118
	v_pk_fma_f16 v118, v4, v14, v119
	;; [unrolled: 1-line block ×16, first 2 shown]
	s_wait_dscnt 0x0
	v_pk_fma_f16 v107, v8, v116, v107
	v_pk_fma_f16 v109, v8, v14, v109
	;; [unrolled: 1-line block ×6, first 2 shown]
	ds_load_2addr_b64 v[4:7], v99 offset1:32
	v_pk_fma_f16 v28, v9, v117, v28
	v_pk_fma_f16 v9, v9, v130, v17
	;; [unrolled: 1-line block ×9, first 2 shown]
	ds_load_2addr_b64 v[12:15], v99 offset0:64 offset1:96
	v_and_b32_e32 v116, 0xffff, v20
	v_lshrrev_b32_e32 v20, 16, v20
	v_and_b32_e32 v117, 0xffff, v21
	v_lshrrev_b32_e32 v21, 16, v21
	v_pk_fma_f16 v19, v11, v130, v19
	v_mul_u32_u24_e32 v116, 0x10001, v116
	v_mul_u32_u24_e32 v20, 0x10001, v20
	;; [unrolled: 1-line block ×3, first 2 shown]
	v_add_nc_u64_e32 v[156:157], s[26:27], v[50:51]
	v_add_nc_u64_e32 v[160:161], s[26:27], v[52:53]
	s_wait_dscnt 0x1
	v_pk_fma_f16 v112, v4, v116, v112
	v_pk_fma_f16 v118, v4, v20, v118
	;; [unrolled: 1-line block ×9, first 2 shown]
	s_wait_dscnt 0x0
	v_pk_fma_f16 v109, v12, v20, v109
	v_pk_fma_f16 v111, v13, v20, v111
	;; [unrolled: 1-line block ×5, first 2 shown]
	v_and_b32_e32 v115, 0xffff, v22
	v_lshrrev_b32_e32 v22, 16, v22
	v_mul_u32_u24_e32 v21, 0x10001, v21
	v_pk_fma_f16 v104, v6, v117, v104
	v_pk_fma_f16 v105, v7, v116, v105
	;; [unrolled: 1-line block ×11, first 2 shown]
	ds_load_2addr_b64 v[4:7], v99 offset0:128 offset1:160
	v_pk_fma_f16 v28, v13, v117, v28
	v_pk_fma_f16 v13, v13, v21, v9
	;; [unrolled: 1-line block ×5, first 2 shown]
	ds_load_2addr_b64 v[8:11], v99 offset0:192 offset1:224
	v_pk_fma_f16 v18, v15, v116, v18
	v_and_b32_e32 v116, 0xffff, v23
	v_lshrrev_b32_e32 v23, 16, v23
	v_mul_u32_u24_e32 v115, 0x10001, v115
	v_mul_u32_u24_e32 v22, 0x10001, v22
	v_pk_fma_f16 v19, v15, v21, v19
	v_mul_u32_u24_e32 v116, 0x10001, v116
	v_mul_u32_u24_e32 v23, 0x10001, v23
	v_add_nc_u64_e32 v[176:177], v[156:157], v[38:39]
	v_add_nc_u64_e32 v[178:179], v[160:161], v[38:39]
	s_wait_dscnt 0x1
	v_pk_fma_f16 v21, v4, v115, v112
	v_pk_fma_f16 v112, v4, v22, v118
	v_pk_fma_f16 v117, v4, v116, v119
	v_pk_fma_f16 v118, v4, v23, v120
	v_pk_fma_f16 v119, v5, v115, v121
	v_pk_fma_f16 v120, v5, v22, v122
	v_pk_fma_f16 v121, v5, v116, v123
	v_pk_fma_f16 v122, v5, v23, v124
	v_pk_fma_f16 v30, v6, v115, v30
	v_pk_fma_f16 v31, v6, v22, v31
	v_pk_fma_f16 v104, v6, v116, v104
	v_pk_fma_f16 v123, v6, v23, v125
	v_pk_fma_f16 v105, v7, v115, v105
	v_pk_fma_f16 v106, v7, v22, v106
	v_pk_fma_f16 v108, v7, v116, v108
	v_pk_fma_f16 v124, v7, v23, v126
	s_wait_dscnt 0x0
	v_pk_fma_f16 v107, v8, v115, v107
	v_pk_fma_f16 v109, v8, v22, v109
	;; [unrolled: 1-line block ×4, first 2 shown]
	ds_load_2addr_b64 v[4:7], v100 offset1:32
	v_pk_fma_f16 v125, v9, v23, v13
	v_pk_fma_f16 v126, v10, v23, v14
	ds_load_2addr_b64 v[12:15], v100 offset0:64 offset1:96
	v_pk_fma_f16 v16, v9, v115, v16
	v_pk_fma_f16 v111, v9, v22, v111
	;; [unrolled: 1-line block ×6, first 2 shown]
	v_and_b32_e32 v9, 0xffff, v24
	v_lshrrev_b32_e32 v10, 16, v24
	v_and_b32_e32 v24, 0xffff, v25
	v_lshrrev_b32_e32 v25, 16, v25
	v_pk_fma_f16 v18, v11, v115, v18
	v_pk_fma_f16 v20, v11, v22, v20
	;; [unrolled: 1-line block ×3, first 2 shown]
	v_mul_u32_u24_e32 v114, 0x10001, v9
	v_mul_u32_u24_e32 v115, 0x10001, v10
	v_mul_u32_u24_e32 v24, 0x10001, v24
	v_mul_u32_u24_e32 v25, 0x10001, v25
	v_pk_fma_f16 v19, v11, v23, v19
	s_wait_dscnt 0x1
	v_pk_fma_f16 v21, v4, v114, v21
	v_pk_fma_f16 v23, v4, v115, v112
	;; [unrolled: 1-line block ×16, first 2 shown]
	s_wait_dscnt 0x0
	v_pk_fma_f16 v180, v12, v25, v8
	ds_load_2addr_b64 v[8:11], v100 offset0:128 offset1:160
	ds_load_2addr_b64 v[4:7], v100 offset0:192 offset1:224
	v_pk_fma_f16 v107, v12, v114, v107
	v_pk_fma_f16 v109, v12, v115, v109
	;; [unrolled: 1-line block ×11, first 2 shown]
	v_and_b32_e32 v12, 0xffff, v26
	v_lshrrev_b32_e32 v13, 16, v26
	v_and_b32_e32 v14, 0xffff, v27
	v_lshrrev_b32_e32 v16, 16, v27
	v_pk_fma_f16 v189, v15, v114, v18
	v_mul_u32_u24_e32 v192, 0x10001, v12
	v_mul_u32_u24_e32 v193, 0x10001, v13
	;; [unrolled: 1-line block ×4, first 2 shown]
	v_pk_fma_f16 v190, v15, v115, v20
	v_pk_fma_f16 v191, v15, v24, v22
	;; [unrolled: 1-line block ×3, first 2 shown]
	s_wait_dscnt 0x1
	v_pk_fma_f16 v197, v8, v192, v21
	v_pk_fma_f16 v198, v8, v193, v23
	;; [unrolled: 1-line block ×16, first 2 shown]
	s_wait_dscnt 0x0
	v_pk_fma_f16 v213, v4, v192, v107
	v_pk_fma_f16 v214, v4, v193, v109
	;; [unrolled: 1-line block ×3, first 2 shown]
	ds_load_2addr_b64 v[12:15], v96 offset1:32
	ds_load_b128 v[8:11], v86 offset:832
	ds_load_b128 v[16:19], v86 offset:848
	ds_load_2addr_b64 v[20:23], v96 offset0:64 offset1:96
	ds_load_2addr_b64 v[104:107], v96 offset0:128 offset1:160
	;; [unrolled: 1-line block ×3, first 2 shown]
	ds_load_2addr_b64 v[108:111], v102 offset1:32
	ds_load_2addr_b64 v[28:31], v102 offset0:64 offset1:96
	ds_load_2addr_b64 v[112:115], v102 offset0:128 offset1:160
	;; [unrolled: 1-line block ×3, first 2 shown]
	ds_load_2addr_b64 v[120:123], v97 offset1:32
	ds_load_b128 v[124:127], v86 offset:864
	ds_load_b128 v[128:131], v86 offset:880
	ds_load_2addr_b64 v[132:135], v97 offset0:64 offset1:96
	ds_load_2addr_b64 v[136:139], v97 offset0:128 offset1:160
	;; [unrolled: 1-line block ×3, first 2 shown]
	ds_load_2addr_b64 v[144:147], v103 offset1:32
	ds_load_2addr_b64 v[148:151], v103 offset0:64 offset1:96
	ds_load_2addr_b64 v[152:155], v103 offset0:128 offset1:160
	;; [unrolled: 1-line block ×3, first 2 shown]
	s_wait_dscnt 0x0
	s_barrier_signal -1
	s_barrier_wait -1
	s_clause 0x3
	global_load_b128 v[160:163], v[176:177], off
	global_load_b128 v[164:167], v[176:177], off offset:512
	global_load_b128 v[168:171], v[178:179], off
	global_load_b128 v[172:175], v[178:179], off offset:512
	v_pk_fma_f16 v38, v5, v192, v181
	s_wait_xcnt 0x2
	v_pk_fma_f16 v176, v5, v193, v182
	v_pk_fma_f16 v177, v5, v194, v183
	;; [unrolled: 1-line block ×3, first 2 shown]
	v_and_b32_e32 v183, 0xffff, v8
	v_lshrrev_b32_e32 v8, 16, v8
	v_and_b32_e32 v184, 0xffff, v9
	v_lshrrev_b32_e32 v9, 16, v9
	v_pk_fma_f16 v4, v4, v195, v180
	s_wait_xcnt 0x0
	v_pk_fma_f16 v178, v6, v192, v185
	v_pk_fma_f16 v179, v6, v193, v186
	;; [unrolled: 1-line block ×3, first 2 shown]
	v_mul_u32_u24_e32 v183, 0x10001, v183
	v_mul_u32_u24_e32 v8, 0x10001, v8
	;; [unrolled: 1-line block ×4, first 2 shown]
	v_pk_fma_f16 v6, v6, v195, v188
	v_pk_fma_f16 v182, v7, v193, v190
	;; [unrolled: 1-line block ×17, first 2 shown]
	v_and_b32_e32 v179, 0xffff, v10
	v_lshrrev_b32_e32 v10, 16, v10
	v_and_b32_e32 v180, 0xffff, v11
	v_lshrrev_b32_e32 v11, 16, v11
	v_pk_fma_f16 v181, v7, v192, v189
	v_pk_fma_f16 v185, v7, v194, v191
	v_pk_fma_f16 v7, v7, v195, v196
	v_pk_fma_f16 v189, v13, v183, v201
	v_pk_fma_f16 v190, v13, v8, v202
	v_pk_fma_f16 v191, v13, v184, v203
	v_pk_fma_f16 v13, v13, v9, v204
	v_pk_fma_f16 v192, v14, v183, v205
	v_pk_fma_f16 v193, v14, v8, v206
	v_pk_fma_f16 v194, v14, v184, v207
	v_pk_fma_f16 v14, v14, v9, v208
	v_pk_fma_f16 v195, v15, v183, v209
	v_pk_fma_f16 v196, v15, v8, v210
	v_pk_fma_f16 v197, v15, v184, v211
	v_pk_fma_f16 v15, v15, v9, v212
	v_pk_fma_f16 v6, v22, v9, v6
	v_pk_fma_f16 v8, v23, v8, v182
	v_mul_u32_u24_e32 v179, 0x10001, v179
	v_mul_u32_u24_e32 v10, 0x10001, v10
	;; [unrolled: 1-line block ×4, first 2 shown]
	v_pk_fma_f16 v22, v23, v183, v181
	v_pk_fma_f16 v181, v23, v184, v185
	;; [unrolled: 1-line block ×32, first 2 shown]
	v_and_b32_e32 v10, 0xffff, v16
	v_lshrrev_b32_e32 v16, 16, v16
	v_and_b32_e32 v26, 0xffff, v17
	v_lshrrev_b32_e32 v17, 16, v17
	v_pk_fma_f16 v22, v27, v179, v22
	v_mul_u32_u24_e32 v10, 0x10001, v10
	v_mul_u32_u24_e32 v16, 0x10001, v16
	v_mul_u32_u24_e32 v26, 0x10001, v26
	v_mul_u32_u24_e32 v17, 0x10001, v17
	v_pk_fma_f16 v177, v27, v180, v181
	v_pk_fma_f16 v7, v27, v11, v7
	;; [unrolled: 1-line block ×26, first 2 shown]
	v_and_b32_e32 v16, 0xffff, v18
	v_lshrrev_b32_e32 v18, 16, v18
	v_and_b32_e32 v22, 0xffff, v19
	v_pk_fma_f16 v180, v28, v26, v190
	v_pk_fma_f16 v4, v28, v17, v4
	v_mul_u32_u24_e32 v16, 0x10001, v16
	v_mul_u32_u24_e32 v18, 0x10001, v18
	;; [unrolled: 1-line block ×3, first 2 shown]
	v_pk_fma_f16 v28, v29, v26, v38
	v_pk_fma_f16 v5, v29, v17, v5
	;; [unrolled: 1-line block ×4, first 2 shown]
	v_lshrrev_b32_e32 v19, 16, v19
	v_pk_fma_f16 v26, v31, v26, v177
	v_pk_fma_f16 v7, v31, v17, v7
	;; [unrolled: 1-line block ×19, first 2 shown]
	v_and_b32_e32 v16, 0xffff, v124
	v_lshrrev_b32_e32 v18, 16, v124
	v_and_b32_e32 v111, 0xffff, v125
	v_mul_u32_u24_e32 v19, 0x10001, v19
	v_pk_fma_f16 v30, v113, v22, v108
	v_pk_fma_f16 v104, v114, v22, v178
	;; [unrolled: 1-line block ×7, first 2 shown]
	v_mul_u32_u24_e32 v16, 0x10001, v16
	v_mul_u32_u24_e32 v18, 0x10001, v18
	;; [unrolled: 1-line block ×3, first 2 shown]
	v_pk_fma_f16 v12, v112, v19, v12
	v_pk_fma_f16 v13, v113, v19, v13
	;; [unrolled: 1-line block ×7, first 2 shown]
	v_lshrrev_b32_e32 v112, 16, v125
	v_pk_fma_f16 v7, v119, v19, v7
	v_pk_fma_f16 v11, v120, v18, v11
	;; [unrolled: 1-line block ×15, first 2 shown]
	v_lshrrev_b32_e32 v18, 16, v126
	v_mul_u32_u24_e32 v111, 0x10001, v112
	v_pk_fma_f16 v109, v132, v26, v110
	v_and_b32_e32 v110, 0xffff, v127
	v_lshrrev_b32_e32 v112, 16, v127
	v_mul_u32_u24_e32 v18, 0x10001, v18
	v_pk_fma_f16 v9, v120, v16, v9
	v_pk_fma_f16 v17, v120, v26, v17
	;; [unrolled: 1-line block ×15, first 2 shown]
	v_and_b32_e32 v16, 0xffff, v126
	v_pk_fma_f16 v22, v135, v26, v22
	v_mul_u32_u24_e32 v26, 0x10001, v110
	v_pk_fma_f16 v7, v135, v111, v7
	v_pk_fma_f16 v11, v136, v18, v11
	;; [unrolled: 1-line block ×9, first 2 shown]
	v_lshrrev_b32_e32 v18, 16, v128
	v_mul_u32_u24_e32 v110, 0x10001, v112
	v_and_b32_e32 v111, 0xffff, v129
	v_lshrrev_b32_e32 v112, 16, v129
	v_mul_u32_u24_e32 v16, 0x10001, v16
	v_pk_fma_f16 v17, v136, v26, v17
	v_pk_fma_f16 v27, v137, v26, v27
	;; [unrolled: 1-line block ×11, first 2 shown]
	v_mul_u32_u24_e32 v26, 0x10001, v111
	v_mul_u32_u24_e32 v111, 0x10001, v112
	v_pk_fma_f16 v9, v136, v16, v9
	v_pk_fma_f16 v12, v136, v110, v12
	;; [unrolled: 1-line block ×12, first 2 shown]
	v_and_b32_e32 v16, 0xffff, v128
	v_pk_fma_f16 v7, v143, v110, v7
	v_pk_fma_f16 v110, v148, v111, v4
	;; [unrolled: 1-line block ×4, first 2 shown]
	v_and_b32_e32 v4, 0xffff, v130
	v_lshrrev_b32_e32 v5, 16, v130
	v_and_b32_e32 v6, 0xffff, v131
	v_mul_u32_u24_e32 v16, 0x10001, v16
	v_mul_u32_u24_e32 v18, 0x10001, v18
	v_pk_fma_f16 v17, v144, v26, v17
	v_pk_fma_f16 v12, v144, v111, v12
	;; [unrolled: 1-line block ×12, first 2 shown]
	v_mul_u32_u24_e32 v26, 0x10001, v4
	v_mul_u32_u24_e32 v114, 0x10001, v5
	;; [unrolled: 1-line block ×3, first 2 shown]
	v_pk_fma_f16 v111, v151, v111, v7
	s_wait_loadcnt 0x3
	ds_store_b128 v87, v[160:163]
	s_wait_loadcnt 0x2
	ds_store_b128 v88, v[164:167]
	;; [unrolled: 2-line block ×4, first 2 shown]
	s_wait_dscnt 0x0
	s_barrier_signal -1
	s_barrier_wait -1
	ds_load_b128 v[4:7], v86 offset:896
	v_pk_fma_f16 v9, v144, v16, v9
	v_pk_fma_f16 v11, v144, v18, v11
	;; [unrolled: 1-line block ×16, first 2 shown]
	v_lshrrev_b32_e32 v8, 16, v131
	v_pk_fma_f16 v117, v152, v26, v9
	v_pk_fma_f16 v118, v152, v114, v11
	;; [unrolled: 1-line block ×4, first 2 shown]
	v_mul_u32_u24_e32 v116, 0x10001, v8
	v_pk_fma_f16 v122, v153, v114, v23
	v_pk_fma_f16 v31, v154, v114, v31
	;; [unrolled: 1-line block ×5, first 2 shown]
	ds_load_2addr_b64 v[8:11], v101 offset1:32
	v_pk_fma_f16 v130, v158, v114, v25
	v_pk_fma_f16 v131, v159, v26, v16
	;; [unrolled: 1-line block ×3, first 2 shown]
	ds_load_2addr_b64 v[16:19], v101 offset0:64 offset1:96
	v_pk_fma_f16 v120, v152, v116, v12
	v_pk_fma_f16 v124, v153, v116, v13
	;; [unrolled: 1-line block ×6, first 2 shown]
	ds_load_b128 v[12:15], v86 offset:912
	s_wait_dscnt 0x3
	v_and_b32_e32 v20, 0xffff, v4
	v_lshrrev_b32_e32 v4, 16, v4
	v_and_b32_e32 v21, 0xffff, v5
	v_lshrrev_b32_e32 v5, 16, v5
	v_pk_fma_f16 v123, v153, v115, v27
	v_pk_fma_f16 v30, v154, v26, v30
	;; [unrolled: 1-line block ×13, first 2 shown]
	v_mul_u32_u24_e32 v116, 0x10001, v20
	v_mul_u32_u24_e32 v4, 0x10001, v4
	;; [unrolled: 1-line block ×4, first 2 shown]
	v_pk_fma_f16 v115, v159, v115, v22
	ds_load_b128 v[20:23], v86 offset:928
	ds_load_b128 v[24:27], v86 offset:944
	s_wait_dscnt 0x4
	v_pk_fma_f16 v117, v8, v116, v117
	v_pk_fma_f16 v118, v8, v4, v118
	;; [unrolled: 1-line block ×16, first 2 shown]
	s_wait_dscnt 0x3
	v_pk_fma_f16 v107, v16, v116, v107
	v_pk_fma_f16 v108, v16, v4, v108
	;; [unrolled: 1-line block ×6, first 2 shown]
	ds_load_2addr_b64 v[8:11], v101 offset0:128 offset1:160
	v_pk_fma_f16 v28, v17, v132, v28
	v_pk_fma_f16 v17, v17, v133, v112
	;; [unrolled: 1-line block ×8, first 2 shown]
	v_and_b32_e32 v116, 0xffff, v6
	v_lshrrev_b32_e32 v129, 16, v6
	v_and_b32_e32 v130, 0xffff, v7
	v_lshrrev_b32_e32 v131, 16, v7
	ds_load_2addr_b64 v[4:7], v101 offset0:192 offset1:224
	v_mul_u32_u24_e32 v101, 0x10001, v116
	v_mul_u32_u24_e32 v116, 0x10001, v129
	;; [unrolled: 1-line block ×4, first 2 shown]
	v_pk_fma_f16 v115, v19, v132, v115
	v_pk_fma_f16 v111, v19, v133, v111
	s_wait_dscnt 0x1
	v_pk_fma_f16 v117, v8, v101, v117
	v_pk_fma_f16 v118, v8, v116, v118
	;; [unrolled: 1-line block ×16, first 2 shown]
	s_wait_dscnt 0x0
	v_pk_fma_f16 v107, v4, v101, v107
	v_pk_fma_f16 v108, v4, v116, v108
	;; [unrolled: 1-line block ×4, first 2 shown]
	ds_load_2addr_b64 v[8:11], v98 offset1:32
	v_pk_fma_f16 v131, v5, v130, v17
	v_pk_fma_f16 v132, v6, v130, v18
	ds_load_2addr_b64 v[16:19], v98 offset0:64 offset1:96
	v_pk_fma_f16 v110, v5, v101, v110
	v_pk_fma_f16 v127, v5, v116, v127
	;; [unrolled: 1-line block ×6, first 2 shown]
	v_and_b32_e32 v5, 0xffff, v12
	v_lshrrev_b32_e32 v6, 16, v12
	v_and_b32_e32 v12, 0xffff, v13
	v_pk_fma_f16 v101, v7, v101, v113
	v_pk_fma_f16 v113, v7, v116, v114
	;; [unrolled: 1-line block ×3, first 2 shown]
	v_lshrrev_b32_e32 v13, 16, v13
	v_mul_u32_u24_e32 v12, 0x10001, v12
	v_mul_u32_u24_e32 v115, 0x10001, v5
	;; [unrolled: 1-line block ×3, first 2 shown]
	v_pk_fma_f16 v111, v7, v130, v111
	s_wait_dscnt 0x1
	v_pk_fma_f16 v119, v8, v12, v119
	v_pk_fma_f16 v123, v9, v12, v123
	;; [unrolled: 1-line block ×4, first 2 shown]
	s_wait_dscnt 0x0
	v_pk_fma_f16 v109, v16, v12, v109
	v_pk_fma_f16 v28, v17, v12, v28
	;; [unrolled: 1-line block ×4, first 2 shown]
	v_and_b32_e32 v114, 0xffff, v14
	v_lshrrev_b32_e32 v14, 16, v14
	v_mul_u32_u24_e32 v13, 0x10001, v13
	v_pk_fma_f16 v117, v8, v115, v117
	v_pk_fma_f16 v118, v8, v116, v118
	;; [unrolled: 1-line block ×15, first 2 shown]
	ds_load_2addr_b64 v[4:7], v98 offset0:128 offset1:160
	ds_load_2addr_b64 v[8:11], v98 offset0:192 offset1:224
	v_pk_fma_f16 v110, v17, v115, v110
	v_pk_fma_f16 v112, v18, v115, v112
	;; [unrolled: 1-line block ×3, first 2 shown]
	v_and_b32_e32 v115, 0xffff, v15
	v_lshrrev_b32_e32 v15, 16, v15
	v_pk_fma_f16 v127, v17, v116, v127
	v_pk_fma_f16 v17, v17, v13, v131
	;; [unrolled: 1-line block ×5, first 2 shown]
	v_mul_u32_u24_e32 v98, 0x10001, v114
	v_mul_u32_u24_e32 v14, 0x10001, v14
	;; [unrolled: 1-line block ×4, first 2 shown]
	v_pk_fma_f16 v19, v19, v13, v111
	s_wait_dscnt 0x1
	v_pk_fma_f16 v111, v4, v98, v117
	v_pk_fma_f16 v116, v4, v14, v118
	;; [unrolled: 1-line block ×16, first 2 shown]
	s_wait_dscnt 0x0
	v_pk_fma_f16 v107, v8, v98, v107
	v_pk_fma_f16 v108, v8, v14, v108
	;; [unrolled: 1-line block ×6, first 2 shown]
	ds_load_2addr_b64 v[4:7], v99 offset1:32
	v_pk_fma_f16 v28, v9, v114, v28
	v_pk_fma_f16 v9, v9, v115, v17
	;; [unrolled: 1-line block ×9, first 2 shown]
	ds_load_2addr_b64 v[12:15], v99 offset0:64 offset1:96
	v_and_b32_e32 v113, 0xffff, v20
	v_lshrrev_b32_e32 v20, 16, v20
	v_and_b32_e32 v114, 0xffff, v21
	v_lshrrev_b32_e32 v21, 16, v21
	v_pk_fma_f16 v19, v11, v115, v19
	v_mul_u32_u24_e32 v113, 0x10001, v113
	v_mul_u32_u24_e32 v20, 0x10001, v20
	;; [unrolled: 1-line block ×4, first 2 shown]
	s_wait_dscnt 0x1
	v_pk_fma_f16 v111, v4, v113, v111
	v_pk_fma_f16 v115, v4, v20, v116
	;; [unrolled: 1-line block ×16, first 2 shown]
	s_wait_dscnt 0x0
	v_pk_fma_f16 v107, v12, v113, v107
	v_pk_fma_f16 v108, v12, v20, v108
	;; [unrolled: 1-line block ×6, first 2 shown]
	ds_load_2addr_b64 v[4:7], v99 offset0:128 offset1:160
	v_pk_fma_f16 v28, v13, v114, v28
	v_pk_fma_f16 v13, v13, v21, v9
	;; [unrolled: 1-line block ×6, first 2 shown]
	ds_load_2addr_b64 v[8:11], v99 offset0:192 offset1:224
	v_pk_fma_f16 v18, v15, v113, v18
	v_pk_fma_f16 v20, v15, v20, v98
	;; [unrolled: 1-line block ×3, first 2 shown]
	v_and_b32_e32 v101, 0xffff, v22
	v_lshrrev_b32_e32 v22, 16, v22
	v_and_b32_e32 v113, 0xffff, v23
	v_lshrrev_b32_e32 v23, 16, v23
	v_pk_fma_f16 v19, v15, v21, v19
	v_mul_u32_u24_e32 v99, 0x10001, v101
	v_mul_u32_u24_e32 v22, 0x10001, v22
	;; [unrolled: 1-line block ×3, first 2 shown]
	s_wait_dscnt 0x1
	s_delay_alu instid0(VALU_DEP_3) | instskip(NEXT) | instid1(VALU_DEP_3)
	v_pk_fma_f16 v21, v4, v99, v111
	v_pk_fma_f16 v111, v4, v22, v115
	s_delay_alu instid0(VALU_DEP_3)
	v_pk_fma_f16 v113, v4, v101, v116
	v_pk_fma_f16 v116, v5, v22, v119
	;; [unrolled: 1-line block ×4, first 2 shown]
	s_wait_dscnt 0x0
	v_pk_fma_f16 v108, v8, v22, v108
	v_pk_fma_f16 v110, v9, v22, v110
	;; [unrolled: 1-line block ×5, first 2 shown]
	v_and_b32_e32 v98, 0xffff, v24
	v_lshrrev_b32_e32 v24, 16, v24
	v_mul_u32_u24_e32 v23, 0x10001, v23
	v_pk_fma_f16 v115, v5, v99, v118
	v_pk_fma_f16 v30, v6, v99, v30
	v_pk_fma_f16 v38, v6, v101, v38
	v_pk_fma_f16 v104, v7, v99, v104
	v_pk_fma_f16 v114, v4, v23, v117
	v_pk_fma_f16 v117, v5, v101, v120
	v_pk_fma_f16 v118, v5, v23, v121
	v_pk_fma_f16 v119, v6, v23, v122
	v_pk_fma_f16 v106, v7, v101, v106
	v_pk_fma_f16 v120, v7, v23, v123
	v_pk_fma_f16 v107, v8, v99, v107
	v_pk_fma_f16 v109, v8, v101, v109
	v_pk_fma_f16 v8, v8, v23, v12
	v_pk_fma_f16 v16, v9, v99, v16
	ds_load_2addr_b64 v[4:7], v100 offset1:32
	v_pk_fma_f16 v28, v9, v101, v28
	v_pk_fma_f16 v9, v9, v23, v13
	;; [unrolled: 1-line block ×5, first 2 shown]
	ds_load_2addr_b64 v[12:15], v100 offset0:64 offset1:96
	v_pk_fma_f16 v18, v11, v99, v18
	v_and_b32_e32 v99, 0xffff, v25
	v_lshrrev_b32_e32 v25, 16, v25
	v_mul_u32_u24_e32 v98, 0x10001, v98
	v_mul_u32_u24_e32 v24, 0x10001, v24
	v_pk_fma_f16 v19, v11, v23, v19
	v_mul_u32_u24_e32 v99, 0x10001, v99
	v_mul_u32_u24_e32 v25, 0x10001, v25
	s_wait_dscnt 0x1
	v_pk_fma_f16 v21, v4, v98, v21
	v_pk_fma_f16 v23, v4, v24, v111
	;; [unrolled: 1-line block ×16, first 2 shown]
	s_wait_dscnt 0x0
	v_pk_fma_f16 v119, v12, v25, v8
	ds_load_2addr_b64 v[4:7], v100 offset0:128 offset1:160
	v_pk_fma_f16 v120, v13, v25, v9
	v_pk_fma_f16 v121, v14, v25, v10
	ds_load_2addr_b64 v[8:11], v100 offset0:192 offset1:224
	v_pk_fma_f16 v107, v12, v98, v107
	v_pk_fma_f16 v108, v12, v24, v108
	;; [unrolled: 1-line block ×9, first 2 shown]
	v_and_b32_e32 v12, 0xffff, v26
	v_lshrrev_b32_e32 v13, 16, v26
	v_and_b32_e32 v14, 0xffff, v27
	v_pk_fma_f16 v18, v15, v98, v18
	v_pk_fma_f16 v20, v15, v24, v20
	;; [unrolled: 1-line block ×3, first 2 shown]
	v_lshrrev_b32_e32 v24, 16, v27
	v_mul_u32_u24_e32 v26, 0x10001, v12
	v_mul_u32_u24_e32 v27, 0x10001, v13
	;; [unrolled: 1-line block ×3, first 2 shown]
	v_pk_fma_f16 v25, v15, v25, v19
	ds_load_b128 v[12:15], v86 offset:960
	v_mul_u32_u24_e32 v24, 0x10001, v24
	s_wait_dscnt 0x2
	v_pk_fma_f16 v99, v4, v26, v21
	v_pk_fma_f16 v100, v4, v27, v23
	;; [unrolled: 1-line block ×16, first 2 shown]
	s_wait_dscnt 0x1
	v_pk_fma_f16 v108, v8, v27, v108
	v_pk_fma_f16 v109, v8, v98, v109
	;; [unrolled: 1-line block ×4, first 2 shown]
	ds_load_2addr_b64 v[4:7], v96 offset1:32
	v_pk_fma_f16 v112, v10, v27, v112
	v_pk_fma_f16 v29, v10, v98, v29
	;; [unrolled: 1-line block ×4, first 2 shown]
	ds_load_2addr_b64 v[20:23], v96 offset0:64 offset1:96
	v_pk_fma_f16 v107, v8, v26, v107
	v_pk_fma_f16 v8, v8, v24, v119
	;; [unrolled: 1-line block ×7, first 2 shown]
	ds_load_b128 v[16:19], v86 offset:976
	s_wait_dscnt 0x3
	v_and_b32_e32 v121, 0xffff, v12
	v_lshrrev_b32_e32 v12, 16, v12
	v_and_b32_e32 v122, 0xffff, v13
	v_lshrrev_b32_e32 v13, 16, v13
	v_pk_fma_f16 v24, v11, v24, v25
	v_mul_u32_u24_e32 v121, 0x10001, v121
	v_mul_u32_u24_e32 v12, 0x10001, v12
	;; [unrolled: 1-line block ×4, first 2 shown]
	s_wait_dscnt 0x2
	v_pk_fma_f16 v25, v4, v121, v99
	v_pk_fma_f16 v99, v4, v12, v100
	;; [unrolled: 1-line block ×16, first 2 shown]
	s_wait_dscnt 0x1
	v_pk_fma_f16 v107, v20, v121, v107
	v_pk_fma_f16 v108, v20, v12, v108
	;; [unrolled: 1-line block ×6, first 2 shown]
	ds_load_2addr_b64 v[4:7], v96 offset0:128 offset1:160
	v_pk_fma_f16 v28, v21, v122, v28
	v_pk_fma_f16 v21, v21, v13, v9
	;; [unrolled: 1-line block ×6, first 2 shown]
	ds_load_2addr_b64 v[8:11], v96 offset0:192 offset1:224
	v_pk_fma_f16 v12, v23, v12, v27
	v_pk_fma_f16 v27, v23, v122, v98
	v_and_b32_e32 v98, 0xffff, v14
	v_lshrrev_b32_e32 v14, 16, v14
	v_and_b32_e32 v120, 0xffff, v15
	v_lshrrev_b32_e32 v15, 16, v15
	v_pk_fma_f16 v26, v23, v121, v26
	v_mul_u32_u24_e32 v96, 0x10001, v98
	v_mul_u32_u24_e32 v14, 0x10001, v14
	;; [unrolled: 1-line block ×4, first 2 shown]
	v_pk_fma_f16 v23, v23, v13, v24
	s_wait_dscnt 0x1
	v_pk_fma_f16 v24, v4, v96, v25
	v_pk_fma_f16 v25, v4, v14, v99
	;; [unrolled: 1-line block ×16, first 2 shown]
	s_wait_dscnt 0x0
	v_pk_fma_f16 v107, v8, v96, v107
	v_pk_fma_f16 v108, v8, v14, v108
	;; [unrolled: 1-line block ×6, first 2 shown]
	ds_load_2addr_b64 v[4:7], v102 offset1:32
	v_pk_fma_f16 v28, v9, v98, v28
	v_pk_fma_f16 v9, v9, v120, v21
	;; [unrolled: 1-line block ×8, first 2 shown]
	ds_load_2addr_b64 v[12:15], v102 offset0:64 offset1:96
	v_pk_fma_f16 v27, v11, v98, v27
	v_and_b32_e32 v96, 0xffff, v16
	v_lshrrev_b32_e32 v16, 16, v16
	v_and_b32_e32 v98, 0xffff, v17
	v_lshrrev_b32_e32 v17, 16, v17
	v_pk_fma_f16 v23, v11, v120, v23
	v_mul_u32_u24_e32 v96, 0x10001, v96
	v_mul_u32_u24_e32 v16, 0x10001, v16
	;; [unrolled: 1-line block ×4, first 2 shown]
	s_wait_dscnt 0x1
	v_pk_fma_f16 v24, v4, v96, v24
	v_pk_fma_f16 v25, v4, v16, v25
	;; [unrolled: 1-line block ×16, first 2 shown]
	s_wait_dscnt 0x0
	v_pk_fma_f16 v117, v12, v17, v8
	ds_load_2addr_b64 v[4:7], v102 offset0:128 offset1:160
	v_pk_fma_f16 v118, v13, v17, v9
	v_pk_fma_f16 v119, v14, v17, v10
	ds_load_2addr_b64 v[8:11], v102 offset0:192 offset1:224
	v_pk_fma_f16 v107, v12, v96, v107
	v_pk_fma_f16 v108, v12, v16, v108
	;; [unrolled: 1-line block ×9, first 2 shown]
	v_and_b32_e32 v12, 0xffff, v18
	v_lshrrev_b32_e32 v13, 16, v18
	v_and_b32_e32 v14, 0xffff, v19
	v_pk_fma_f16 v22, v15, v96, v22
	v_pk_fma_f16 v16, v15, v16, v26
	;; [unrolled: 1-line block ×3, first 2 shown]
	v_lshrrev_b32_e32 v18, 16, v19
	v_mul_u32_u24_e32 v19, 0x10001, v12
	v_mul_u32_u24_e32 v27, 0x10001, v13
	;; [unrolled: 1-line block ×3, first 2 shown]
	v_pk_fma_f16 v102, v15, v17, v23
	ds_load_b128 v[12:15], v86 offset:992
	v_mul_u32_u24_e32 v98, 0x10001, v18
	s_wait_dscnt 0x2
	v_pk_fma_f16 v24, v4, v19, v24
	v_pk_fma_f16 v25, v4, v27, v25
	;; [unrolled: 1-line block ×16, first 2 shown]
	s_wait_dscnt 0x1
	v_pk_fma_f16 v107, v8, v19, v107
	v_pk_fma_f16 v108, v8, v27, v108
	;; [unrolled: 1-line block ×7, first 2 shown]
	ds_load_2addr_b64 v[4:7], v97 offset1:32
	v_pk_fma_f16 v9, v9, v98, v118
	v_pk_fma_f16 v118, v10, v19, v21
	;; [unrolled: 1-line block ×6, first 2 shown]
	ds_load_2addr_b64 v[20:23], v97 offset0:64 offset1:96
	v_pk_fma_f16 v27, v11, v27, v16
	v_pk_fma_f16 v26, v11, v96, v26
	ds_load_b128 v[16:19], v86 offset:1008
	s_wait_dscnt 0x3
	v_and_b32_e32 v96, 0xffff, v12
	v_lshrrev_b32_e32 v12, 16, v12
	v_and_b32_e32 v120, 0xffff, v13
	v_lshrrev_b32_e32 v13, 16, v13
	v_pk_fma_f16 v98, v11, v98, v102
	v_mul_u32_u24_e32 v96, 0x10001, v96
	v_mul_u32_u24_e32 v12, 0x10001, v12
	;; [unrolled: 1-line block ×3, first 2 shown]
	s_wait_dscnt 0x2
	s_delay_alu instid0(VALU_DEP_3) | instskip(NEXT) | instid1(VALU_DEP_3)
	v_pk_fma_f16 v24, v4, v96, v24
	v_pk_fma_f16 v25, v4, v12, v25
	;; [unrolled: 1-line block ×6, first 2 shown]
	s_wait_dscnt 0x1
	v_pk_fma_f16 v108, v20, v12, v108
	v_pk_fma_f16 v110, v21, v12, v110
	;; [unrolled: 1-line block ×4, first 2 shown]
	v_and_b32_e32 v27, 0xffff, v14
	v_lshrrev_b32_e32 v14, 16, v14
	v_mul_u32_u24_e32 v13, 0x10001, v13
	v_pk_fma_f16 v101, v5, v96, v101
	v_pk_fma_f16 v111, v5, v120, v113
	;; [unrolled: 1-line block ×14, first 2 shown]
	ds_load_2addr_b64 v[4:7], v97 offset0:128 offset1:160
	v_pk_fma_f16 v28, v21, v120, v28
	v_pk_fma_f16 v21, v21, v13, v9
	;; [unrolled: 1-line block ×5, first 2 shown]
	ds_load_2addr_b64 v[8:11], v97 offset0:192 offset1:224
	v_and_b32_e32 v118, 0xffff, v15
	v_lshrrev_b32_e32 v15, 16, v15
	v_pk_fma_f16 v96, v23, v96, v119
	v_mul_u32_u24_e32 v27, 0x10001, v27
	v_mul_u32_u24_e32 v14, 0x10001, v14
	;; [unrolled: 1-line block ×4, first 2 shown]
	v_pk_fma_f16 v26, v23, v120, v26
	v_pk_fma_f16 v23, v23, v13, v98
	s_wait_dscnt 0x1
	v_pk_fma_f16 v24, v4, v27, v24
	v_pk_fma_f16 v25, v4, v14, v25
	;; [unrolled: 1-line block ×10, first 2 shown]
	s_wait_dscnt 0x0
	v_pk_fma_f16 v107, v8, v27, v107
	v_pk_fma_f16 v108, v8, v14, v108
	;; [unrolled: 1-line block ×14, first 2 shown]
	ds_load_2addr_b64 v[12:15], v103 offset0:64 offset1:96
	v_pk_fma_f16 v102, v5, v97, v111
	v_pk_fma_f16 v111, v5, v118, v113
	;; [unrolled: 1-line block ×6, first 2 shown]
	ds_load_2addr_b64 v[4:7], v103 offset1:32
	v_pk_fma_f16 v26, v11, v97, v26
	v_and_b32_e32 v97, 0xffff, v17
	v_and_b32_e32 v96, 0xffff, v16
	v_dual_lshrrev_b32 v16, 16, v16 :: v_dual_lshrrev_b32 v17, 16, v17
	v_pk_fma_f16 v23, v11, v118, v23
	s_delay_alu instid0(VALU_DEP_4) | instskip(NEXT) | instid1(VALU_DEP_4)
	v_mul_u32_u24_e32 v97, 0x10001, v97
	v_mul_u32_u24_e32 v96, 0x10001, v96
	s_delay_alu instid0(VALU_DEP_4) | instskip(SKIP_1) | instid1(VALU_DEP_3)
	v_mul_u32_u24_e32 v16, 0x10001, v16
	s_wait_dscnt 0x1
	v_pk_fma_f16 v127, v15, v97, v26
	v_and_b32_e32 v26, 0xffff, v18
	v_lshrrev_b32_e32 v18, 16, v18
	v_mul_u32_u24_e32 v17, 0x10001, v17
	v_pk_fma_f16 v108, v12, v16, v108
	v_pk_fma_f16 v123, v13, v16, v110
	;; [unrolled: 1-line block ×3, first 2 shown]
	s_wait_dscnt 0x0
	v_pk_fma_f16 v24, v4, v96, v24
	v_pk_fma_f16 v25, v4, v16, v25
	;; [unrolled: 1-line block ×16, first 2 shown]
	ds_load_2addr_b64 v[4:7], v103 offset0:128 offset1:160
	v_pk_fma_f16 v16, v15, v16, v27
	v_and_b32_e32 v27, 0xffff, v19
	v_lshrrev_b32_e32 v19, 16, v19
	v_pk_fma_f16 v107, v12, v96, v107
	v_pk_fma_f16 v122, v12, v97, v109
	;; [unrolled: 1-line block ×9, first 2 shown]
	ds_load_2addr_b64 v[8:11], v103 offset0:192 offset1:224
	s_wait_dscnt 0x0
	s_barrier_signal -1
	s_barrier_wait -1
	s_load_b32 s5, s[24:25], 0x4
	v_mul_u32_u24_e32 v128, 0x10001, v26
	v_mul_u32_u24_e32 v18, 0x10001, v18
	;; [unrolled: 1-line block ×4, first 2 shown]
	v_pk_fma_f16 v22, v15, v96, v22
	v_pk_fma_f16 v106, v4, v128, v24
	;; [unrolled: 1-line block ×17, first 2 shown]
	v_pk_add_f32 v[4:5], v[64:65], v[66:67]
	v_pk_add_f32 v[6:7], v[58:59], v[62:63]
	v_pk_fma_f16 v15, v15, v17, v23
	s_wait_kmcnt 0x0
	s_lshl_b32 s5, s5, 7
	v_pk_fma_f16 v112, v8, v128, v107
	v_pk_add_f32 v[4:5], v[72:73], v[4:5]
	v_pk_add_f32 v[6:7], v[60:61], v[6:7]
	v_pk_fma_f16 v107, v8, v18, v108
	v_pk_fma_f16 v97, v8, v129, v122
	;; [unrolled: 1-line block ×3, first 2 shown]
	v_pk_add_f32 v[4:5], v[70:71], v[4:5]
	v_pk_add_f32 v[6:7], v[56:57], v[6:7]
	v_pk_fma_f16 v116, v9, v128, v20
	v_pk_fma_f16 v108, v9, v18, v123
	;; [unrolled: 1-line block ×12, first 2 shown]
	v_pk_fma_f32 v[34:35], v[34:35], v[68:69], v[4:5]
	v_pk_fma_f32 v[36:37], v[36:37], v[54:55], v[6:7]
	s_add_co_i32 s4, s5, s4
	s_delay_alu instid0(SALU_CYCLE_1)
	s_cmp_ge_i32 s4, s28
	s_cbranch_scc1 .LBB23_87
; %bb.86:                               ;   in Loop: Header=BB23_17 Depth=1
	v_dual_mov_b32 v54, v0 :: v_dual_mov_b32 v55, v1
	v_dual_mov_b32 v66, v2 :: v_dual_mov_b32 v65, v3
	s_branch .LBB23_17
.LBB23_87:
	v_mov_b32_e32 v4, v79
.LBB23_88:
	v_cmp_lt_i32_e32 vcc_lo, v95, v78
	s_cmp_lg_u64 s[12:13], 0
	s_cselect_b32 s3, -1, 0
	s_cmp_eq_u32 s29, 0
	v_cndmask_b32_e32 v5, v4, v95, vcc_lo
	v_cmp_lt_i32_e32 vcc_lo, v94, v78
	s_cselect_b32 s4, -1, 0
	s_delay_alu instid0(SALU_CYCLE_1) | instskip(NEXT) | instid1(VALU_DEP_2)
	s_and_b32 s3, s4, s3
	v_lshlrev_b32_e32 v5, 2, v5
	ds_bpermute_b32 v6, v5, v36
	ds_bpermute_b32 v7, v5, v37
	;; [unrolled: 1-line block ×4, first 2 shown]
	v_cndmask_b32_e32 v5, v4, v94, vcc_lo
	v_cmp_lt_i32_e32 vcc_lo, v93, v78
	s_delay_alu instid0(VALU_DEP_2)
	v_lshlrev_b32_e32 v5, 2, v5
	s_wait_dscnt 0x2
	v_pk_add_f32 v[6:7], v[36:37], v[6:7]
	s_wait_dscnt 0x0
	v_pk_add_f32 v[8:9], v[34:35], v[8:9]
	ds_bpermute_b32 v10, v5, v6
	ds_bpermute_b32 v11, v5, v7
	;; [unrolled: 1-line block ×4, first 2 shown]
	v_cndmask_b32_e32 v5, v4, v93, vcc_lo
	v_cmp_lt_i32_e32 vcc_lo, v92, v78
	s_delay_alu instid0(VALU_DEP_2)
	v_lshlrev_b32_e32 v5, 2, v5
	s_wait_dscnt 0x2
	v_pk_add_f32 v[6:7], v[6:7], v[10:11]
	s_wait_dscnt 0x0
	v_pk_add_f32 v[8:9], v[8:9], v[12:13]
	ds_bpermute_b32 v10, v5, v6
	ds_bpermute_b32 v11, v5, v7
	;; [unrolled: 1-line block ×4, first 2 shown]
	v_cndmask_b32_e32 v5, v4, v92, vcc_lo
	v_cmp_lt_i32_e32 vcc_lo, v91, v78
	s_delay_alu instid0(VALU_DEP_2) | instskip(SKIP_1) | instid1(VALU_DEP_1)
	v_dual_cndmask_b32 v4, v4, v91 :: v_dual_lshlrev_b32 v5, 2, v5
	s_and_b32 vcc_lo, exec_lo, s3
	v_lshlrev_b32_e32 v14, 2, v4
	s_wait_dscnt 0x2
	v_pk_add_f32 v[6:7], v[6:7], v[10:11]
	s_wait_dscnt 0x0
	v_pk_add_f32 v[8:9], v[8:9], v[12:13]
	ds_bpermute_b32 v10, v5, v6
	ds_bpermute_b32 v11, v5, v7
	;; [unrolled: 1-line block ×4, first 2 shown]
	s_wait_dscnt 0x2
	v_pk_add_f32 v[4:5], v[6:7], v[10:11]
	s_wait_dscnt 0x0
	v_pk_add_f32 v[8:9], v[8:9], v[12:13]
	ds_bpermute_b32 v6, v14, v4
	ds_bpermute_b32 v7, v14, v5
	;; [unrolled: 1-line block ×4, first 2 shown]
	s_wait_dscnt 0x2
	v_pk_add_f32 v[6:7], v[4:5], v[6:7]
	s_wait_dscnt 0x0
	v_pk_add_f32 v[4:5], v[8:9], v[10:11]
	v_add_nc_u32_e32 v8, s33, v32
	s_cbranch_vccz .LBB23_90
; %bb.89:
	s_delay_alu instid0(VALU_DEP_1) | instskip(SKIP_1) | instid1(VALU_DEP_2)
	v_dual_ashrrev_i32 v9, 31, v8 :: v_dual_max_num_f32 v15, v1, v1
	v_dual_max_num_f32 v16, v2, v2 :: v_dual_max_num_f32 v17, v3, v3
	v_lshl_add_u64 v[10:11], v[8:9], 2, s[12:13]
	v_max_num_f32_e32 v9, v0, v0
	global_load_b128 v[10:13], v[10:11], off
	s_wait_loadcnt 0x0
	v_dual_max_num_f32 v14, v10, v10 :: v_dual_max_num_f32 v18, v11, v11
	v_dual_max_num_f32 v19, v12, v12 :: v_dual_max_num_f32 v20, v13, v13
	s_delay_alu instid0(VALU_DEP_2) | instskip(NEXT) | instid1(VALU_DEP_2)
	v_max_num_f32_e32 v14, v9, v14
	v_dual_max_num_f32 v15, v15, v18 :: v_dual_max_num_f32 v16, v16, v19
	s_delay_alu instid0(VALU_DEP_2) | instskip(NEXT) | instid1(VALU_DEP_2)
	v_dual_max_num_f32 v17, v17, v20 :: v_dual_sub_f32 v0, v0, v14
	v_dual_sub_f32 v9, v10, v14 :: v_dual_sub_f32 v1, v1, v15
	s_delay_alu instid0(VALU_DEP_3) | instskip(NEXT) | instid1(VALU_DEP_3)
	v_dual_sub_f32 v10, v11, v15 :: v_dual_sub_f32 v11, v2, v16
	v_dual_sub_f32 v13, v13, v17 :: v_dual_mul_f32 v2, 0x3fb8aa3b, v0
	v_dual_sub_f32 v12, v12, v16 :: v_dual_sub_f32 v18, v3, v17
	s_delay_alu instid0(VALU_DEP_3) | instskip(NEXT) | instid1(VALU_DEP_2)
	v_dual_mul_f32 v3, 0x3fb8aa3b, v9 :: v_dual_mul_f32 v20, 0x3fb8aa3b, v10
	v_dual_mul_f32 v19, 0x3fb8aa3b, v1 :: v_dual_mul_f32 v22, 0x3fb8aa3b, v12
	s_delay_alu instid0(VALU_DEP_4)
	v_fma_f32 v34, 0x3fb8aa3b, v0, -v2
	v_rndne_f32_e32 v35, v2
	v_dual_mul_f32 v21, 0x3fb8aa3b, v11 :: v_dual_mul_f32 v32, 0x3fb8aa3b, v13
	v_mul_f32_e32 v23, 0x3fb8aa3b, v18
	v_fma_f32 v36, 0x3fb8aa3b, v9, -v3
	v_rndne_f32_e32 v37, v3
	v_fma_f32 v38, 0x3fb8aa3b, v1, -v19
	v_rndne_f32_e32 v39, v19
	v_rndne_f32_e32 v41, v20
	s_delay_alu instid0(VALU_DEP_4)
	v_dual_fmac_f32 v34, 0x32a5705f, v0 :: v_dual_sub_f32 v3, v3, v37
	v_sub_f32_e32 v2, v2, v35
	v_fma_f32 v40, 0x3fb8aa3b, v10, -v20
	v_fma_f32 v42, 0x3fb8aa3b, v11, -v21
	v_rndne_f32_e32 v43, v21
	v_fma_f32 v44, 0x3fb8aa3b, v12, -v22
	v_dual_fmac_f32 v36, 0x32a5705f, v9 :: v_dual_sub_f32 v19, v19, v39
	s_delay_alu instid0(VALU_DEP_3) | instskip(SKIP_1) | instid1(VALU_DEP_3)
	v_dual_fmac_f32 v38, 0x32a5705f, v1 :: v_dual_sub_f32 v21, v21, v43
	v_dual_sub_f32 v20, v20, v41 :: v_dual_add_f32 v2, v2, v34
	v_dual_fmac_f32 v42, 0x32a5705f, v11 :: v_dual_add_f32 v3, v3, v36
	s_delay_alu instid0(VALU_DEP_3) | instskip(NEXT) | instid1(VALU_DEP_3)
	v_dual_fmac_f32 v44, 0x32a5705f, v12 :: v_dual_add_f32 v19, v19, v38
	v_exp_f32_e32 v2, v2
	v_cvt_i32_f32_e32 v35, v35
	v_rndne_f32_e32 v45, v22
	v_rndne_f32_e32 v47, v23
	v_fmac_f32_e32 v40, 0x32a5705f, v10
	v_exp_f32_e32 v3, v3
	v_exp_f32_e32 v19, v19
	v_cvt_i32_f32_e32 v37, v37
	v_cvt_i32_f32_e32 v39, v39
	v_ldexp_f32 v2, v2, v35
	v_cmp_ngt_f32_e32 vcc_lo, 0xc2ce8ed0, v0
	v_fma_f32 v46, 0x3fb8aa3b, v18, -v23
	v_fma_f32 v48, 0x3fb8aa3b, v13, -v32
	v_dual_sub_f32 v23, v23, v47 :: v_dual_sub_f32 v22, v22, v45
	v_add_f32_e32 v20, v20, v40
	v_ldexp_f32 v3, v3, v37
	v_ldexp_f32 v19, v19, v39
	v_cndmask_b32_e32 v2, 0, v2, vcc_lo
	v_cmp_ngt_f32_e32 vcc_lo, 0xc2ce8ed0, v9
	v_rndne_f32_e32 v49, v32
	v_dual_fmac_f32 v48, 0x32a5705f, v13 :: v_dual_add_f32 v21, v21, v42
	v_exp_f32_e32 v20, v20
	v_cvt_i32_f32_e32 v41, v41
	v_dual_fmac_f32 v46, 0x32a5705f, v18 :: v_dual_cndmask_b32 v3, 0, v3
	v_cmp_ngt_f32_e32 vcc_lo, 0xc2ce8ed0, v1
	v_dual_sub_f32 v32, v32, v49 :: v_dual_add_f32 v22, v22, v44
	v_exp_f32_e32 v21, v21
	v_cvt_i32_f32_e32 v43, v43
	v_ldexp_f32 v20, v20, v41
	v_cndmask_b32_e32 v19, 0, v19, vcc_lo
	v_cmp_ngt_f32_e32 vcc_lo, 0xc2ce8ed0, v10
	v_dual_add_f32 v23, v23, v46 :: v_dual_add_f32 v32, v32, v48
	v_exp_f32_e32 v22, v22
	v_cvt_i32_f32_e32 v45, v45
	v_ldexp_f32 v21, v21, v43
	v_cndmask_b32_e32 v20, 0, v20, vcc_lo
	v_cmp_ngt_f32_e32 vcc_lo, 0xc2ce8ed0, v11
	v_exp_f32_e32 v23, v23
	v_cvt_i32_f32_e32 v47, v47
	v_ldexp_f32 v22, v22, v45
	v_exp_f32_e32 v32, v32
	v_cndmask_b32_e32 v21, 0, v21, vcc_lo
	v_cmp_ngt_f32_e32 vcc_lo, 0xc2ce8ed0, v12
	v_cvt_i32_f32_e32 v49, v49
	v_ldexp_f32 v23, v23, v47
	v_cndmask_b32_e32 v22, 0, v22, vcc_lo
	v_cmp_ngt_f32_e32 vcc_lo, 0xc2ce8ed0, v18
	s_delay_alu instid0(VALU_DEP_4) | instskip(NEXT) | instid1(VALU_DEP_4)
	v_ldexp_f32 v32, v32, v49
	v_cndmask_b32_e32 v23, 0, v23, vcc_lo
	v_cmp_ngt_f32_e32 vcc_lo, 0xc2ce8ed0, v13
	s_delay_alu instid0(VALU_DEP_3) | instskip(SKIP_3) | instid1(VALU_DEP_2)
	v_cndmask_b32_e32 v32, 0, v32, vcc_lo
	v_cmp_nlt_f32_e32 vcc_lo, 0x42b17218, v0
	v_cndmask_b32_e32 v0, 0x7f800000, v2, vcc_lo
	v_cmp_nlt_f32_e32 vcc_lo, 0x42b17218, v9
	v_cvt_f16_f32_e32 v9, v0
	v_cndmask_b32_e32 v2, 0x7f800000, v3, vcc_lo
	v_cmp_nlt_f32_e32 vcc_lo, 0x42b17218, v1
	s_delay_alu instid0(VALU_DEP_3) | instskip(SKIP_4) | instid1(VALU_DEP_2)
	v_and_b32_e32 v9, 0xffff, v9
	v_cndmask_b32_e32 v1, 0x7f800000, v19, vcc_lo
	v_cmp_nlt_f32_e32 vcc_lo, 0x42b17218, v10
	v_cndmask_b32_e32 v3, 0x7f800000, v20, vcc_lo
	v_cmp_nlt_f32_e32 vcc_lo, 0x42b17218, v11
	v_pk_fma_f32 v[6:7], v[6:7], v[0:1], v[2:3]
	v_cndmask_b32_e32 v10, 0x7f800000, v21, vcc_lo
	v_cmp_nlt_f32_e32 vcc_lo, 0x42b17218, v12
	v_mul_u32_u24_e32 v3, 0x10001, v9
	s_delay_alu instid0(VALU_DEP_3)
	v_cvt_f16_f32_e32 v19, v10
	v_cndmask_b32_e32 v12, 0x7f800000, v22, vcc_lo
	v_cmp_nlt_f32_e32 vcc_lo, 0x42b17218, v18
	v_cvt_f16_f32_e32 v18, v1
	v_pk_mul_f16 v106, v106, v3
	v_and_b32_e32 v1, 0xffff, v19
	v_pk_mul_f16 v115, v115, v3
	v_cndmask_b32_e32 v11, 0x7f800000, v23, vcc_lo
	v_and_b32_e32 v0, 0xffff, v18
	v_cmp_nlt_f32_e32 vcc_lo, 0x42b17218, v13
	v_mul_u32_u24_e32 v1, 0x10001, v1
	v_pk_mul_f16 v114, v114, v3
	v_cvt_f16_f32_e32 v20, v11
	v_mul_u32_u24_e32 v0, 0x10001, v0
	v_cndmask_b32_e32 v13, 0x7f800000, v32, vcc_lo
	v_pk_mul_f16 v113, v113, v3
	v_pk_mul_f16 v112, v112, v3
	v_and_b32_e32 v2, 0xffff, v20
	v_pk_mul_f16 v116, v116, v3
	v_pk_mul_f16 v63, v63, v3
	;; [unrolled: 1-line block ×4, first 2 shown]
	v_mul_u32_u24_e32 v2, 0x10001, v2
	v_pk_mul_f16 v111, v111, v0
	v_pk_mul_f16 v109, v109, v0
	v_pk_mul_f16 v110, v110, v0
	v_pk_mul_f16 v107, v107, v0
	v_pk_mul_f16 v108, v108, v0
	v_pk_mul_f16 v64, v64, v0
	v_pk_mul_f16 v105, v105, v0
	v_pk_mul_f16 v96, v96, v1
	v_pk_mul_f16 v103, v103, v1
	v_pk_mul_f16 v101, v101, v1
	v_pk_mul_f16 v102, v102, v1
	v_pk_mul_f16 v97, v97, v1
	v_pk_mul_f16 v98, v98, v1
	v_pk_mul_f16 v99, v99, v1
	v_pk_mul_f16 v100, v100, v1
	v_pk_mul_f16 v30, v30, v2
	v_pk_mul_f16 v31, v31, v2
	v_pk_mul_f16 v28, v28, v2
	v_pk_mul_f16 v29, v29, v2
	v_pk_mul_f16 v24, v24, v2
	v_pk_mul_f16 v26, v26, v2
	v_pk_mul_f16 v27, v27, v2
	v_pk_mul_f16 v25, v25, v2
	v_mov_b64_e32 v[0:1], v[14:15]
	v_mov_b64_e32 v[2:3], v[16:17]
	v_pk_fma_f32 v[4:5], v[4:5], v[10:11], v[12:13]
.LBB23_90:
	s_mov_b32 s3, exec_lo
	v_cmpx_gt_i32_e64 s22, v74
	s_cbranch_execz .LBB23_107
; %bb.91:
	s_load_b32 s0, s[0:1], 0xd4
	v_mov_b32_e32 v10, 1.0
	s_wait_kmcnt 0x0
	s_cmp_lg_u32 s0, 1
	s_cselect_b32 s1, -1, 0
	s_cmp_eq_u32 s0, 1
	s_cselect_b32 s3, -1, 0
	s_and_b32 vcc_lo, exec_lo, s1
	s_cbranch_vccnz .LBB23_93
; %bb.92:
	v_div_scale_f32 v9, null, v6, v6, 1.0
	s_delay_alu instid0(VALU_DEP_1) | instskip(SKIP_1) | instid1(TRANS32_DEP_1)
	v_rcp_f32_e32 v10, v9
	v_nop
	v_fma_f32 v11, -v9, v10, 1.0
	s_delay_alu instid0(VALU_DEP_1) | instskip(SKIP_1) | instid1(VALU_DEP_1)
	v_fmac_f32_e32 v10, v11, v10
	v_div_scale_f32 v11, vcc_lo, 1.0, v6, 1.0
	v_mul_f32_e32 v12, v11, v10
	s_delay_alu instid0(VALU_DEP_1) | instskip(NEXT) | instid1(VALU_DEP_1)
	v_fma_f32 v13, -v9, v12, v11
	v_fmac_f32_e32 v12, v13, v10
	s_delay_alu instid0(VALU_DEP_1) | instskip(NEXT) | instid1(VALU_DEP_1)
	v_fma_f32 v9, -v9, v12, v11
	v_div_fmas_f32 v9, v9, v10, v12
	s_delay_alu instid0(VALU_DEP_1)
	v_div_fixup_f32 v10, v9, v6, 1.0
.LBB23_93:
	v_mad_u32 v9, s2, s22, v74
	v_dual_lshrrev_b32 v23, 16, v116 :: v_dual_lshrrev_b32 v32, 16, v63
	v_cmp_eq_u32_e32 vcc_lo, 0, v33
	v_dual_mov_b32 v33, 0 :: v_dual_lshrrev_b32 v11, 16, v106
	v_dual_lshrrev_b32 v15, 16, v115 :: v_dual_lshrrev_b32 v17, 16, v114
	v_dual_lshrrev_b32 v19, 16, v113 :: v_dual_lshrrev_b32 v21, 16, v112
	v_cvt_f32_f16_e32 v35, v32
	v_mad_u32 v8, v9, s23, v8
	v_dual_lshrrev_b32 v37, 16, v61 :: v_dual_mov_b32 v39, v33
	v_cvt_f32_f16_e32 v12, v106
	v_cvt_f32_f16_e32 v14, v115
	;; [unrolled: 1-line block ×8, first 2 shown]
	v_mad_u32 v9, s0, v8, s29
	v_cvt_f32_f16_e32 v20, v112
	v_cvt_f32_f16_e32 v22, v116
	;; [unrolled: 1-line block ×7, first 2 shown]
	v_pk_mul_f32 v[12:13], v[10:11], v[12:13] op_sel_hi:[0,1]
	v_pk_mul_f32 v[14:15], v[10:11], v[14:15] op_sel_hi:[0,1]
	;; [unrolled: 1-line block ×3, first 2 shown]
	v_lshl_add_u32 v32, v9, 9, v75
	v_mov_b32_e32 v41, v33
	v_pk_mul_f32 v[18:19], v[10:11], v[18:19] op_sel_hi:[0,1]
	v_pk_mul_f32 v[20:21], v[10:11], v[20:21] op_sel_hi:[0,1]
	;; [unrolled: 1-line block ×3, first 2 shown]
	v_add_nc_u32_e32 v38, 0x80, v32
	v_add_nc_u32_e32 v40, 0x100, v32
	v_lshl_add_u64 v[42:43], v[32:33], 2, s[16:17]
	v_add_nc_u32_e32 v32, 0x180, v32
	s_and_b32 s1, vcc_lo, s1
	v_lshl_add_u64 v[38:39], v[38:39], 2, s[16:17]
	v_lshl_add_u64 v[40:41], v[40:41], 2, s[16:17]
	s_delay_alu instid0(VALU_DEP_3)
	v_lshl_add_u64 v[44:45], v[32:33], 2, s[16:17]
	v_pk_mul_f32 v[32:33], v[10:11], v[34:35] op_sel_hi:[0,1]
	v_pk_mul_f32 v[34:35], v[10:11], v[36:37] op_sel_hi:[0,1]
	s_clause 0x3
	global_store_b128 v[42:43], v[12:15], off
	global_store_b128 v[38:39], v[16:19], off
	;; [unrolled: 1-line block ×4, first 2 shown]
	s_wait_xcnt 0x0
	s_and_saveexec_b32 s2, s1
	s_cbranch_execz .LBB23_95
; %bb.94:
	v_dual_mov_b32 v10, v0 :: v_dual_mov_b32 v11, v6
	global_store_b64 v9, v[10:11], s[18:19] scale_offset
.LBB23_95:
	s_wait_xcnt 0x0
	s_or_b32 exec_lo, exec_lo, s2
	v_cndmask_b32_e64 v8, 0, 1, s3
	v_mov_b32_e32 v0, 1.0
	s_and_not1_b32 vcc_lo, exec_lo, s3
	s_cbranch_vccnz .LBB23_97
; %bb.96:
	v_div_scale_f32 v0, null, v7, v7, 1.0
	s_delay_alu instid0(VALU_DEP_1) | instskip(SKIP_1) | instid1(TRANS32_DEP_1)
	v_rcp_f32_e32 v6, v0
	v_nop
	v_fma_f32 v10, -v0, v6, 1.0
	s_delay_alu instid0(VALU_DEP_1) | instskip(SKIP_1) | instid1(VALU_DEP_1)
	v_fmac_f32_e32 v6, v10, v6
	v_div_scale_f32 v10, vcc_lo, 1.0, v7, 1.0
	v_mul_f32_e32 v11, v10, v6
	s_delay_alu instid0(VALU_DEP_1) | instskip(NEXT) | instid1(VALU_DEP_1)
	v_fma_f32 v12, -v0, v11, v10
	v_fmac_f32_e32 v11, v12, v6
	s_delay_alu instid0(VALU_DEP_1) | instskip(NEXT) | instid1(VALU_DEP_1)
	v_fma_f32 v0, -v0, v11, v10
	v_div_fmas_f32 v0, v0, v6, v11
	s_delay_alu instid0(VALU_DEP_1)
	v_div_fixup_f32 v0, v0, v7, 1.0
.LBB23_97:
	v_dual_add_nc_u32 v9, s0, v9 :: v_dual_mov_b32 v23, 0
	v_dual_lshrrev_b32 v6, 16, v104 :: v_dual_lshrrev_b32 v13, 16, v111
	v_cvt_f32_f16_e32 v10, v104
	s_delay_alu instid0(VALU_DEP_3) | instskip(SKIP_1) | instid1(VALU_DEP_4)
	v_lshl_add_u32 v22, v9, 9, v75
	v_lshrrev_b32_e32 v16, 16, v110
	v_cvt_f32_f16_e32 v11, v6
	v_lshrrev_b32_e32 v6, 16, v109
	v_cvt_f32_f16_e32 v12, v111
	v_dual_mov_b32 v15, v23 :: v_dual_add_nc_u32 v14, 0x80, v22
	v_dual_mov_b32 v19, v23 :: v_dual_add_nc_u32 v18, 0x100, v22
	v_cvt_f32_f16_e32 v13, v13
	v_lshrrev_b32_e32 v20, 16, v108
	s_delay_alu instid0(VALU_DEP_4)
	v_lshl_add_u64 v[38:39], v[14:15], 2, s[16:17]
	v_cvt_f32_f16_e32 v15, v6
	v_lshrrev_b32_e32 v6, 16, v107
	v_lshl_add_u64 v[40:41], v[18:19], 2, s[16:17]
	v_lshrrev_b32_e32 v34, 16, v105
	v_cvt_f32_f16_e32 v14, v109
	v_cvt_f32_f16_e32 v17, v16
	;; [unrolled: 1-line block ×3, first 2 shown]
	v_lshrrev_b32_e32 v6, 16, v64
	v_cvt_f32_f16_e32 v16, v110
	v_cvt_f32_f16_e32 v18, v107
	;; [unrolled: 1-line block ×4, first 2 shown]
	v_lshl_add_u64 v[36:37], v[22:23], 2, s[16:17]
	v_add_nc_u32_e32 v22, 0x180, v22
	v_cvt_f32_f16_e32 v33, v6
	v_cvt_f32_f16_e32 v32, v64
	;; [unrolled: 1-line block ×4, first 2 shown]
	v_pk_mul_f32 v[10:11], v[0:1], v[10:11] op_sel_hi:[0,1]
	v_pk_mul_f32 v[12:13], v[0:1], v[12:13] op_sel_hi:[0,1]
	v_pk_mul_f32 v[14:15], v[0:1], v[14:15] op_sel_hi:[0,1]
	v_pk_mul_f32 v[16:17], v[0:1], v[16:17] op_sel_hi:[0,1]
	v_pk_mul_f32 v[18:19], v[0:1], v[18:19] op_sel_hi:[0,1]
	v_pk_mul_f32 v[20:21], v[0:1], v[20:21] op_sel_hi:[0,1]
	v_lshl_add_u64 v[22:23], v[22:23], 2, s[16:17]
	v_pk_mul_f32 v[32:33], v[0:1], v[32:33] op_sel_hi:[0,1]
	v_pk_mul_f32 v[34:35], v[0:1], v[34:35] op_sel_hi:[0,1]
	s_clause 0x3
	global_store_b128 v[36:37], v[10:13], off
	global_store_b128 v[38:39], v[14:17], off
	;; [unrolled: 1-line block ×4, first 2 shown]
	s_wait_xcnt 0x0
	s_and_saveexec_b32 s2, s1
	s_cbranch_execz .LBB23_99
; %bb.98:
	v_mov_b32_e32 v6, v1
	global_store_b64 v9, v[6:7], s[18:19] scale_offset
.LBB23_99:
	s_wait_xcnt 0x0
	s_or_b32 exec_lo, exec_lo, s2
	v_cmp_ne_u32_e32 vcc_lo, 1, v8
	v_mov_b32_e32 v0, 1.0
	s_cbranch_vccnz .LBB23_101
; %bb.100:
	v_div_scale_f32 v0, null, v4, v4, 1.0
	s_delay_alu instid0(VALU_DEP_1) | instskip(SKIP_1) | instid1(TRANS32_DEP_1)
	v_rcp_f32_e32 v1, v0
	v_nop
	v_fma_f32 v6, -v0, v1, 1.0
	s_delay_alu instid0(VALU_DEP_1) | instskip(SKIP_1) | instid1(VALU_DEP_1)
	v_fmac_f32_e32 v1, v6, v1
	v_div_scale_f32 v6, vcc_lo, 1.0, v4, 1.0
	v_mul_f32_e32 v7, v6, v1
	s_delay_alu instid0(VALU_DEP_1) | instskip(NEXT) | instid1(VALU_DEP_1)
	v_fma_f32 v10, -v0, v7, v6
	v_fmac_f32_e32 v7, v10, v1
	s_delay_alu instid0(VALU_DEP_1) | instskip(NEXT) | instid1(VALU_DEP_1)
	v_fma_f32 v0, -v0, v7, v6
	v_div_fmas_f32 v0, v0, v1, v7
	s_delay_alu instid0(VALU_DEP_1)
	v_div_fixup_f32 v0, v0, v4, 1.0
.LBB23_101:
	v_dual_add_nc_u32 v1, s0, v9 :: v_dual_mov_b32 v7, 0
	v_dual_lshrrev_b32 v9, 16, v96 :: v_dual_lshrrev_b32 v13, 16, v103
	v_cvt_f32_f16_e32 v10, v96
	s_delay_alu instid0(VALU_DEP_3) | instskip(SKIP_1) | instid1(VALU_DEP_4)
	v_lshl_add_u32 v6, v1, 9, v75
	v_lshrrev_b32_e32 v16, 16, v102
	v_cvt_f32_f16_e32 v11, v9
	v_lshrrev_b32_e32 v9, 16, v101
	v_cvt_f32_f16_e32 v12, v103
	v_dual_mov_b32 v15, v7 :: v_dual_add_nc_u32 v14, 0x80, v6
	v_dual_mov_b32 v19, v7 :: v_dual_add_nc_u32 v18, 0x100, v6
	v_cvt_f32_f16_e32 v13, v13
	v_lshrrev_b32_e32 v20, 16, v98
	s_delay_alu instid0(VALU_DEP_4)
	v_lshl_add_u64 v[36:37], v[14:15], 2, s[16:17]
	v_cvt_f32_f16_e32 v15, v9
	v_lshrrev_b32_e32 v9, 16, v97
	v_lshl_add_u64 v[38:39], v[18:19], 2, s[16:17]
	v_lshrrev_b32_e32 v34, 16, v100
	v_cvt_f32_f16_e32 v14, v101
	v_cvt_f32_f16_e32 v17, v16
	;; [unrolled: 1-line block ×3, first 2 shown]
	v_lshrrev_b32_e32 v9, 16, v99
	v_cvt_f32_f16_e32 v16, v102
	v_cvt_f32_f16_e32 v18, v97
	;; [unrolled: 1-line block ×4, first 2 shown]
	v_lshl_add_u64 v[22:23], v[6:7], 2, s[16:17]
	v_add_nc_u32_e32 v6, 0x180, v6
	v_cvt_f32_f16_e32 v33, v9
	v_cvt_f32_f16_e32 v32, v99
	;; [unrolled: 1-line block ×4, first 2 shown]
	v_pk_mul_f32 v[10:11], v[0:1], v[10:11] op_sel_hi:[0,1]
	v_pk_mul_f32 v[12:13], v[0:1], v[12:13] op_sel_hi:[0,1]
	;; [unrolled: 1-line block ×6, first 2 shown]
	v_lshl_add_u64 v[6:7], v[6:7], 2, s[16:17]
	v_pk_mul_f32 v[32:33], v[0:1], v[32:33] op_sel_hi:[0,1]
	v_pk_mul_f32 v[34:35], v[0:1], v[34:35] op_sel_hi:[0,1]
	s_clause 0x3
	global_store_b128 v[22:23], v[10:13], off
	global_store_b128 v[36:37], v[14:17], off
	;; [unrolled: 1-line block ×4, first 2 shown]
	s_wait_xcnt 0x0
	s_and_saveexec_b32 s2, s1
	s_cbranch_execz .LBB23_103
; %bb.102:
	v_dual_mov_b32 v6, v2 :: v_dual_mov_b32 v7, v4
	global_store_b64 v1, v[6:7], s[18:19] scale_offset
.LBB23_103:
	s_wait_xcnt 0x0
	s_or_b32 exec_lo, exec_lo, s2
	v_cmp_ne_u32_e32 vcc_lo, 1, v8
	v_mov_b32_e32 v0, 1.0
	s_cbranch_vccnz .LBB23_105
; %bb.104:
	v_div_scale_f32 v0, null, v5, v5, 1.0
	s_delay_alu instid0(VALU_DEP_1) | instskip(SKIP_1) | instid1(TRANS32_DEP_1)
	v_rcp_f32_e32 v2, v0
	v_nop
	v_fma_f32 v4, -v0, v2, 1.0
	s_delay_alu instid0(VALU_DEP_1) | instskip(SKIP_1) | instid1(VALU_DEP_1)
	v_fmac_f32_e32 v2, v4, v2
	v_div_scale_f32 v4, vcc_lo, 1.0, v5, 1.0
	v_mul_f32_e32 v6, v4, v2
	s_delay_alu instid0(VALU_DEP_1) | instskip(NEXT) | instid1(VALU_DEP_1)
	v_fma_f32 v7, -v0, v6, v4
	v_fmac_f32_e32 v6, v7, v2
	s_delay_alu instid0(VALU_DEP_1) | instskip(NEXT) | instid1(VALU_DEP_1)
	v_fma_f32 v0, -v0, v6, v4
	v_div_fmas_f32 v0, v0, v2, v6
	s_delay_alu instid0(VALU_DEP_1)
	v_div_fixup_f32 v0, v0, v5, 1.0
.LBB23_105:
	v_dual_add_nc_u32 v1, s0, v1 :: v_dual_mov_b32 v19, 0
	v_dual_lshrrev_b32 v2, 16, v30 :: v_dual_lshrrev_b32 v4, 16, v31
	v_cvt_f32_f16_e32 v6, v30
	s_delay_alu instid0(VALU_DEP_3) | instskip(SKIP_1) | instid1(VALU_DEP_4)
	v_lshl_add_u32 v18, v1, 9, v75
	v_cvt_f32_f16_e32 v8, v31
	v_cvt_f32_f16_e32 v7, v2
	;; [unrolled: 1-line block ×3, first 2 shown]
	v_dual_lshrrev_b32 v2, 16, v28 :: v_dual_lshrrev_b32 v4, 16, v29
	v_dual_mov_b32 v11, v19 :: v_dual_add_nc_u32 v10, 0x80, v18
	v_dual_mov_b32 v15, v19 :: v_dual_add_nc_u32 v14, 0x100, v18
	s_delay_alu instid0(VALU_DEP_3) | instskip(SKIP_1) | instid1(VALU_DEP_4)
	v_cvt_f32_f16_e32 v13, v4
	v_lshrrev_b32_e32 v4, 16, v26
	v_lshl_add_u64 v[30:31], v[10:11], 2, s[16:17]
	v_cvt_f32_f16_e32 v11, v2
	v_lshrrev_b32_e32 v2, 16, v24
	v_cvt_f32_f16_e32 v10, v28
	v_cvt_f32_f16_e32 v12, v29
	v_lshl_add_u64 v[28:29], v[14:15], 2, s[16:17]
	v_cvt_f32_f16_e32 v17, v4
	v_cvt_f32_f16_e32 v15, v2
	v_dual_lshrrev_b32 v2, 16, v27 :: v_dual_lshrrev_b32 v4, 16, v25
	v_cvt_f32_f16_e32 v14, v24
	v_cvt_f32_f16_e32 v16, v26
	v_lshl_add_u64 v[22:23], v[18:19], 2, s[16:17]
	v_add_nc_u32_e32 v18, 0x180, v18
	v_cvt_f32_f16_e32 v21, v2
	v_cvt_f32_f16_e32 v20, v27
	;; [unrolled: 1-line block ×4, first 2 shown]
	v_pk_mul_f32 v[6:7], v[0:1], v[6:7] op_sel_hi:[0,1]
	v_pk_mul_f32 v[8:9], v[0:1], v[8:9] op_sel_hi:[0,1]
	;; [unrolled: 1-line block ×6, first 2 shown]
	v_lshl_add_u64 v[24:25], v[18:19], 2, s[16:17]
	v_pk_mul_f32 v[18:19], v[0:1], v[20:21] op_sel_hi:[0,1]
	v_pk_mul_f32 v[20:21], v[0:1], v[26:27] op_sel_hi:[0,1]
	s_clause 0x3
	global_store_b128 v[22:23], v[6:9], off
	global_store_b128 v[30:31], v[10:13], off
	;; [unrolled: 1-line block ×4, first 2 shown]
	s_wait_xcnt 0x0
	s_and_b32 exec_lo, exec_lo, s1
	s_cbranch_execz .LBB23_107
; %bb.106:
	v_mov_b32_e32 v4, v3
	global_store_b64 v1, v[4:5], s[18:19] scale_offset
.LBB23_107:
	s_sendmsg sendmsg(MSG_DEALLOC_VGPRS)
	s_endpgm
	.section	.rodata,"a",@progbits
	.p2align	6, 0x0
	.amdhsa_kernel _ZL15flash_attn_tileILi576ELi512ELi2ELi16ELb1EEvPKcS1_S1_S1_S1_PKiPfP15HIP_vector_typeIfLj2EEffffjfiS5_IjLj3EEiiiiiiiiiiiliiliiiiil
		.amdhsa_group_segment_fixed_size 63488
		.amdhsa_private_segment_fixed_size 0
		.amdhsa_kernarg_size 464
		.amdhsa_user_sgpr_count 2
		.amdhsa_user_sgpr_dispatch_ptr 0
		.amdhsa_user_sgpr_queue_ptr 0
		.amdhsa_user_sgpr_kernarg_segment_ptr 1
		.amdhsa_user_sgpr_dispatch_id 0
		.amdhsa_user_sgpr_kernarg_preload_length 0
		.amdhsa_user_sgpr_kernarg_preload_offset 0
		.amdhsa_user_sgpr_private_segment_size 0
		.amdhsa_wavefront_size32 1
		.amdhsa_uses_dynamic_stack 0
		.amdhsa_enable_private_segment 0
		.amdhsa_system_sgpr_workgroup_id_x 1
		.amdhsa_system_sgpr_workgroup_id_y 1
		.amdhsa_system_sgpr_workgroup_id_z 1
		.amdhsa_system_sgpr_workgroup_info 0
		.amdhsa_system_vgpr_workitem_id 1
		.amdhsa_next_free_vgpr 216
		.amdhsa_next_free_sgpr 43
		.amdhsa_named_barrier_count 0
		.amdhsa_reserve_vcc 1
		.amdhsa_float_round_mode_32 0
		.amdhsa_float_round_mode_16_64 0
		.amdhsa_float_denorm_mode_32 3
		.amdhsa_float_denorm_mode_16_64 3
		.amdhsa_fp16_overflow 0
		.amdhsa_memory_ordered 1
		.amdhsa_forward_progress 1
		.amdhsa_inst_pref_size 255
		.amdhsa_round_robin_scheduling 0
		.amdhsa_exception_fp_ieee_invalid_op 0
		.amdhsa_exception_fp_denorm_src 0
		.amdhsa_exception_fp_ieee_div_zero 0
		.amdhsa_exception_fp_ieee_overflow 0
		.amdhsa_exception_fp_ieee_underflow 0
		.amdhsa_exception_fp_ieee_inexact 0
		.amdhsa_exception_int_div_zero 0
	.end_amdhsa_kernel
	.section	.text._ZL15flash_attn_tileILi576ELi512ELi2ELi16ELb1EEvPKcS1_S1_S1_S1_PKiPfP15HIP_vector_typeIfLj2EEffffjfiS5_IjLj3EEiiiiiiiiiiiliiliiiiil,"axG",@progbits,_ZL15flash_attn_tileILi576ELi512ELi2ELi16ELb1EEvPKcS1_S1_S1_S1_PKiPfP15HIP_vector_typeIfLj2EEffffjfiS5_IjLj3EEiiiiiiiiiiiliiliiiiil,comdat
.Lfunc_end23:
	.size	_ZL15flash_attn_tileILi576ELi512ELi2ELi16ELb1EEvPKcS1_S1_S1_S1_PKiPfP15HIP_vector_typeIfLj2EEffffjfiS5_IjLj3EEiiiiiiiiiiiliiliiiiil, .Lfunc_end23-_ZL15flash_attn_tileILi576ELi512ELi2ELi16ELb1EEvPKcS1_S1_S1_S1_PKiPfP15HIP_vector_typeIfLj2EEffffjfiS5_IjLj3EEiiiiiiiiiiiliiliiiiil
                                        ; -- End function
	.set _ZL15flash_attn_tileILi576ELi512ELi2ELi16ELb1EEvPKcS1_S1_S1_S1_PKiPfP15HIP_vector_typeIfLj2EEffffjfiS5_IjLj3EEiiiiiiiiiiiliiliiiiil.num_vgpr, 216
	.set _ZL15flash_attn_tileILi576ELi512ELi2ELi16ELb1EEvPKcS1_S1_S1_S1_PKiPfP15HIP_vector_typeIfLj2EEffffjfiS5_IjLj3EEiiiiiiiiiiiliiliiiiil.num_agpr, 0
	.set _ZL15flash_attn_tileILi576ELi512ELi2ELi16ELb1EEvPKcS1_S1_S1_S1_PKiPfP15HIP_vector_typeIfLj2EEffffjfiS5_IjLj3EEiiiiiiiiiiiliiliiiiil.numbered_sgpr, 43
	.set _ZL15flash_attn_tileILi576ELi512ELi2ELi16ELb1EEvPKcS1_S1_S1_S1_PKiPfP15HIP_vector_typeIfLj2EEffffjfiS5_IjLj3EEiiiiiiiiiiiliiliiiiil.num_named_barrier, 0
	.set _ZL15flash_attn_tileILi576ELi512ELi2ELi16ELb1EEvPKcS1_S1_S1_S1_PKiPfP15HIP_vector_typeIfLj2EEffffjfiS5_IjLj3EEiiiiiiiiiiiliiliiiiil.private_seg_size, 0
	.set _ZL15flash_attn_tileILi576ELi512ELi2ELi16ELb1EEvPKcS1_S1_S1_S1_PKiPfP15HIP_vector_typeIfLj2EEffffjfiS5_IjLj3EEiiiiiiiiiiiliiliiiiil.uses_vcc, 1
	.set _ZL15flash_attn_tileILi576ELi512ELi2ELi16ELb1EEvPKcS1_S1_S1_S1_PKiPfP15HIP_vector_typeIfLj2EEffffjfiS5_IjLj3EEiiiiiiiiiiiliiliiiiil.uses_flat_scratch, 0
	.set _ZL15flash_attn_tileILi576ELi512ELi2ELi16ELb1EEvPKcS1_S1_S1_S1_PKiPfP15HIP_vector_typeIfLj2EEffffjfiS5_IjLj3EEiiiiiiiiiiiliiliiiiil.has_dyn_sized_stack, 0
	.set _ZL15flash_attn_tileILi576ELi512ELi2ELi16ELb1EEvPKcS1_S1_S1_S1_PKiPfP15HIP_vector_typeIfLj2EEffffjfiS5_IjLj3EEiiiiiiiiiiiliiliiiiil.has_recursion, 0
	.set _ZL15flash_attn_tileILi576ELi512ELi2ELi16ELb1EEvPKcS1_S1_S1_S1_PKiPfP15HIP_vector_typeIfLj2EEffffjfiS5_IjLj3EEiiiiiiiiiiiliiliiiiil.has_indirect_call, 0
	.section	.AMDGPU.csdata,"",@progbits
; Kernel info:
; codeLenInByte = 62732
; TotalNumSgprs: 45
; NumVgprs: 216
; ScratchSize: 0
; MemoryBound: 0
; FloatMode: 240
; IeeeMode: 1
; LDSByteSize: 63488 bytes/workgroup (compile time only)
; SGPRBlocks: 0
; VGPRBlocks: 13
; NumSGPRsForWavesPerEU: 45
; NumVGPRsForWavesPerEU: 216
; NamedBarCnt: 0
; Occupancy: 4
; WaveLimiterHint : 1
; COMPUTE_PGM_RSRC2:SCRATCH_EN: 0
; COMPUTE_PGM_RSRC2:USER_SGPR: 2
; COMPUTE_PGM_RSRC2:TRAP_HANDLER: 0
; COMPUTE_PGM_RSRC2:TGID_X_EN: 1
; COMPUTE_PGM_RSRC2:TGID_Y_EN: 1
; COMPUTE_PGM_RSRC2:TGID_Z_EN: 1
; COMPUTE_PGM_RSRC2:TIDIG_COMP_CNT: 1
	.section	.text._ZL15flash_attn_tileILi576ELi512ELi1ELi16ELb1EEvPKcS1_S1_S1_S1_PKiPfP15HIP_vector_typeIfLj2EEffffjfiS5_IjLj3EEiiiiiiiiiiiliiliiiiil,"axG",@progbits,_ZL15flash_attn_tileILi576ELi512ELi1ELi16ELb1EEvPKcS1_S1_S1_S1_PKiPfP15HIP_vector_typeIfLj2EEffffjfiS5_IjLj3EEiiiiiiiiiiiliiliiiiil,comdat
	.globl	_ZL15flash_attn_tileILi576ELi512ELi1ELi16ELb1EEvPKcS1_S1_S1_S1_PKiPfP15HIP_vector_typeIfLj2EEffffjfiS5_IjLj3EEiiiiiiiiiiiliiliiiiil ; -- Begin function _ZL15flash_attn_tileILi576ELi512ELi1ELi16ELb1EEvPKcS1_S1_S1_S1_PKiPfP15HIP_vector_typeIfLj2EEffffjfiS5_IjLj3EEiiiiiiiiiiiliiliiiiil
	.p2align	8
	.type	_ZL15flash_attn_tileILi576ELi512ELi1ELi16ELb1EEvPKcS1_S1_S1_S1_PKiPfP15HIP_vector_typeIfLj2EEffffjfiS5_IjLj3EEiiiiiiiiiiiliiliiiiil,@function
_ZL15flash_attn_tileILi576ELi512ELi1ELi16ELb1EEvPKcS1_S1_S1_S1_PKiPfP15HIP_vector_typeIfLj2EEffffjfiS5_IjLj3EEiiiiiiiiiiiliiliiiiil: ; @_ZL15flash_attn_tileILi576ELi512ELi1ELi16ELb1EEvPKcS1_S1_S1_S1_PKiPfP15HIP_vector_typeIfLj2EEffffjfiS5_IjLj3EEiiiiiiiiiiiliiliiiiil
; %bb.0:
	s_clause 0x1
	s_load_b128 s[20:23], s[0:1], 0x5c
	s_load_b64 s[28:29], s[0:1], 0x80
	s_bfe_u32 s5, ttmp6, 0x40014
	s_lshr_b32 s4, ttmp7, 16
	s_add_co_i32 s5, s5, 1
	s_bfe_u32 s6, ttmp6, 0x40008
	s_mul_i32 s5, s4, s5
	s_getreg_b32 s24, hwreg(HW_REG_IB_STS2, 6, 4)
	s_add_co_i32 s6, s6, s5
	s_load_b64 s[36:37], s[0:1], 0xb8
	s_mov_b32 s35, 0
	s_mov_b64 s[30:31], 0
	s_wait_kmcnt 0x0
	s_ashr_i32 s2, s23, 31
	s_delay_alu instid0(SALU_CYCLE_1) | instskip(NEXT) | instid1(SALU_CYCLE_1)
	s_lshr_b32 s2, s2, 28
	s_add_co_i32 s2, s23, s2
	s_delay_alu instid0(SALU_CYCLE_1) | instskip(NEXT) | instid1(SALU_CYCLE_1)
	s_ashr_i32 s2, s2, 4
	s_cvt_f32_u32 s3, s2
	s_sub_co_i32 s7, 0, s2
	s_delay_alu instid0(SALU_CYCLE_2) | instskip(SKIP_1) | instid1(TRANS32_DEP_1)
	v_rcp_iflag_f32_e32 v1, s3
	v_nop
	v_readfirstlane_b32 s3, v1
	s_mul_f32 s3, s3, 0x4f7ffffe
	s_delay_alu instid0(SALU_CYCLE_3) | instskip(NEXT) | instid1(SALU_CYCLE_3)
	s_cvt_u32_f32 s3, s3
	s_mul_i32 s7, s7, s3
	s_delay_alu instid0(SALU_CYCLE_1) | instskip(NEXT) | instid1(SALU_CYCLE_1)
	s_mul_hi_u32 s7, s3, s7
	s_add_co_i32 s3, s3, s7
	s_cmp_eq_u32 s24, 0
	s_cselect_b32 s4, s4, s6
	s_delay_alu instid0(SALU_CYCLE_1) | instskip(NEXT) | instid1(SALU_CYCLE_1)
	s_mul_hi_u32 s3, s4, s3
	s_mul_i32 s5, s3, s2
	s_add_co_i32 s6, s3, 1
	s_sub_co_i32 s5, s4, s5
	s_delay_alu instid0(SALU_CYCLE_1)
	s_sub_co_i32 s7, s5, s2
	s_cmp_ge_u32 s5, s2
	s_cselect_b32 s3, s6, s3
	s_cselect_b32 s5, s7, s5
	s_add_co_i32 s6, s3, 1
	s_cmp_ge_u32 s5, s2
	s_cselect_b32 s2, s6, s3
	s_abs_i32 s3, s29
	s_lshl_b32 s4, s4, 4
	s_cvt_f32_u32 s5, s3
	s_sub_co_i32 s6, 0, s3
	s_mul_i32 s7, s2, s23
	s_abs_i32 s8, s23
	v_rcp_iflag_f32_e32 v1, s5
	s_sub_co_i32 s33, s4, s7
	v_nop
	s_delay_alu instid0(TRANS32_DEP_1) | instskip(SKIP_1) | instid1(SALU_CYCLE_3)
	v_readfirstlane_b32 s5, v1
	s_mul_f32 s5, s5, 0x4f7ffffe
	s_cvt_u32_f32 s5, s5
	s_delay_alu instid0(SALU_CYCLE_3) | instskip(NEXT) | instid1(SALU_CYCLE_1)
	s_mul_i32 s6, s6, s5
	s_mul_hi_u32 s6, s5, s6
	s_delay_alu instid0(SALU_CYCLE_1) | instskip(NEXT) | instid1(SALU_CYCLE_1)
	s_add_co_i32 s5, s5, s6
	s_mul_hi_u32 s4, s8, s5
	s_xor_b32 s5, s23, s29
	s_mul_i32 s6, s4, s3
	s_ashr_i32 s25, s5, 31
	s_sub_co_i32 s5, s8, s6
	s_add_co_i32 s6, s4, 1
	s_sub_co_i32 s7, s5, s3
	s_cmp_ge_u32 s5, s3
	s_cselect_b32 s4, s6, s4
	s_cselect_b32 s5, s7, s5
	s_add_co_i32 s6, s4, 1
	s_cmp_ge_u32 s5, s3
	s_cselect_b32 s3, s6, s4
	s_load_b512 s[4:19], s[0:1], 0x0
	s_xor_b32 s3, s3, s25
	s_delay_alu instid0(SALU_CYCLE_1) | instskip(NEXT) | instid1(SALU_CYCLE_1)
	s_sub_co_i32 s3, s3, s25
	s_abs_i32 s29, s3
	s_delay_alu instid0(SALU_CYCLE_1) | instskip(NEXT) | instid1(SALU_CYCLE_3)
	s_cvt_f32_u32 s25, s29
	v_rcp_iflag_f32_e32 v1, s25
	v_nop
	s_delay_alu instid0(TRANS32_DEP_1)
	v_readfirstlane_b32 s25, v1
	s_wait_kmcnt 0x0
	s_cmp_eq_u64 s[10:11], 0
	s_cbranch_scc1 .LBB24_2
; %bb.1:
	s_abs_i32 s30, s36
	s_abs_i32 s31, s2
	s_cvt_f32_u32 s26, s30
	s_sub_co_i32 s27, 0, s30
	s_delay_alu instid0(SALU_CYCLE_2) | instskip(SKIP_1) | instid1(TRANS32_DEP_1)
	v_rcp_iflag_f32_e32 v1, s26
	v_nop
	v_readfirstlane_b32 s26, v1
	s_mul_f32 s26, s26, 0x4f7ffffe
	s_delay_alu instid0(SALU_CYCLE_3) | instskip(NEXT) | instid1(SALU_CYCLE_3)
	s_cvt_u32_f32 s26, s26
	s_mul_i32 s27, s27, s26
	s_delay_alu instid0(SALU_CYCLE_1) | instskip(NEXT) | instid1(SALU_CYCLE_1)
	s_mul_hi_u32 s27, s26, s27
	s_add_co_i32 s26, s26, s27
	s_delay_alu instid0(SALU_CYCLE_1) | instskip(SKIP_2) | instid1(SALU_CYCLE_1)
	s_mul_hi_u32 s34, s31, s26
	s_load_b64 s[26:27], s[0:1], 0xc8
	s_mul_i32 s34, s34, s30
	s_sub_co_i32 s31, s31, s34
	s_ashr_i32 s34, s2, 31
	s_sub_co_i32 s36, s31, s30
	s_cmp_ge_u32 s31, s30
	s_cselect_b32 s31, s36, s31
	s_delay_alu instid0(SALU_CYCLE_1) | instskip(SKIP_2) | instid1(SALU_CYCLE_1)
	s_sub_co_i32 s36, s31, s30
	s_cmp_ge_u32 s31, s30
	s_cselect_b32 s30, s36, s31
	s_xor_b32 s30, s30, s34
	s_delay_alu instid0(SALU_CYCLE_1) | instskip(NEXT) | instid1(SALU_CYCLE_1)
	s_sub_co_i32 s30, s30, s34
	s_ashr_i32 s31, s30, 31
	s_wait_kmcnt 0x0
	s_mul_u64 s[26:27], s[26:27], s[30:31]
	s_delay_alu instid0(SALU_CYCLE_1)
	s_add_nc_u64 s[30:31], s[10:11], s[26:27]
.LBB24_2:
	s_bfe_u32 s10, ttmp6, 0x4000c
	v_dual_lshrrev_b32 v1, 10, v0 :: v_dual_mov_b32 v3, 0
	s_add_co_i32 s10, s10, 1
	s_and_b32 s11, ttmp6, 15
	s_mul_i32 s10, ttmp9, s10
	s_delay_alu instid0(VALU_DEP_1)
	v_bfe_u32 v1, v1, 3, 7
	s_add_co_i32 s11, s11, s10
	s_cmp_eq_u32 s24, 0
	v_bfe_u32 v6, v0, 10, 10
	s_cselect_b32 s26, ttmp9, s11
	s_load_b96 s[40:42], s[0:1], 0x70
	v_dual_mov_b32 v65, v3 :: v_dual_add_nc_u32 v80, s26, v1
	s_delay_alu instid0(VALU_DEP_2) | instskip(SKIP_1) | instid1(VALU_DEP_3)
	v_lshlrev_b32_e32 v8, 1, v6
	v_mul_u32_u24_e32 v82, 0x900, v6
	v_mul_hi_u32 v1, s20, v80
	s_delay_alu instid0(VALU_DEP_1) | instskip(SKIP_3) | instid1(VALU_DEP_1)
	v_dual_add_nc_u32 v1, v80, v1 :: v_dual_bitop2_b32 v64, 14, v8 bitop3:0x40
	s_wait_kmcnt 0x0
	s_mul_i32 s20, s33, s41
	s_ashr_i32 s11, s41, 31
	v_lshrrev_b32_e32 v1, s21, v1
	s_mov_b32 s10, s41
	s_ashr_i32 s41, s40, 31
	s_lshr_b64 s[10:11], s[10:11], 2
	s_lshr_b64 s[38:39], s[40:41], 2
	v_mul_lo_u32 v1, v1, s22
	s_ashr_i32 s21, s20, 31
	v_mul_u64_e32 v[10:11], s[10:11], v[64:65]
	v_and_b32_e32 v65, 0x3ff, v0
	s_delay_alu instid0(VALU_DEP_1) | instskip(SKIP_2) | instid1(VALU_DEP_3)
	v_dual_lshlrev_b32 v0, 4, v65 :: v_dual_lshlrev_b32 v7, 3, v65
	v_cmp_gt_u32_e32 vcc_lo, 16, v65
	v_dual_mov_b32 v1, v3 :: v_dual_sub_nc_u32 v2, v80, v1
	v_mad_u32_u24 v9, 0x900, v6, v7
	s_delay_alu instid0(VALU_DEP_2) | instskip(SKIP_1) | instid1(SALU_CYCLE_1)
	v_mul_u64_e32 v[4:5], s[38:39], v[2:3]
	s_mul_i32 s38, s2, s42
	s_ashr_i32 s39, s38, 31
	s_delay_alu instid0(SALU_CYCLE_1) | instskip(NEXT) | instid1(SALU_CYCLE_1)
	s_add_nc_u64 s[4:5], s[4:5], s[38:39]
	s_add_nc_u64 s[4:5], s[4:5], s[20:21]
	s_delay_alu instid0(VALU_DEP_1) | instid1(SALU_CYCLE_1)
	v_lshl_add_u64 v[4:5], v[4:5], 2, s[4:5]
	s_load_b32 s4, s[0:1], 0x40
	s_delay_alu instid0(VALU_DEP_1) | instskip(NEXT) | instid1(VALU_DEP_1)
	v_add_nc_u64_e32 v[0:1], v[4:5], v[0:1]
	v_lshl_add_u64 v[4:5], v[10:11], 2, v[0:1]
	s_clause 0x3
	global_load_b128 v[10:13], v[4:5], off
	global_load_b128 v[14:17], v[4:5], off offset:512
	global_load_b128 v[18:21], v[4:5], off offset:1024
	;; [unrolled: 1-line block ×3, first 2 shown]
	s_wait_loadcnt 0x3
	s_wait_kmcnt 0x0
	v_fma_mixlo_f16 v10, s4, v10, 0
	v_fma_mixlo_f16 v11, s4, v11, 0
	;; [unrolled: 1-line block ×4, first 2 shown]
	s_wait_loadcnt 0x2
	v_fma_mixlo_f16 v14, s4, v14, 0
	v_fma_mixlo_f16 v15, s4, v15, 0
	;; [unrolled: 1-line block ×4, first 2 shown]
	s_wait_loadcnt 0x1
	v_fma_mixlo_f16 v18, s4, v18, 0
	v_fma_mixlo_f16 v19, s4, v19, 0
	s_wait_loadcnt 0x0
	v_fma_mixlo_f16 v22, s4, v22, 0
	v_fma_mixlo_f16 v23, s4, v23, 0
	v_dual_lshlrev_b32 v11, 16, v11 :: v_dual_lshlrev_b32 v13, 16, v13
	v_and_b32_e32 v10, 0xffff, v10
	v_and_b32_e32 v12, 0xffff, v12
	v_dual_lshlrev_b32 v15, 16, v15 :: v_dual_lshlrev_b32 v17, 16, v17
	v_and_b32_e32 v14, 0xffff, v14
	v_fma_mixlo_f16 v20, s4, v20, 0
	v_fma_mixlo_f16 v21, s4, v21, 0
	;; [unrolled: 1-line block ×4, first 2 shown]
	v_and_b32_e32 v16, 0xffff, v16
	s_delay_alu instid0(VALU_DEP_4) | instskip(SKIP_1) | instid1(VALU_DEP_4)
	v_dual_lshlrev_b32 v19, 16, v19 :: v_dual_lshlrev_b32 v21, 16, v21
	v_and_b32_e32 v18, 0xffff, v18
	v_dual_lshlrev_b32 v23, 16, v23 :: v_dual_lshlrev_b32 v25, 16, v25
	v_and_b32_e32 v22, 0xffff, v22
	v_or_b32_e32 v10, v11, v10
	v_or3_b32 v11, v13, v12, 0
	v_or_b32_e32 v12, v15, v14
	v_and_b32_e32 v20, 0xffff, v20
	v_and_b32_e32 v24, 0xffff, v24
	v_or3_b32 v13, v17, v16, 0
	v_or_b32_e32 v14, v19, v18
	v_or_b32_e32 v16, v23, v22
	v_or3_b32 v10, 0, 0, v10
	v_or3_b32 v12, 0, 0, v12
	;; [unrolled: 1-line block ×6, first 2 shown]
	ds_store_2addr_b64 v9, v[10:11], v[12:13] offset1:32
	ds_store_2addr_b64 v9, v[14:15], v[16:17] offset0:64 offset1:96
	s_and_saveexec_b32 s5, vcc_lo
	s_cbranch_execz .LBB24_4
; %bb.3:
	global_load_b128 v[10:13], v[4:5], off offset:2048
	s_wait_loadcnt 0x0
	v_fma_mixlo_f16 v9, s4, v10, 0
	v_mov_b32_e32 v10, v13
	s_delay_alu instid0(VALU_DEP_2) | instskip(NEXT) | instid1(VALU_DEP_2)
	v_and_b32_e32 v9, 0xffff, v9
	v_pk_mul_f32 v[4:5], s[4:5], v[10:11] op_sel_hi:[0,1]
	s_delay_alu instid0(VALU_DEP_1) | instskip(SKIP_1) | instid1(VALU_DEP_2)
	v_cvt_pk_f16_f32 v4, v4, v5
	v_fma_mixlo_f16 v5, s4, v12, 0
	v_and_b32_e32 v10, 0xffff0000, v4
	s_delay_alu instid0(VALU_DEP_2) | instskip(NEXT) | instid1(VALU_DEP_2)
	v_and_b32_e32 v5, 0xffff, v5
	v_dual_lshlrev_b32 v4, 16, v4 :: v_dual_bitop2_b32 v9, v10, v9 bitop3:0x54
	s_delay_alu instid0(VALU_DEP_1) | instskip(NEXT) | instid1(VALU_DEP_2)
	v_or3_b32 v5, v4, v5, 0
	v_or3_b32 v4, 0, 0, v9
	v_add_nc_u32_e32 v9, v7, v82
	ds_store_b64 v9, v[4:5] offset:1024
.LBB24_4:
	s_or_b32 exec_lo, exec_lo, s5
	v_bitop3_b32 v4, v8, 15, 1 bitop3:0xc8
	v_dual_mov_b32 v5, v3 :: v_dual_bitop2_b32 v3, 1, v8 bitop3:0x54
	s_delay_alu instid0(VALU_DEP_1) | instskip(NEXT) | instid1(VALU_DEP_2)
	v_mul_u64_e32 v[4:5], s[10:11], v[4:5]
	v_mad_u32_u24 v26, 0x480, v3, v7
	s_delay_alu instid0(VALU_DEP_2)
	v_lshl_add_u64 v[0:1], v[4:5], 2, v[0:1]
	s_clause 0x3
	global_load_b128 v[10:13], v[0:1], off
	global_load_b128 v[14:17], v[0:1], off offset:512
	global_load_b128 v[18:21], v[0:1], off offset:1024
	;; [unrolled: 1-line block ×3, first 2 shown]
	s_wait_loadcnt 0x3
	v_fma_mixlo_f16 v4, s4, v10, 0
	v_fma_mixlo_f16 v5, s4, v11, 0
	;; [unrolled: 1-line block ×4, first 2 shown]
	s_wait_loadcnt 0x2
	v_fma_mixlo_f16 v10, s4, v14, 0
	v_fma_mixlo_f16 v11, s4, v15, 0
	;; [unrolled: 1-line block ×4, first 2 shown]
	s_wait_loadcnt 0x1
	v_fma_mixlo_f16 v14, s4, v18, 0
	v_fma_mixlo_f16 v15, s4, v19, 0
	s_wait_loadcnt 0x0
	v_fma_mixlo_f16 v18, s4, v22, 0
	v_fma_mixlo_f16 v19, s4, v23, 0
	;; [unrolled: 1-line block ×4, first 2 shown]
	v_dual_lshlrev_b32 v5, 16, v5 :: v_dual_lshlrev_b32 v11, 16, v11
	v_and_b32_e32 v4, 0xffff, v4
	v_dual_lshlrev_b32 v9, 16, v9 :: v_dual_lshlrev_b32 v15, 16, v15
	v_and_b32_e32 v8, 0xffff, v8
	v_and_b32_e32 v10, 0xffff, v10
	v_fma_mixlo_f16 v16, s4, v20, 0
	v_fma_mixlo_f16 v20, s4, v24, 0
	v_dual_lshlrev_b32 v13, 16, v13 :: v_dual_lshlrev_b32 v19, 16, v19
	v_and_b32_e32 v12, 0xffff, v12
	v_and_b32_e32 v14, 0xffff, v14
	;; [unrolled: 1-line block ×3, first 2 shown]
	v_dual_lshlrev_b32 v17, 16, v17 :: v_dual_bitop2_b32 v4, v5, v4 bitop3:0x54
	v_lshlrev_b32_e32 v21, 16, v21
	v_or3_b32 v5, v9, v8, 0
	v_or_b32_e32 v8, v11, v10
	v_and_b32_e32 v16, 0xffff, v16
	v_and_b32_e32 v20, 0xffff, v20
	v_or3_b32 v9, v13, v12, 0
	v_or_b32_e32 v10, v15, v14
	v_or_b32_e32 v12, v19, v18
	v_or3_b32 v4, 0, 0, v4
	v_or3_b32 v8, 0, 0, v8
	;; [unrolled: 1-line block ×6, first 2 shown]
	ds_store_2addr_b64 v26, v[4:5], v[8:9] offset1:32
	ds_store_2addr_b64 v26, v[10:11], v[12:13] offset0:64 offset1:96
	s_and_saveexec_b32 s5, vcc_lo
	s_cbranch_execz .LBB24_6
; %bb.5:
	global_load_b128 v[8:11], v[0:1], off offset:2048
	v_mul_u32_u24_e32 v3, 0x480, v3
	s_delay_alu instid0(VALU_DEP_1) | instskip(SKIP_3) | instid1(VALU_DEP_2)
	v_add_nc_u32_e32 v3, v7, v3
	s_wait_loadcnt 0x0
	v_fma_mixlo_f16 v4, s4, v8, 0
	v_mov_b32_e32 v8, v11
	v_and_b32_e32 v4, 0xffff, v4
	s_delay_alu instid0(VALU_DEP_2) | instskip(NEXT) | instid1(VALU_DEP_1)
	v_pk_mul_f32 v[0:1], s[4:5], v[8:9] op_sel_hi:[0,1]
	v_cvt_pk_f16_f32 v0, v0, v1
	v_fma_mixlo_f16 v1, s4, v10, 0
	s_delay_alu instid0(VALU_DEP_2) | instskip(NEXT) | instid1(VALU_DEP_2)
	v_and_b32_e32 v5, 0xffff0000, v0
	v_and_b32_e32 v1, 0xffff, v1
	v_lshlrev_b32_e32 v0, 16, v0
	s_delay_alu instid0(VALU_DEP_3) | instskip(NEXT) | instid1(VALU_DEP_2)
	v_or_b32_e32 v4, v5, v4
	v_or3_b32 v1, v0, v1, 0
	s_delay_alu instid0(VALU_DEP_2)
	v_or3_b32 v0, 0, 0, v4
	ds_store_b64 v3, v[0:1] offset:1024
.LBB24_6:
	s_or_b32 exec_lo, exec_lo, s5
	s_cmp_eq_u64 s[14:15], 0
	s_wait_dscnt 0x0
	s_barrier_signal -1
	s_barrier_wait -1
	s_cbranch_scc1 .LBB24_8
; %bb.7:
	s_load_b32 s4, s[0:1], 0xd0
	s_wait_kmcnt 0x0
	s_mul_i32 s4, s4, s2
	s_delay_alu instid0(SALU_CYCLE_1)
	s_add_co_i32 s4, s4, s26
	s_load_b32 s28, s[14:15], s4 offset:0x0 scale_offset
.LBB24_8:
	s_wait_xcnt 0x0
	s_bfe_u32 s4, ttmp6, 0x40010
	s_and_b32 s5, ttmp7, 0xffff
	s_add_co_i32 s4, s4, 1
	s_bfe_u32 s10, ttmp6, 0x40004
	s_mul_i32 s4, s5, s4
	v_lshlrev_b32_e32 v81, 2, v65
	s_add_co_i32 s10, s10, s4
	s_cmp_eq_u32 s24, 0
	v_mbcnt_lo_u32_b32 v83, -1, 0
	s_cselect_b32 s20, s5, s10
	s_mov_b32 s5, 0
	s_lshl_b32 s4, s20, 6
	s_wait_kmcnt 0x0
	s_cmp_lt_i32 s4, s28
	s_cbranch_scc1 .LBB24_11
; %bb.9:
	v_mbcnt_lo_u32_b32 v0, -1, 0
	s_delay_alu instid0(VALU_DEP_1)
	v_dual_mov_b32 v84, 32 :: v_dual_bitop2_b32 v97, 16, v0 bitop3:0x14
	v_xor_b32_e32 v93, 8, v0
	v_xor_b32_e32 v94, 4, v0
	;; [unrolled: 1-line block ×4, first 2 shown]
	s_and_not1_b32 vcc_lo, exec_lo, s5
	s_cbranch_vccz .LBB24_12
; %bb.10:
	v_dual_mov_b32 v67, 0 :: v_dual_mov_b32 v60, 0
	v_dual_mov_b32 v77, 0xfeffffff :: v_dual_mov_b32 v76, 0xfeffffff
	s_delay_alu instid0(VALU_DEP_2)
	v_dual_mov_b32 v21, 0 :: v_dual_mov_b32 v66, v67
	v_dual_mov_b32 v20, 0 :: v_dual_mov_b32 v19, 0
	;; [unrolled: 1-line block ×8, first 2 shown]
	s_branch .LBB24_32
.LBB24_11:
                                        ; implicit-def: $vgpr0
                                        ; implicit-def: $vgpr84
                                        ; implicit-def: $vgpr97
                                        ; implicit-def: $vgpr93
                                        ; implicit-def: $vgpr94
                                        ; implicit-def: $vgpr95
                                        ; implicit-def: $vgpr96
.LBB24_12:
	s_mul_f32 s5, s25, 0x4f7ffffe
	s_clause 0x1
	s_load_b128 s[24:27], s[0:1], 0x98
	s_load_b64 s[14:15], s[0:1], 0x8c
	s_sub_co_i32 s10, 0, s29
	s_ashr_i32 s38, s3, 31
	s_cvt_u32_f32 s5, s5
	s_abs_i32 s34, s33
	s_mov_b32 s11, s35
	s_ashr_i32 s39, s37, 1
	s_mul_i32 s10, s10, s5
	s_load_b64 s[36:37], s[0:1], 0xa8
	s_mul_hi_u32 s3, s5, s10
	s_ashr_i32 s21, s33, 31
	s_add_co_i32 s10, s5, s3
	s_ashr_i32 s3, s2, 31
	s_mul_u64 s[10:11], s[34:35], s[10:11]
	s_xor_b32 s21, s21, s38
	s_mul_i32 s5, s11, s29
	v_dual_mov_b32 v71, 0 :: v_dual_bitop2_b32 v0, 28, v81 bitop3:0x40
	s_sub_co_i32 s5, s34, s5
	s_wait_kmcnt 0x0
	s_ashr_i32 s10, s26, 2
	s_ashr_i32 s14, s14, 2
	s_add_co_i32 s26, s11, 1
	s_sub_co_i32 s34, s5, s29
	s_cmp_ge_u32 s5, s29
	v_dual_lshrrev_b32 v1, 3, v65 :: v_dual_lshlrev_b32 v3, 2, v0
	s_cselect_b32 s11, s26, s11
	s_cselect_b32 s5, s34, s5
	v_mul_lo_u32 v4, s10, v6
	s_add_co_i32 s26, s11, 1
	s_cmp_ge_u32 s5, s29
	v_lshl_add_u32 v1, v6, 2, v1
	s_cselect_b32 s5, s26, s11
	s_mul_u64 s[24:25], s[24:25], s[2:3]
	s_xor_b32 s5, s5, s21
	s_add_nc_u64 s[6:7], s[6:7], s[24:25]
	v_mul_lo_u32 v68, s14, v1
	s_sub_co_i32 s5, s5, s21
	s_load_b32 s21, s[0:1], 0x54
	s_mul_u64 s[24:25], s[36:37], s[2:3]
	s_mul_i32 s26, s5, s27
	v_dual_mov_b32 v8, v71 :: v_dual_ashrrev_i32 v5, 31, v4
	s_add_nc_u64 s[8:9], s[8:9], s[24:25]
	s_ashr_i32 s27, s26, 31
	v_mad_u32_u24 v1, 0x90, v1, v3
	s_delay_alu instid0(VALU_DEP_3)
	v_dual_lshlrev_b32 v70, 2, v81 :: v_dual_ashrrev_i32 v69, 31, v68
	s_add_nc_u64 s[8:9], s[8:9], s[26:27]
	v_mad_u32 v88, v2, s39, v65
	v_lshl_add_u64 v[2:3], v[4:5], 2, s[8:9]
	v_dual_mov_b32 v84, 32 :: v_dual_add_nc_u32 v85, 0x4800, v1
	v_lshl_add_u32 v72, s14, 5, v68
	v_dual_mov_b32 v9, v71 :: v_dual_add_nc_u32 v86, 0x5a00, v1
	v_lshl_add_u32 v1, v6, 10, v70
	s_movk_i32 s3, 0x4800
	v_add_nc_u64_e32 v[74:75], v[2:3], v[70:71]
	s_mul_i32 s34, s5, s15
	v_dual_mov_b32 v10, v71 :: v_dual_ashrrev_i32 v73, 31, v72
	v_mad_u32_u24 v87, 0x90, v65, s3
	v_lshl_add_u32 v89, v6, 8, 0x6c00
	v_dual_mov_b32 v11, v71 :: v_dual_add_nc_u32 v90, 0x4800, v1
	v_dual_mov_b32 v12, v71 :: v_dual_add_nc_u32 v91, 0x4a00, v1
	;; [unrolled: 1-line block ×3, first 2 shown]
	v_dual_mov_b32 v23, 0xfeffffff :: v_dual_lshlrev_b32 v70, 2, v0
	v_dual_mov_b32 v14, v71 :: v_dual_mov_b32 v62, v71
	v_dual_mov_b32 v15, v71 :: v_dual_mov_b32 v16, v71
	;; [unrolled: 1-line block ×6, first 2 shown]
	v_mov_b32_e32 v66, v71
	s_ashr_i32 s35, s34, 31
	s_ashr_i32 s15, s14, 31
	s_add_nc_u64 s[6:7], s[6:7], s[34:35]
	s_ashr_i32 s11, s10, 31
	s_add_nc_u64 s[8:9], s[0:1], 0xd0
	s_mov_b32 s3, 0xbbbac73d
.LBB24_13:                              ; =>This Inner Loop Header: Depth=1
	s_ashr_i32 s5, s4, 31
	v_mov_b32_e32 v37, 0
	s_mul_u64 s[24:25], s[4:5], s[14:15]
	v_mov_b32_e32 v38, 0
	s_lshl_b64 s[24:25], s[24:25], 2
	s_delay_alu instid0(SALU_CYCLE_1) | instskip(NEXT) | instid1(SALU_CYCLE_1)
	s_add_nc_u64 s[24:25], s[6:7], s[24:25]
	v_lshl_add_u64 v[0:1], v[68:69], 2, s[24:25]
	v_lshl_add_u64 v[2:3], v[72:73], 2, s[24:25]
	s_delay_alu instid0(VALU_DEP_2) | instskip(NEXT) | instid1(VALU_DEP_2)
	v_add_nc_u64_e32 v[0:1], v[0:1], v[70:71]
	v_add_nc_u64_e32 v[2:3], v[2:3], v[70:71]
	s_clause 0x1
	global_load_b128 v[4:7], v[0:1], off
	global_load_b128 v[24:27], v[2:3], off
	s_wait_loadcnt 0x1
	ds_store_b128 v85, v[4:7]
	s_wait_loadcnt 0x0
	ds_store_b128 v86, v[24:27]
	s_wait_dscnt 0x0
	s_barrier_signal -1
	s_barrier_wait -1
	ds_load_b128 v[24:27], v87
	ds_load_b128 v[28:31], v82
	ds_load_b128 v[32:35], v82 offset:1152
	ds_load_b128 v[40:43], v87 offset:4608
	v_dual_mov_b32 v4, 0 :: v_dual_mov_b32 v5, 0
	s_wait_dscnt 0x2
	;;#ASMSTART
	v_dot2_f32_f16 v4, v24, v28, v4
	;;#ASMEND
	;;#ASMSTART
	v_dot2_f32_f16 v4, v25, v29, v4
	;;#ASMEND
	;;#ASMSTART
	v_dot2_f32_f16 v4, v26, v30, v4
	;;#ASMEND
	;;#ASMSTART
	v_dot2_f32_f16 v4, v27, v31, v4
	;;#ASMEND
	s_wait_dscnt 0x1
	;;#ASMSTART
	v_dot2_f32_f16 v37, v24, v32, v37
	;;#ASMEND
	;;#ASMSTART
	v_dot2_f32_f16 v37, v25, v33, v37
	;;#ASMEND
	;;#ASMSTART
	v_dot2_f32_f16 v37, v26, v34, v37
	;;#ASMEND
	;;#ASMSTART
	v_dot2_f32_f16 v37, v27, v35, v37
	;;#ASMEND
	s_wait_dscnt 0x0
	;;#ASMSTART
	v_dot2_f32_f16 v5, v40, v28, v5
	;;#ASMEND
	;;#ASMSTART
	v_dot2_f32_f16 v5, v41, v29, v5
	;;#ASMEND
	;;#ASMSTART
	v_dot2_f32_f16 v5, v42, v30, v5
	;;#ASMEND
	;;#ASMSTART
	v_dot2_f32_f16 v5, v43, v31, v5
	;;#ASMEND
	;;#ASMSTART
	v_dot2_f32_f16 v38, v40, v32, v38
	;;#ASMEND
	;;#ASMSTART
	v_dot2_f32_f16 v38, v41, v33, v38
	;;#ASMEND
	;;#ASMSTART
	v_dot2_f32_f16 v38, v42, v34, v38
	;;#ASMEND
	;;#ASMSTART
	v_dot2_f32_f16 v38, v43, v35, v38
	;;#ASMEND
	ds_load_b128 v[24:27], v87 offset:16
	ds_load_b128 v[28:31], v82 offset:16
	ds_load_b128 v[32:35], v82 offset:1168
	ds_load_b128 v[40:43], v87 offset:4624
	s_wait_dscnt 0x2
	;;#ASMSTART
	v_dot2_f32_f16 v4, v24, v28, v4
	;;#ASMEND
	;;#ASMSTART
	v_dot2_f32_f16 v4, v25, v29, v4
	;;#ASMEND
	;;#ASMSTART
	v_dot2_f32_f16 v4, v26, v30, v4
	;;#ASMEND
	;;#ASMSTART
	v_dot2_f32_f16 v4, v27, v31, v4
	;;#ASMEND
	s_wait_dscnt 0x1
	;;#ASMSTART
	v_dot2_f32_f16 v37, v24, v32, v37
	;;#ASMEND
	;;#ASMSTART
	v_dot2_f32_f16 v37, v25, v33, v37
	;;#ASMEND
	;;#ASMSTART
	v_dot2_f32_f16 v37, v26, v34, v37
	;;#ASMEND
	;;#ASMSTART
	v_dot2_f32_f16 v37, v27, v35, v37
	;;#ASMEND
	s_wait_dscnt 0x0
	;;#ASMSTART
	v_dot2_f32_f16 v5, v40, v28, v5
	;;#ASMEND
	;;#ASMSTART
	v_dot2_f32_f16 v5, v41, v29, v5
	;;#ASMEND
	;;#ASMSTART
	v_dot2_f32_f16 v5, v42, v30, v5
	;;#ASMEND
	;;#ASMSTART
	v_dot2_f32_f16 v5, v43, v31, v5
	;;#ASMEND
	;;#ASMSTART
	v_dot2_f32_f16 v38, v40, v32, v38
	;;#ASMEND
	;;#ASMSTART
	v_dot2_f32_f16 v38, v41, v33, v38
	;;#ASMEND
	;;#ASMSTART
	v_dot2_f32_f16 v38, v42, v34, v38
	;;#ASMEND
	;;#ASMSTART
	v_dot2_f32_f16 v38, v43, v35, v38
	;;#ASMEND
	ds_load_b128 v[24:27], v87 offset:32
	ds_load_b128 v[28:31], v82 offset:32
	ds_load_b128 v[32:35], v82 offset:1184
	ds_load_b128 v[40:43], v87 offset:4640
	;; [unrolled: 55-line block ×7, first 2 shown]
	s_wait_dscnt 0x2
	;;#ASMSTART
	v_dot2_f32_f16 v4, v24, v28, v4
	;;#ASMEND
	;;#ASMSTART
	v_dot2_f32_f16 v4, v25, v29, v4
	;;#ASMEND
	;;#ASMSTART
	v_dot2_f32_f16 v4, v26, v30, v4
	;;#ASMEND
	;;#ASMSTART
	v_dot2_f32_f16 v4, v27, v31, v4
	;;#ASMEND
	s_wait_dscnt 0x1
	;;#ASMSTART
	v_dot2_f32_f16 v37, v24, v32, v37
	;;#ASMEND
	;;#ASMSTART
	v_dot2_f32_f16 v37, v25, v33, v37
	;;#ASMEND
	;;#ASMSTART
	v_dot2_f32_f16 v37, v26, v34, v37
	;;#ASMEND
	;;#ASMSTART
	v_dot2_f32_f16 v37, v27, v35, v37
	;;#ASMEND
	;; [unrolled: 13-line block ×3, first 2 shown]
	;;#ASMSTART
	v_dot2_f32_f16 v38, v40, v32, v38
	;;#ASMEND
	;;#ASMSTART
	v_dot2_f32_f16 v38, v41, v33, v38
	;;#ASMEND
	;; [unrolled: 3-line block ×4, first 2 shown]
	s_barrier_signal -1
	s_barrier_wait -1
	s_clause 0x1
	global_load_b128 v[24:27], v[0:1], off offset:128
	global_load_b128 v[28:31], v[2:3], off offset:128
	s_wait_loadcnt 0x1
	ds_store_b128 v85, v[24:27]
	s_wait_loadcnt 0x0
	ds_store_b128 v86, v[28:31]
	s_wait_dscnt 0x0
	s_barrier_signal -1
	s_barrier_wait -1
	ds_load_b128 v[24:27], v87
	ds_load_b128 v[28:31], v82 offset:128
	ds_load_b128 v[32:35], v82 offset:1280
	ds_load_b128 v[40:43], v87 offset:4608
	s_wait_dscnt 0x2
	;;#ASMSTART
	v_dot2_f32_f16 v4, v24, v28, v4
	;;#ASMEND
	;;#ASMSTART
	v_dot2_f32_f16 v4, v25, v29, v4
	;;#ASMEND
	;;#ASMSTART
	v_dot2_f32_f16 v4, v26, v30, v4
	;;#ASMEND
	;;#ASMSTART
	v_dot2_f32_f16 v4, v27, v31, v4
	;;#ASMEND
	s_wait_dscnt 0x1
	;;#ASMSTART
	v_dot2_f32_f16 v37, v24, v32, v37
	;;#ASMEND
	;;#ASMSTART
	v_dot2_f32_f16 v37, v25, v33, v37
	;;#ASMEND
	;;#ASMSTART
	v_dot2_f32_f16 v37, v26, v34, v37
	;;#ASMEND
	;;#ASMSTART
	v_dot2_f32_f16 v37, v27, v35, v37
	;;#ASMEND
	s_wait_dscnt 0x0
	;;#ASMSTART
	v_dot2_f32_f16 v5, v40, v28, v5
	;;#ASMEND
	;;#ASMSTART
	v_dot2_f32_f16 v5, v41, v29, v5
	;;#ASMEND
	;;#ASMSTART
	v_dot2_f32_f16 v5, v42, v30, v5
	;;#ASMEND
	;;#ASMSTART
	v_dot2_f32_f16 v5, v43, v31, v5
	;;#ASMEND
	;;#ASMSTART
	v_dot2_f32_f16 v38, v40, v32, v38
	;;#ASMEND
	;;#ASMSTART
	v_dot2_f32_f16 v38, v41, v33, v38
	;;#ASMEND
	;;#ASMSTART
	v_dot2_f32_f16 v38, v42, v34, v38
	;;#ASMEND
	;;#ASMSTART
	v_dot2_f32_f16 v38, v43, v35, v38
	;;#ASMEND
	ds_load_b128 v[24:27], v87 offset:16
	ds_load_b128 v[28:31], v82 offset:144
	ds_load_b128 v[32:35], v82 offset:1296
	ds_load_b128 v[40:43], v87 offset:4624
	s_wait_dscnt 0x2
	;;#ASMSTART
	v_dot2_f32_f16 v4, v24, v28, v4
	;;#ASMEND
	;;#ASMSTART
	v_dot2_f32_f16 v4, v25, v29, v4
	;;#ASMEND
	;;#ASMSTART
	v_dot2_f32_f16 v4, v26, v30, v4
	;;#ASMEND
	;;#ASMSTART
	v_dot2_f32_f16 v4, v27, v31, v4
	;;#ASMEND
	s_wait_dscnt 0x1
	;;#ASMSTART
	v_dot2_f32_f16 v37, v24, v32, v37
	;;#ASMEND
	;;#ASMSTART
	v_dot2_f32_f16 v37, v25, v33, v37
	;;#ASMEND
	;;#ASMSTART
	v_dot2_f32_f16 v37, v26, v34, v37
	;;#ASMEND
	;;#ASMSTART
	v_dot2_f32_f16 v37, v27, v35, v37
	;;#ASMEND
	s_wait_dscnt 0x0
	;;#ASMSTART
	v_dot2_f32_f16 v5, v40, v28, v5
	;;#ASMEND
	;;#ASMSTART
	v_dot2_f32_f16 v5, v41, v29, v5
	;;#ASMEND
	;;#ASMSTART
	v_dot2_f32_f16 v5, v42, v30, v5
	;;#ASMEND
	;;#ASMSTART
	v_dot2_f32_f16 v5, v43, v31, v5
	;;#ASMEND
	;;#ASMSTART
	v_dot2_f32_f16 v38, v40, v32, v38
	;;#ASMEND
	;;#ASMSTART
	v_dot2_f32_f16 v38, v41, v33, v38
	;;#ASMEND
	;;#ASMSTART
	v_dot2_f32_f16 v38, v42, v34, v38
	;;#ASMEND
	;;#ASMSTART
	v_dot2_f32_f16 v38, v43, v35, v38
	;;#ASMEND
	ds_load_b128 v[24:27], v87 offset:32
	;; [unrolled: 55-line block ×7, first 2 shown]
	ds_load_b128 v[28:31], v82 offset:240
	ds_load_b128 v[32:35], v82 offset:1392
	;; [unrolled: 1-line block ×3, first 2 shown]
	s_wait_dscnt 0x2
	;;#ASMSTART
	v_dot2_f32_f16 v4, v24, v28, v4
	;;#ASMEND
	;;#ASMSTART
	v_dot2_f32_f16 v4, v25, v29, v4
	;;#ASMEND
	;;#ASMSTART
	v_dot2_f32_f16 v4, v26, v30, v4
	;;#ASMEND
	;;#ASMSTART
	v_dot2_f32_f16 v4, v27, v31, v4
	;;#ASMEND
	s_wait_dscnt 0x1
	;;#ASMSTART
	v_dot2_f32_f16 v37, v24, v32, v37
	;;#ASMEND
	;;#ASMSTART
	v_dot2_f32_f16 v37, v25, v33, v37
	;;#ASMEND
	;;#ASMSTART
	v_dot2_f32_f16 v37, v26, v34, v37
	;;#ASMEND
	;;#ASMSTART
	v_dot2_f32_f16 v37, v27, v35, v37
	;;#ASMEND
	s_wait_dscnt 0x0
	;;#ASMSTART
	v_dot2_f32_f16 v5, v40, v28, v5
	;;#ASMEND
	;;#ASMSTART
	v_dot2_f32_f16 v5, v41, v29, v5
	;;#ASMEND
	;;#ASMSTART
	v_dot2_f32_f16 v5, v42, v30, v5
	;;#ASMEND
	;;#ASMSTART
	v_dot2_f32_f16 v5, v43, v31, v5
	;;#ASMEND
	;;#ASMSTART
	v_dot2_f32_f16 v38, v40, v32, v38
	;;#ASMEND
	;;#ASMSTART
	v_dot2_f32_f16 v38, v41, v33, v38
	;;#ASMEND
	;; [unrolled: 3-line block ×4, first 2 shown]
	s_barrier_signal -1
	s_barrier_wait -1
	s_clause 0x1
	global_load_b128 v[24:27], v[0:1], off offset:256
	global_load_b128 v[28:31], v[2:3], off offset:256
	s_wait_loadcnt 0x1
	ds_store_b128 v85, v[24:27]
	s_wait_loadcnt 0x0
	ds_store_b128 v86, v[28:31]
	s_wait_dscnt 0x0
	s_barrier_signal -1
	s_barrier_wait -1
	ds_load_b128 v[24:27], v87
	ds_load_b128 v[28:31], v82 offset:256
	ds_load_b128 v[32:35], v82 offset:1408
	ds_load_b128 v[40:43], v87 offset:4608
	s_wait_dscnt 0x2
	;;#ASMSTART
	v_dot2_f32_f16 v4, v24, v28, v4
	;;#ASMEND
	;;#ASMSTART
	v_dot2_f32_f16 v4, v25, v29, v4
	;;#ASMEND
	;;#ASMSTART
	v_dot2_f32_f16 v4, v26, v30, v4
	;;#ASMEND
	;;#ASMSTART
	v_dot2_f32_f16 v4, v27, v31, v4
	;;#ASMEND
	s_wait_dscnt 0x1
	;;#ASMSTART
	v_dot2_f32_f16 v37, v24, v32, v37
	;;#ASMEND
	;;#ASMSTART
	v_dot2_f32_f16 v37, v25, v33, v37
	;;#ASMEND
	;;#ASMSTART
	v_dot2_f32_f16 v37, v26, v34, v37
	;;#ASMEND
	;;#ASMSTART
	v_dot2_f32_f16 v37, v27, v35, v37
	;;#ASMEND
	s_wait_dscnt 0x0
	;;#ASMSTART
	v_dot2_f32_f16 v5, v40, v28, v5
	;;#ASMEND
	;;#ASMSTART
	v_dot2_f32_f16 v5, v41, v29, v5
	;;#ASMEND
	;;#ASMSTART
	v_dot2_f32_f16 v5, v42, v30, v5
	;;#ASMEND
	;;#ASMSTART
	v_dot2_f32_f16 v5, v43, v31, v5
	;;#ASMEND
	;;#ASMSTART
	v_dot2_f32_f16 v38, v40, v32, v38
	;;#ASMEND
	;;#ASMSTART
	v_dot2_f32_f16 v38, v41, v33, v38
	;;#ASMEND
	;;#ASMSTART
	v_dot2_f32_f16 v38, v42, v34, v38
	;;#ASMEND
	;;#ASMSTART
	v_dot2_f32_f16 v38, v43, v35, v38
	;;#ASMEND
	ds_load_b128 v[24:27], v87 offset:16
	ds_load_b128 v[28:31], v82 offset:272
	ds_load_b128 v[32:35], v82 offset:1424
	ds_load_b128 v[40:43], v87 offset:4624
	s_wait_dscnt 0x2
	;;#ASMSTART
	v_dot2_f32_f16 v4, v24, v28, v4
	;;#ASMEND
	;;#ASMSTART
	v_dot2_f32_f16 v4, v25, v29, v4
	;;#ASMEND
	;;#ASMSTART
	v_dot2_f32_f16 v4, v26, v30, v4
	;;#ASMEND
	;;#ASMSTART
	v_dot2_f32_f16 v4, v27, v31, v4
	;;#ASMEND
	s_wait_dscnt 0x1
	;;#ASMSTART
	v_dot2_f32_f16 v37, v24, v32, v37
	;;#ASMEND
	;;#ASMSTART
	v_dot2_f32_f16 v37, v25, v33, v37
	;;#ASMEND
	;;#ASMSTART
	v_dot2_f32_f16 v37, v26, v34, v37
	;;#ASMEND
	;;#ASMSTART
	v_dot2_f32_f16 v37, v27, v35, v37
	;;#ASMEND
	s_wait_dscnt 0x0
	;;#ASMSTART
	v_dot2_f32_f16 v5, v40, v28, v5
	;;#ASMEND
	;;#ASMSTART
	v_dot2_f32_f16 v5, v41, v29, v5
	;;#ASMEND
	;;#ASMSTART
	v_dot2_f32_f16 v5, v42, v30, v5
	;;#ASMEND
	;;#ASMSTART
	v_dot2_f32_f16 v5, v43, v31, v5
	;;#ASMEND
	;;#ASMSTART
	v_dot2_f32_f16 v38, v40, v32, v38
	;;#ASMEND
	;;#ASMSTART
	v_dot2_f32_f16 v38, v41, v33, v38
	;;#ASMEND
	;;#ASMSTART
	v_dot2_f32_f16 v38, v42, v34, v38
	;;#ASMEND
	;;#ASMSTART
	v_dot2_f32_f16 v38, v43, v35, v38
	;;#ASMEND
	ds_load_b128 v[24:27], v87 offset:32
	;; [unrolled: 55-line block ×7, first 2 shown]
	ds_load_b128 v[28:31], v82 offset:368
	ds_load_b128 v[32:35], v82 offset:1520
	ds_load_b128 v[40:43], v87 offset:4720
	s_wait_dscnt 0x2
	;;#ASMSTART
	v_dot2_f32_f16 v4, v24, v28, v4
	;;#ASMEND
	;;#ASMSTART
	v_dot2_f32_f16 v4, v25, v29, v4
	;;#ASMEND
	;;#ASMSTART
	v_dot2_f32_f16 v4, v26, v30, v4
	;;#ASMEND
	;;#ASMSTART
	v_dot2_f32_f16 v4, v27, v31, v4
	;;#ASMEND
	s_wait_dscnt 0x1
	;;#ASMSTART
	v_dot2_f32_f16 v37, v24, v32, v37
	;;#ASMEND
	;;#ASMSTART
	v_dot2_f32_f16 v37, v25, v33, v37
	;;#ASMEND
	;;#ASMSTART
	v_dot2_f32_f16 v37, v26, v34, v37
	;;#ASMEND
	;;#ASMSTART
	v_dot2_f32_f16 v37, v27, v35, v37
	;;#ASMEND
	;; [unrolled: 13-line block ×3, first 2 shown]
	;;#ASMSTART
	v_dot2_f32_f16 v38, v40, v32, v38
	;;#ASMEND
	;;#ASMSTART
	v_dot2_f32_f16 v38, v41, v33, v38
	;;#ASMEND
	;;#ASMSTART
	v_dot2_f32_f16 v38, v42, v34, v38
	;;#ASMEND
	;;#ASMSTART
	v_dot2_f32_f16 v38, v43, v35, v38
	;;#ASMEND
	s_barrier_signal -1
	s_barrier_wait -1
	s_clause 0x1
	global_load_b128 v[24:27], v[0:1], off offset:384
	global_load_b128 v[28:31], v[2:3], off offset:384
	s_wait_loadcnt 0x1
	ds_store_b128 v85, v[24:27]
	s_wait_loadcnt 0x0
	ds_store_b128 v86, v[28:31]
	s_wait_dscnt 0x0
	s_barrier_signal -1
	s_barrier_wait -1
	ds_load_b128 v[24:27], v87
	ds_load_b128 v[28:31], v82 offset:384
	ds_load_b128 v[32:35], v82 offset:1536
	ds_load_b128 v[40:43], v87 offset:4608
	s_wait_dscnt 0x2
	;;#ASMSTART
	v_dot2_f32_f16 v4, v24, v28, v4
	;;#ASMEND
	;;#ASMSTART
	v_dot2_f32_f16 v4, v25, v29, v4
	;;#ASMEND
	;;#ASMSTART
	v_dot2_f32_f16 v4, v26, v30, v4
	;;#ASMEND
	;;#ASMSTART
	v_dot2_f32_f16 v4, v27, v31, v4
	;;#ASMEND
	s_wait_dscnt 0x1
	;;#ASMSTART
	v_dot2_f32_f16 v37, v24, v32, v37
	;;#ASMEND
	;;#ASMSTART
	v_dot2_f32_f16 v37, v25, v33, v37
	;;#ASMEND
	;;#ASMSTART
	v_dot2_f32_f16 v37, v26, v34, v37
	;;#ASMEND
	;;#ASMSTART
	v_dot2_f32_f16 v37, v27, v35, v37
	;;#ASMEND
	s_wait_dscnt 0x0
	;;#ASMSTART
	v_dot2_f32_f16 v5, v40, v28, v5
	;;#ASMEND
	;;#ASMSTART
	v_dot2_f32_f16 v5, v41, v29, v5
	;;#ASMEND
	;;#ASMSTART
	v_dot2_f32_f16 v5, v42, v30, v5
	;;#ASMEND
	;;#ASMSTART
	v_dot2_f32_f16 v5, v43, v31, v5
	;;#ASMEND
	;;#ASMSTART
	v_dot2_f32_f16 v38, v40, v32, v38
	;;#ASMEND
	;;#ASMSTART
	v_dot2_f32_f16 v38, v41, v33, v38
	;;#ASMEND
	;;#ASMSTART
	v_dot2_f32_f16 v38, v42, v34, v38
	;;#ASMEND
	;;#ASMSTART
	v_dot2_f32_f16 v38, v43, v35, v38
	;;#ASMEND
	ds_load_b128 v[24:27], v87 offset:16
	ds_load_b128 v[28:31], v82 offset:400
	ds_load_b128 v[32:35], v82 offset:1552
	ds_load_b128 v[40:43], v87 offset:4624
	s_wait_dscnt 0x2
	;;#ASMSTART
	v_dot2_f32_f16 v4, v24, v28, v4
	;;#ASMEND
	;;#ASMSTART
	v_dot2_f32_f16 v4, v25, v29, v4
	;;#ASMEND
	;;#ASMSTART
	v_dot2_f32_f16 v4, v26, v30, v4
	;;#ASMEND
	;;#ASMSTART
	v_dot2_f32_f16 v4, v27, v31, v4
	;;#ASMEND
	s_wait_dscnt 0x1
	;;#ASMSTART
	v_dot2_f32_f16 v37, v24, v32, v37
	;;#ASMEND
	;;#ASMSTART
	v_dot2_f32_f16 v37, v25, v33, v37
	;;#ASMEND
	;;#ASMSTART
	v_dot2_f32_f16 v37, v26, v34, v37
	;;#ASMEND
	;;#ASMSTART
	v_dot2_f32_f16 v37, v27, v35, v37
	;;#ASMEND
	s_wait_dscnt 0x0
	;;#ASMSTART
	v_dot2_f32_f16 v5, v40, v28, v5
	;;#ASMEND
	;;#ASMSTART
	v_dot2_f32_f16 v5, v41, v29, v5
	;;#ASMEND
	;;#ASMSTART
	v_dot2_f32_f16 v5, v42, v30, v5
	;;#ASMEND
	;;#ASMSTART
	v_dot2_f32_f16 v5, v43, v31, v5
	;;#ASMEND
	;;#ASMSTART
	v_dot2_f32_f16 v38, v40, v32, v38
	;;#ASMEND
	;;#ASMSTART
	v_dot2_f32_f16 v38, v41, v33, v38
	;;#ASMEND
	;;#ASMSTART
	v_dot2_f32_f16 v38, v42, v34, v38
	;;#ASMEND
	;;#ASMSTART
	v_dot2_f32_f16 v38, v43, v35, v38
	;;#ASMEND
	ds_load_b128 v[24:27], v87 offset:32
	;; [unrolled: 55-line block ×7, first 2 shown]
	ds_load_b128 v[28:31], v82 offset:496
	ds_load_b128 v[32:35], v82 offset:1648
	;; [unrolled: 1-line block ×3, first 2 shown]
	s_wait_dscnt 0x2
	;;#ASMSTART
	v_dot2_f32_f16 v4, v24, v28, v4
	;;#ASMEND
	;;#ASMSTART
	v_dot2_f32_f16 v4, v25, v29, v4
	;;#ASMEND
	;;#ASMSTART
	v_dot2_f32_f16 v4, v26, v30, v4
	;;#ASMEND
	;;#ASMSTART
	v_dot2_f32_f16 v4, v27, v31, v4
	;;#ASMEND
	s_wait_dscnt 0x1
	;;#ASMSTART
	v_dot2_f32_f16 v37, v24, v32, v37
	;;#ASMEND
	;;#ASMSTART
	v_dot2_f32_f16 v37, v25, v33, v37
	;;#ASMEND
	;;#ASMSTART
	v_dot2_f32_f16 v37, v26, v34, v37
	;;#ASMEND
	;;#ASMSTART
	v_dot2_f32_f16 v37, v27, v35, v37
	;;#ASMEND
	;; [unrolled: 13-line block ×3, first 2 shown]
	;;#ASMSTART
	v_dot2_f32_f16 v38, v40, v32, v38
	;;#ASMEND
	;;#ASMSTART
	v_dot2_f32_f16 v38, v41, v33, v38
	;;#ASMEND
	;; [unrolled: 3-line block ×4, first 2 shown]
	s_barrier_signal -1
	s_barrier_wait -1
	s_clause 0x1
	global_load_b128 v[24:27], v[0:1], off offset:512
	global_load_b128 v[28:31], v[2:3], off offset:512
	s_wait_loadcnt 0x1
	ds_store_b128 v85, v[24:27]
	s_wait_loadcnt 0x0
	ds_store_b128 v86, v[28:31]
	s_wait_dscnt 0x0
	s_barrier_signal -1
	s_barrier_wait -1
	ds_load_b128 v[24:27], v87
	ds_load_b128 v[28:31], v82 offset:512
	ds_load_b128 v[32:35], v82 offset:1664
	ds_load_b128 v[40:43], v87 offset:4608
	s_wait_dscnt 0x2
	;;#ASMSTART
	v_dot2_f32_f16 v4, v24, v28, v4
	;;#ASMEND
	;;#ASMSTART
	v_dot2_f32_f16 v4, v25, v29, v4
	;;#ASMEND
	;;#ASMSTART
	v_dot2_f32_f16 v4, v26, v30, v4
	;;#ASMEND
	;;#ASMSTART
	v_dot2_f32_f16 v4, v27, v31, v4
	;;#ASMEND
	s_wait_dscnt 0x1
	;;#ASMSTART
	v_dot2_f32_f16 v37, v24, v32, v37
	;;#ASMEND
	;;#ASMSTART
	v_dot2_f32_f16 v37, v25, v33, v37
	;;#ASMEND
	;;#ASMSTART
	v_dot2_f32_f16 v37, v26, v34, v37
	;;#ASMEND
	;;#ASMSTART
	v_dot2_f32_f16 v37, v27, v35, v37
	;;#ASMEND
	s_wait_dscnt 0x0
	;;#ASMSTART
	v_dot2_f32_f16 v5, v40, v28, v5
	;;#ASMEND
	;;#ASMSTART
	v_dot2_f32_f16 v5, v41, v29, v5
	;;#ASMEND
	;;#ASMSTART
	v_dot2_f32_f16 v5, v42, v30, v5
	;;#ASMEND
	;;#ASMSTART
	v_dot2_f32_f16 v5, v43, v31, v5
	;;#ASMEND
	;;#ASMSTART
	v_dot2_f32_f16 v38, v40, v32, v38
	;;#ASMEND
	;;#ASMSTART
	v_dot2_f32_f16 v38, v41, v33, v38
	;;#ASMEND
	;;#ASMSTART
	v_dot2_f32_f16 v38, v42, v34, v38
	;;#ASMEND
	;;#ASMSTART
	v_dot2_f32_f16 v38, v43, v35, v38
	;;#ASMEND
	ds_load_b128 v[24:27], v87 offset:16
	ds_load_b128 v[28:31], v82 offset:528
	ds_load_b128 v[32:35], v82 offset:1680
	ds_load_b128 v[40:43], v87 offset:4624
	s_wait_dscnt 0x2
	;;#ASMSTART
	v_dot2_f32_f16 v4, v24, v28, v4
	;;#ASMEND
	;;#ASMSTART
	v_dot2_f32_f16 v4, v25, v29, v4
	;;#ASMEND
	;;#ASMSTART
	v_dot2_f32_f16 v4, v26, v30, v4
	;;#ASMEND
	;;#ASMSTART
	v_dot2_f32_f16 v4, v27, v31, v4
	;;#ASMEND
	s_wait_dscnt 0x1
	;;#ASMSTART
	v_dot2_f32_f16 v37, v24, v32, v37
	;;#ASMEND
	;;#ASMSTART
	v_dot2_f32_f16 v37, v25, v33, v37
	;;#ASMEND
	;;#ASMSTART
	v_dot2_f32_f16 v37, v26, v34, v37
	;;#ASMEND
	;;#ASMSTART
	v_dot2_f32_f16 v37, v27, v35, v37
	;;#ASMEND
	s_wait_dscnt 0x0
	;;#ASMSTART
	v_dot2_f32_f16 v5, v40, v28, v5
	;;#ASMEND
	;;#ASMSTART
	v_dot2_f32_f16 v5, v41, v29, v5
	;;#ASMEND
	;;#ASMSTART
	v_dot2_f32_f16 v5, v42, v30, v5
	;;#ASMEND
	;;#ASMSTART
	v_dot2_f32_f16 v5, v43, v31, v5
	;;#ASMEND
	;;#ASMSTART
	v_dot2_f32_f16 v38, v40, v32, v38
	;;#ASMEND
	;;#ASMSTART
	v_dot2_f32_f16 v38, v41, v33, v38
	;;#ASMEND
	;;#ASMSTART
	v_dot2_f32_f16 v38, v42, v34, v38
	;;#ASMEND
	;;#ASMSTART
	v_dot2_f32_f16 v38, v43, v35, v38
	;;#ASMEND
	ds_load_b128 v[24:27], v87 offset:32
	;; [unrolled: 55-line block ×7, first 2 shown]
	ds_load_b128 v[28:31], v82 offset:624
	ds_load_b128 v[32:35], v82 offset:1776
	;; [unrolled: 1-line block ×3, first 2 shown]
	s_wait_dscnt 0x2
	;;#ASMSTART
	v_dot2_f32_f16 v4, v24, v28, v4
	;;#ASMEND
	;;#ASMSTART
	v_dot2_f32_f16 v4, v25, v29, v4
	;;#ASMEND
	;;#ASMSTART
	v_dot2_f32_f16 v4, v26, v30, v4
	;;#ASMEND
	;;#ASMSTART
	v_dot2_f32_f16 v4, v27, v31, v4
	;;#ASMEND
	s_wait_dscnt 0x1
	;;#ASMSTART
	v_dot2_f32_f16 v37, v24, v32, v37
	;;#ASMEND
	;;#ASMSTART
	v_dot2_f32_f16 v37, v25, v33, v37
	;;#ASMEND
	;;#ASMSTART
	v_dot2_f32_f16 v37, v26, v34, v37
	;;#ASMEND
	;;#ASMSTART
	v_dot2_f32_f16 v37, v27, v35, v37
	;;#ASMEND
	;; [unrolled: 13-line block ×3, first 2 shown]
	;;#ASMSTART
	v_dot2_f32_f16 v38, v40, v32, v38
	;;#ASMEND
	;;#ASMSTART
	v_dot2_f32_f16 v38, v41, v33, v38
	;;#ASMEND
	;; [unrolled: 3-line block ×4, first 2 shown]
	s_barrier_signal -1
	s_barrier_wait -1
	s_clause 0x1
	global_load_b128 v[24:27], v[0:1], off offset:640
	global_load_b128 v[28:31], v[2:3], off offset:640
	s_wait_loadcnt 0x1
	ds_store_b128 v85, v[24:27]
	s_wait_loadcnt 0x0
	ds_store_b128 v86, v[28:31]
	s_wait_dscnt 0x0
	s_barrier_signal -1
	s_barrier_wait -1
	ds_load_b128 v[24:27], v87
	ds_load_b128 v[28:31], v82 offset:640
	ds_load_b128 v[32:35], v82 offset:1792
	ds_load_b128 v[40:43], v87 offset:4608
	s_wait_dscnt 0x2
	;;#ASMSTART
	v_dot2_f32_f16 v4, v24, v28, v4
	;;#ASMEND
	;;#ASMSTART
	v_dot2_f32_f16 v4, v25, v29, v4
	;;#ASMEND
	;;#ASMSTART
	v_dot2_f32_f16 v4, v26, v30, v4
	;;#ASMEND
	;;#ASMSTART
	v_dot2_f32_f16 v4, v27, v31, v4
	;;#ASMEND
	s_wait_dscnt 0x1
	;;#ASMSTART
	v_dot2_f32_f16 v37, v24, v32, v37
	;;#ASMEND
	;;#ASMSTART
	v_dot2_f32_f16 v37, v25, v33, v37
	;;#ASMEND
	;;#ASMSTART
	v_dot2_f32_f16 v37, v26, v34, v37
	;;#ASMEND
	;;#ASMSTART
	v_dot2_f32_f16 v37, v27, v35, v37
	;;#ASMEND
	s_wait_dscnt 0x0
	;;#ASMSTART
	v_dot2_f32_f16 v5, v40, v28, v5
	;;#ASMEND
	;;#ASMSTART
	v_dot2_f32_f16 v5, v41, v29, v5
	;;#ASMEND
	;;#ASMSTART
	v_dot2_f32_f16 v5, v42, v30, v5
	;;#ASMEND
	;;#ASMSTART
	v_dot2_f32_f16 v5, v43, v31, v5
	;;#ASMEND
	;;#ASMSTART
	v_dot2_f32_f16 v38, v40, v32, v38
	;;#ASMEND
	;;#ASMSTART
	v_dot2_f32_f16 v38, v41, v33, v38
	;;#ASMEND
	;;#ASMSTART
	v_dot2_f32_f16 v38, v42, v34, v38
	;;#ASMEND
	;;#ASMSTART
	v_dot2_f32_f16 v38, v43, v35, v38
	;;#ASMEND
	ds_load_b128 v[24:27], v87 offset:16
	ds_load_b128 v[28:31], v82 offset:656
	ds_load_b128 v[32:35], v82 offset:1808
	ds_load_b128 v[40:43], v87 offset:4624
	s_wait_dscnt 0x2
	;;#ASMSTART
	v_dot2_f32_f16 v4, v24, v28, v4
	;;#ASMEND
	;;#ASMSTART
	v_dot2_f32_f16 v4, v25, v29, v4
	;;#ASMEND
	;;#ASMSTART
	v_dot2_f32_f16 v4, v26, v30, v4
	;;#ASMEND
	;;#ASMSTART
	v_dot2_f32_f16 v4, v27, v31, v4
	;;#ASMEND
	s_wait_dscnt 0x1
	;;#ASMSTART
	v_dot2_f32_f16 v37, v24, v32, v37
	;;#ASMEND
	;;#ASMSTART
	v_dot2_f32_f16 v37, v25, v33, v37
	;;#ASMEND
	;;#ASMSTART
	v_dot2_f32_f16 v37, v26, v34, v37
	;;#ASMEND
	;;#ASMSTART
	v_dot2_f32_f16 v37, v27, v35, v37
	;;#ASMEND
	s_wait_dscnt 0x0
	;;#ASMSTART
	v_dot2_f32_f16 v5, v40, v28, v5
	;;#ASMEND
	;;#ASMSTART
	v_dot2_f32_f16 v5, v41, v29, v5
	;;#ASMEND
	;;#ASMSTART
	v_dot2_f32_f16 v5, v42, v30, v5
	;;#ASMEND
	;;#ASMSTART
	v_dot2_f32_f16 v5, v43, v31, v5
	;;#ASMEND
	;;#ASMSTART
	v_dot2_f32_f16 v38, v40, v32, v38
	;;#ASMEND
	;;#ASMSTART
	v_dot2_f32_f16 v38, v41, v33, v38
	;;#ASMEND
	;;#ASMSTART
	v_dot2_f32_f16 v38, v42, v34, v38
	;;#ASMEND
	;;#ASMSTART
	v_dot2_f32_f16 v38, v43, v35, v38
	;;#ASMEND
	ds_load_b128 v[24:27], v87 offset:32
	;; [unrolled: 55-line block ×7, first 2 shown]
	ds_load_b128 v[28:31], v82 offset:752
	ds_load_b128 v[32:35], v82 offset:1904
	;; [unrolled: 1-line block ×3, first 2 shown]
	s_wait_dscnt 0x2
	;;#ASMSTART
	v_dot2_f32_f16 v4, v24, v28, v4
	;;#ASMEND
	;;#ASMSTART
	v_dot2_f32_f16 v4, v25, v29, v4
	;;#ASMEND
	;;#ASMSTART
	v_dot2_f32_f16 v4, v26, v30, v4
	;;#ASMEND
	;;#ASMSTART
	v_dot2_f32_f16 v4, v27, v31, v4
	;;#ASMEND
	s_wait_dscnt 0x1
	;;#ASMSTART
	v_dot2_f32_f16 v37, v24, v32, v37
	;;#ASMEND
	;;#ASMSTART
	v_dot2_f32_f16 v37, v25, v33, v37
	;;#ASMEND
	;;#ASMSTART
	v_dot2_f32_f16 v37, v26, v34, v37
	;;#ASMEND
	;;#ASMSTART
	v_dot2_f32_f16 v37, v27, v35, v37
	;;#ASMEND
	s_wait_dscnt 0x0
	;;#ASMSTART
	v_dot2_f32_f16 v5, v40, v28, v5
	;;#ASMEND
	;;#ASMSTART
	v_dot2_f32_f16 v5, v41, v29, v5
	;;#ASMEND
	;;#ASMSTART
	v_dot2_f32_f16 v5, v42, v30, v5
	;;#ASMEND
	;;#ASMSTART
	v_dot2_f32_f16 v5, v43, v31, v5
	;;#ASMEND
	;;#ASMSTART
	v_dot2_f32_f16 v38, v40, v32, v38
	;;#ASMEND
	;;#ASMSTART
	v_dot2_f32_f16 v38, v41, v33, v38
	;;#ASMEND
	;; [unrolled: 3-line block ×4, first 2 shown]
	s_barrier_signal -1
	s_barrier_wait -1
	s_clause 0x1
	global_load_b128 v[24:27], v[0:1], off offset:768
	global_load_b128 v[28:31], v[2:3], off offset:768
	s_wait_loadcnt 0x1
	ds_store_b128 v85, v[24:27]
	s_wait_loadcnt 0x0
	ds_store_b128 v86, v[28:31]
	s_wait_dscnt 0x0
	s_barrier_signal -1
	s_barrier_wait -1
	ds_load_b128 v[24:27], v87
	ds_load_b128 v[28:31], v82 offset:768
	ds_load_b128 v[32:35], v82 offset:1920
	ds_load_b128 v[40:43], v87 offset:4608
	s_wait_dscnt 0x2
	;;#ASMSTART
	v_dot2_f32_f16 v4, v24, v28, v4
	;;#ASMEND
	;;#ASMSTART
	v_dot2_f32_f16 v4, v25, v29, v4
	;;#ASMEND
	;;#ASMSTART
	v_dot2_f32_f16 v4, v26, v30, v4
	;;#ASMEND
	;;#ASMSTART
	v_dot2_f32_f16 v4, v27, v31, v4
	;;#ASMEND
	s_wait_dscnt 0x1
	;;#ASMSTART
	v_dot2_f32_f16 v37, v24, v32, v37
	;;#ASMEND
	;;#ASMSTART
	v_dot2_f32_f16 v37, v25, v33, v37
	;;#ASMEND
	;;#ASMSTART
	v_dot2_f32_f16 v37, v26, v34, v37
	;;#ASMEND
	;;#ASMSTART
	v_dot2_f32_f16 v37, v27, v35, v37
	;;#ASMEND
	s_wait_dscnt 0x0
	;;#ASMSTART
	v_dot2_f32_f16 v5, v40, v28, v5
	;;#ASMEND
	;;#ASMSTART
	v_dot2_f32_f16 v5, v41, v29, v5
	;;#ASMEND
	;;#ASMSTART
	v_dot2_f32_f16 v5, v42, v30, v5
	;;#ASMEND
	;;#ASMSTART
	v_dot2_f32_f16 v5, v43, v31, v5
	;;#ASMEND
	;;#ASMSTART
	v_dot2_f32_f16 v38, v40, v32, v38
	;;#ASMEND
	;;#ASMSTART
	v_dot2_f32_f16 v38, v41, v33, v38
	;;#ASMEND
	;;#ASMSTART
	v_dot2_f32_f16 v38, v42, v34, v38
	;;#ASMEND
	;;#ASMSTART
	v_dot2_f32_f16 v38, v43, v35, v38
	;;#ASMEND
	ds_load_b128 v[24:27], v87 offset:16
	ds_load_b128 v[28:31], v82 offset:784
	ds_load_b128 v[32:35], v82 offset:1936
	ds_load_b128 v[40:43], v87 offset:4624
	s_wait_dscnt 0x2
	;;#ASMSTART
	v_dot2_f32_f16 v4, v24, v28, v4
	;;#ASMEND
	;;#ASMSTART
	v_dot2_f32_f16 v4, v25, v29, v4
	;;#ASMEND
	;;#ASMSTART
	v_dot2_f32_f16 v4, v26, v30, v4
	;;#ASMEND
	;;#ASMSTART
	v_dot2_f32_f16 v4, v27, v31, v4
	;;#ASMEND
	s_wait_dscnt 0x1
	;;#ASMSTART
	v_dot2_f32_f16 v37, v24, v32, v37
	;;#ASMEND
	;;#ASMSTART
	v_dot2_f32_f16 v37, v25, v33, v37
	;;#ASMEND
	;;#ASMSTART
	v_dot2_f32_f16 v37, v26, v34, v37
	;;#ASMEND
	;;#ASMSTART
	v_dot2_f32_f16 v37, v27, v35, v37
	;;#ASMEND
	s_wait_dscnt 0x0
	;;#ASMSTART
	v_dot2_f32_f16 v5, v40, v28, v5
	;;#ASMEND
	;;#ASMSTART
	v_dot2_f32_f16 v5, v41, v29, v5
	;;#ASMEND
	;;#ASMSTART
	v_dot2_f32_f16 v5, v42, v30, v5
	;;#ASMEND
	;;#ASMSTART
	v_dot2_f32_f16 v5, v43, v31, v5
	;;#ASMEND
	;;#ASMSTART
	v_dot2_f32_f16 v38, v40, v32, v38
	;;#ASMEND
	;;#ASMSTART
	v_dot2_f32_f16 v38, v41, v33, v38
	;;#ASMEND
	;;#ASMSTART
	v_dot2_f32_f16 v38, v42, v34, v38
	;;#ASMEND
	;;#ASMSTART
	v_dot2_f32_f16 v38, v43, v35, v38
	;;#ASMEND
	ds_load_b128 v[24:27], v87 offset:32
	;; [unrolled: 55-line block ×7, first 2 shown]
	ds_load_b128 v[28:31], v82 offset:880
	ds_load_b128 v[32:35], v82 offset:2032
	;; [unrolled: 1-line block ×3, first 2 shown]
	s_wait_dscnt 0x2
	;;#ASMSTART
	v_dot2_f32_f16 v4, v24, v28, v4
	;;#ASMEND
	;;#ASMSTART
	v_dot2_f32_f16 v4, v25, v29, v4
	;;#ASMEND
	;;#ASMSTART
	v_dot2_f32_f16 v4, v26, v30, v4
	;;#ASMEND
	;;#ASMSTART
	v_dot2_f32_f16 v4, v27, v31, v4
	;;#ASMEND
	s_wait_dscnt 0x1
	;;#ASMSTART
	v_dot2_f32_f16 v37, v24, v32, v37
	;;#ASMEND
	;;#ASMSTART
	v_dot2_f32_f16 v37, v25, v33, v37
	;;#ASMEND
	;;#ASMSTART
	v_dot2_f32_f16 v37, v26, v34, v37
	;;#ASMEND
	;;#ASMSTART
	v_dot2_f32_f16 v37, v27, v35, v37
	;;#ASMEND
	;; [unrolled: 13-line block ×3, first 2 shown]
	;;#ASMSTART
	v_dot2_f32_f16 v38, v40, v32, v38
	;;#ASMEND
	;;#ASMSTART
	v_dot2_f32_f16 v38, v41, v33, v38
	;;#ASMEND
	;;#ASMSTART
	v_dot2_f32_f16 v38, v42, v34, v38
	;;#ASMEND
	;;#ASMSTART
	v_dot2_f32_f16 v38, v43, v35, v38
	;;#ASMEND
	s_barrier_signal -1
	s_barrier_wait -1
	s_clause 0x1
	global_load_b128 v[24:27], v[0:1], off offset:896
	global_load_b128 v[28:31], v[2:3], off offset:896
	s_wait_loadcnt 0x1
	ds_store_b128 v85, v[24:27]
	s_wait_loadcnt 0x0
	ds_store_b128 v86, v[28:31]
	s_wait_dscnt 0x0
	s_barrier_signal -1
	s_barrier_wait -1
	ds_load_b128 v[24:27], v87
	ds_load_b128 v[28:31], v82 offset:896
	ds_load_b128 v[32:35], v82 offset:2048
	ds_load_b128 v[40:43], v87 offset:4608
	s_wait_dscnt 0x2
	;;#ASMSTART
	v_dot2_f32_f16 v4, v24, v28, v4
	;;#ASMEND
	;;#ASMSTART
	v_dot2_f32_f16 v4, v25, v29, v4
	;;#ASMEND
	;;#ASMSTART
	v_dot2_f32_f16 v4, v26, v30, v4
	;;#ASMEND
	;;#ASMSTART
	v_dot2_f32_f16 v4, v27, v31, v4
	;;#ASMEND
	s_wait_dscnt 0x1
	;;#ASMSTART
	v_dot2_f32_f16 v37, v24, v32, v37
	;;#ASMEND
	;;#ASMSTART
	v_dot2_f32_f16 v37, v25, v33, v37
	;;#ASMEND
	;;#ASMSTART
	v_dot2_f32_f16 v37, v26, v34, v37
	;;#ASMEND
	;;#ASMSTART
	v_dot2_f32_f16 v37, v27, v35, v37
	;;#ASMEND
	s_wait_dscnt 0x0
	;;#ASMSTART
	v_dot2_f32_f16 v5, v40, v28, v5
	;;#ASMEND
	;;#ASMSTART
	v_dot2_f32_f16 v5, v41, v29, v5
	;;#ASMEND
	;;#ASMSTART
	v_dot2_f32_f16 v5, v42, v30, v5
	;;#ASMEND
	;;#ASMSTART
	v_dot2_f32_f16 v5, v43, v31, v5
	;;#ASMEND
	;;#ASMSTART
	v_dot2_f32_f16 v38, v40, v32, v38
	;;#ASMEND
	;;#ASMSTART
	v_dot2_f32_f16 v38, v41, v33, v38
	;;#ASMEND
	;;#ASMSTART
	v_dot2_f32_f16 v38, v42, v34, v38
	;;#ASMEND
	;;#ASMSTART
	v_dot2_f32_f16 v38, v43, v35, v38
	;;#ASMEND
	ds_load_b128 v[24:27], v87 offset:16
	ds_load_b128 v[28:31], v82 offset:912
	ds_load_b128 v[32:35], v82 offset:2064
	ds_load_b128 v[40:43], v87 offset:4624
	s_wait_dscnt 0x2
	;;#ASMSTART
	v_dot2_f32_f16 v4, v24, v28, v4
	;;#ASMEND
	;;#ASMSTART
	v_dot2_f32_f16 v4, v25, v29, v4
	;;#ASMEND
	;;#ASMSTART
	v_dot2_f32_f16 v4, v26, v30, v4
	;;#ASMEND
	;;#ASMSTART
	v_dot2_f32_f16 v4, v27, v31, v4
	;;#ASMEND
	s_wait_dscnt 0x1
	;;#ASMSTART
	v_dot2_f32_f16 v37, v24, v32, v37
	;;#ASMEND
	;;#ASMSTART
	v_dot2_f32_f16 v37, v25, v33, v37
	;;#ASMEND
	;;#ASMSTART
	v_dot2_f32_f16 v37, v26, v34, v37
	;;#ASMEND
	;;#ASMSTART
	v_dot2_f32_f16 v37, v27, v35, v37
	;;#ASMEND
	s_wait_dscnt 0x0
	;;#ASMSTART
	v_dot2_f32_f16 v5, v40, v28, v5
	;;#ASMEND
	;;#ASMSTART
	v_dot2_f32_f16 v5, v41, v29, v5
	;;#ASMEND
	;;#ASMSTART
	v_dot2_f32_f16 v5, v42, v30, v5
	;;#ASMEND
	;;#ASMSTART
	v_dot2_f32_f16 v5, v43, v31, v5
	;;#ASMEND
	;;#ASMSTART
	v_dot2_f32_f16 v38, v40, v32, v38
	;;#ASMEND
	;;#ASMSTART
	v_dot2_f32_f16 v38, v41, v33, v38
	;;#ASMEND
	;;#ASMSTART
	v_dot2_f32_f16 v38, v42, v34, v38
	;;#ASMEND
	;;#ASMSTART
	v_dot2_f32_f16 v38, v43, v35, v38
	;;#ASMEND
	ds_load_b128 v[24:27], v87 offset:32
	;; [unrolled: 55-line block ×7, first 2 shown]
	ds_load_b128 v[28:31], v82 offset:1008
	ds_load_b128 v[32:35], v82 offset:2160
	;; [unrolled: 1-line block ×3, first 2 shown]
	s_wait_dscnt 0x2
	;;#ASMSTART
	v_dot2_f32_f16 v4, v24, v28, v4
	;;#ASMEND
	;;#ASMSTART
	v_dot2_f32_f16 v4, v25, v29, v4
	;;#ASMEND
	;;#ASMSTART
	v_dot2_f32_f16 v4, v26, v30, v4
	;;#ASMEND
	;;#ASMSTART
	v_dot2_f32_f16 v4, v27, v31, v4
	;;#ASMEND
	s_wait_dscnt 0x1
	;;#ASMSTART
	v_dot2_f32_f16 v37, v24, v32, v37
	;;#ASMEND
	;;#ASMSTART
	v_dot2_f32_f16 v37, v25, v33, v37
	;;#ASMEND
	;;#ASMSTART
	v_dot2_f32_f16 v37, v26, v34, v37
	;;#ASMEND
	;;#ASMSTART
	v_dot2_f32_f16 v37, v27, v35, v37
	;;#ASMEND
	;; [unrolled: 13-line block ×3, first 2 shown]
	;;#ASMSTART
	v_dot2_f32_f16 v38, v40, v32, v38
	;;#ASMEND
	;;#ASMSTART
	v_dot2_f32_f16 v38, v41, v33, v38
	;;#ASMEND
	;; [unrolled: 3-line block ×4, first 2 shown]
	s_barrier_signal -1
	s_barrier_wait -1
	s_clause 0x1
	global_load_b128 v[24:27], v[0:1], off offset:1024
	global_load_b128 v[28:31], v[2:3], off offset:1024
	s_wait_loadcnt 0x1
	ds_store_b128 v85, v[24:27]
	s_wait_loadcnt 0x0
	ds_store_b128 v86, v[28:31]
	s_wait_dscnt 0x0
	s_barrier_signal -1
	s_barrier_wait -1
	ds_load_b128 v[0:3], v87
	ds_load_b128 v[24:27], v82 offset:1024
	ds_load_b128 v[28:31], v82 offset:2176
	ds_load_b128 v[32:35], v87 offset:4608
	s_wait_dscnt 0x2
	;;#ASMSTART
	v_dot2_f32_f16 v4, v0, v24, v4
	;;#ASMEND
	;;#ASMSTART
	v_dot2_f32_f16 v4, v1, v25, v4
	;;#ASMEND
	;;#ASMSTART
	v_dot2_f32_f16 v4, v2, v26, v4
	;;#ASMEND
	;;#ASMSTART
	v_dot2_f32_f16 v4, v3, v27, v4
	;;#ASMEND
	s_wait_dscnt 0x1
	;;#ASMSTART
	v_dot2_f32_f16 v37, v0, v28, v37
	;;#ASMEND
	;;#ASMSTART
	v_dot2_f32_f16 v37, v1, v29, v37
	;;#ASMEND
	;;#ASMSTART
	v_dot2_f32_f16 v37, v2, v30, v37
	;;#ASMEND
	;;#ASMSTART
	v_dot2_f32_f16 v37, v3, v31, v37
	;;#ASMEND
	s_wait_dscnt 0x0
	;;#ASMSTART
	v_dot2_f32_f16 v5, v32, v24, v5
	;;#ASMEND
	;;#ASMSTART
	v_dot2_f32_f16 v5, v33, v25, v5
	;;#ASMEND
	;;#ASMSTART
	v_dot2_f32_f16 v5, v34, v26, v5
	;;#ASMEND
	;;#ASMSTART
	v_dot2_f32_f16 v5, v35, v27, v5
	;;#ASMEND
	;;#ASMSTART
	v_dot2_f32_f16 v38, v32, v28, v38
	;;#ASMEND
	;;#ASMSTART
	v_dot2_f32_f16 v38, v33, v29, v38
	;;#ASMEND
	;;#ASMSTART
	v_dot2_f32_f16 v38, v34, v30, v38
	;;#ASMEND
	;;#ASMSTART
	v_dot2_f32_f16 v38, v35, v31, v38
	;;#ASMEND
	ds_load_b128 v[0:3], v87 offset:16
	ds_load_b128 v[24:27], v82 offset:1040
	ds_load_b128 v[28:31], v82 offset:2192
	ds_load_b128 v[32:35], v87 offset:4624
	s_wait_dscnt 0x2
	;;#ASMSTART
	v_dot2_f32_f16 v4, v0, v24, v4
	;;#ASMEND
	;;#ASMSTART
	v_dot2_f32_f16 v4, v1, v25, v4
	;;#ASMEND
	;;#ASMSTART
	v_dot2_f32_f16 v4, v2, v26, v4
	;;#ASMEND
	;;#ASMSTART
	v_dot2_f32_f16 v4, v3, v27, v4
	;;#ASMEND
	s_wait_dscnt 0x1
	;;#ASMSTART
	v_dot2_f32_f16 v37, v0, v28, v37
	;;#ASMEND
	;;#ASMSTART
	v_dot2_f32_f16 v37, v1, v29, v37
	;;#ASMEND
	;;#ASMSTART
	v_dot2_f32_f16 v37, v2, v30, v37
	;;#ASMEND
	;;#ASMSTART
	v_dot2_f32_f16 v37, v3, v31, v37
	;;#ASMEND
	s_wait_dscnt 0x0
	;;#ASMSTART
	v_dot2_f32_f16 v5, v32, v24, v5
	;;#ASMEND
	;;#ASMSTART
	v_dot2_f32_f16 v5, v33, v25, v5
	;;#ASMEND
	;;#ASMSTART
	v_dot2_f32_f16 v5, v34, v26, v5
	;;#ASMEND
	;;#ASMSTART
	v_dot2_f32_f16 v5, v35, v27, v5
	;;#ASMEND
	;;#ASMSTART
	v_dot2_f32_f16 v38, v32, v28, v38
	;;#ASMEND
	;;#ASMSTART
	v_dot2_f32_f16 v38, v33, v29, v38
	;;#ASMEND
	;;#ASMSTART
	v_dot2_f32_f16 v38, v34, v30, v38
	;;#ASMEND
	;;#ASMSTART
	v_dot2_f32_f16 v38, v35, v31, v38
	;;#ASMEND
	ds_load_b128 v[0:3], v87 offset:32
	;; [unrolled: 55-line block ×7, first 2 shown]
	ds_load_b128 v[24:27], v82 offset:1136
	ds_load_b128 v[28:31], v82 offset:2288
	;; [unrolled: 1-line block ×3, first 2 shown]
	s_wait_dscnt 0x2
	;;#ASMSTART
	v_dot2_f32_f16 v4, v0, v24, v4
	;;#ASMEND
	;;#ASMSTART
	v_dot2_f32_f16 v4, v1, v25, v4
	;;#ASMEND
	;; [unrolled: 3-line block ×4, first 2 shown]
	s_wait_dscnt 0x1
	;;#ASMSTART
	v_dot2_f32_f16 v37, v0, v28, v37
	;;#ASMEND
	;;#ASMSTART
	v_dot2_f32_f16 v37, v1, v29, v37
	;;#ASMEND
	;; [unrolled: 3-line block ×4, first 2 shown]
	s_wait_dscnt 0x0
	;;#ASMSTART
	v_dot2_f32_f16 v5, v32, v24, v5
	;;#ASMEND
	v_cmp_ngt_f32_e64 s24, 0x3f200000, |v4|
	;;#ASMSTART
	v_dot2_f32_f16 v5, v33, v25, v5
	;;#ASMEND
	;;#ASMSTART
	v_dot2_f32_f16 v5, v34, v26, v5
	;;#ASMEND
	;; [unrolled: 3-line block ×7, first 2 shown]
                                        ; implicit-def: $vgpr2
	s_and_saveexec_b32 s25, s24
	s_delay_alu instid0(SALU_CYCLE_1)
	s_xor_b32 s24, exec_lo, s25
	s_cbranch_execz .LBB24_15
; %bb.14:                               ;   in Loop: Header=BB24_13 Depth=1
	v_add_f32_e64 v0, |v4|, |v4|
	s_delay_alu instid0(VALU_DEP_1) | instskip(SKIP_1) | instid1(VALU_DEP_2)
	v_mul_f32_e32 v1, 0x3fb8aa3b, v0
	v_cmp_ngt_f32_e32 vcc_lo, 0xc2ce8ed0, v0
	v_rndne_f32_e32 v2, v1
	v_fma_f32 v3, 0x3fb8aa3b, v0, -v1
	s_delay_alu instid0(VALU_DEP_2) | instskip(NEXT) | instid1(VALU_DEP_2)
	v_sub_f32_e32 v1, v1, v2
	v_fmac_f32_e32 v3, 0x32a5705f, v0
	v_cvt_i32_f32_e32 v2, v2
	s_delay_alu instid0(VALU_DEP_2) | instskip(NEXT) | instid1(VALU_DEP_1)
	v_add_f32_e32 v1, v1, v3
	v_exp_f32_e32 v1, v1
	v_nop
	s_delay_alu instid0(TRANS32_DEP_1) | instskip(NEXT) | instid1(VALU_DEP_1)
	v_ldexp_f32 v1, v1, v2
	v_cndmask_b32_e32 v1, 0, v1, vcc_lo
	v_cmp_nlt_f32_e32 vcc_lo, 0x42b17218, v0
	s_delay_alu instid0(VALU_DEP_2) | instskip(NEXT) | instid1(VALU_DEP_1)
	v_cndmask_b32_e32 v0, 0x7f800000, v1, vcc_lo
	v_add_f32_e32 v0, 1.0, v0
	s_delay_alu instid0(VALU_DEP_1) | instskip(SKIP_1) | instid1(TRANS32_DEP_1)
	v_rcp_f32_e32 v0, v0
	v_nop
	v_fma_f32 v2, v0, -2.0, 1.0
.LBB24_15:                              ;   in Loop: Header=BB24_13 Depth=1
	s_and_not1_saveexec_b32 s24, s24
	s_cbranch_execz .LBB24_17
; %bb.16:                               ;   in Loop: Header=BB24_13 Depth=1
	v_mul_f32_e32 v0, v4, v4
	s_delay_alu instid0(VALU_DEP_1) | instskip(NEXT) | instid1(VALU_DEP_1)
	v_fmaak_f32 v1, s3, v0, 0x3ca908c9
	v_fmaak_f32 v1, v0, v1, 0xbd5c1c4e
	s_delay_alu instid0(VALU_DEP_1) | instskip(NEXT) | instid1(VALU_DEP_1)
	v_fmaak_f32 v1, v0, v1, 0x3e088382
	v_fmaak_f32 v1, v0, v1, 0xbeaaaa99
	s_delay_alu instid0(VALU_DEP_1) | instskip(NEXT) | instid1(VALU_DEP_1)
	v_mul_f32_e64 v1, |v4|, v1
	v_fma_f32 v2, v0, v1, |v4|
.LBB24_17:                              ;   in Loop: Header=BB24_13 Depth=1
	s_or_b32 exec_lo, exec_lo, s24
	v_add_nc_u32_e32 v0, s4, v88
	v_cmp_ngt_f32_e64 s24, 0x3f200000, |v5|
                                        ; implicit-def: $vgpr3
	global_load_u16 v27, v0, s[30:31] scale_offset
	s_wait_xcnt 0x0
	s_and_saveexec_b32 s25, s24
	s_delay_alu instid0(SALU_CYCLE_1)
	s_xor_b32 s24, exec_lo, s25
	s_cbranch_execz .LBB24_19
; %bb.18:                               ;   in Loop: Header=BB24_13 Depth=1
	v_add_f32_e64 v1, |v5|, |v5|
	s_delay_alu instid0(VALU_DEP_1) | instskip(SKIP_1) | instid1(VALU_DEP_2)
	v_mul_f32_e32 v3, 0x3fb8aa3b, v1
	v_cmp_ngt_f32_e32 vcc_lo, 0xc2ce8ed0, v1
	v_rndne_f32_e32 v6, v3
	v_fma_f32 v7, 0x3fb8aa3b, v1, -v3
	s_delay_alu instid0(VALU_DEP_2) | instskip(NEXT) | instid1(VALU_DEP_2)
	v_sub_f32_e32 v3, v3, v6
	v_fmac_f32_e32 v7, 0x32a5705f, v1
	v_cvt_i32_f32_e32 v6, v6
	s_delay_alu instid0(VALU_DEP_2) | instskip(NEXT) | instid1(VALU_DEP_1)
	v_add_f32_e32 v3, v3, v7
	v_exp_f32_e32 v3, v3
	v_nop
	s_delay_alu instid0(TRANS32_DEP_1) | instskip(NEXT) | instid1(VALU_DEP_1)
	v_ldexp_f32 v3, v3, v6
	v_cndmask_b32_e32 v3, 0, v3, vcc_lo
	v_cmp_nlt_f32_e32 vcc_lo, 0x42b17218, v1
	s_delay_alu instid0(VALU_DEP_2) | instskip(NEXT) | instid1(VALU_DEP_1)
	v_cndmask_b32_e32 v1, 0x7f800000, v3, vcc_lo
	v_add_f32_e32 v1, 1.0, v1
	s_delay_alu instid0(VALU_DEP_1) | instskip(SKIP_1) | instid1(TRANS32_DEP_1)
	v_rcp_f32_e32 v1, v1
	v_nop
	v_fma_f32 v3, v1, -2.0, 1.0
.LBB24_19:                              ;   in Loop: Header=BB24_13 Depth=1
	s_and_not1_saveexec_b32 s24, s24
	s_cbranch_execz .LBB24_21
; %bb.20:                               ;   in Loop: Header=BB24_13 Depth=1
	v_mul_f32_e32 v1, v5, v5
	s_delay_alu instid0(VALU_DEP_1) | instskip(NEXT) | instid1(VALU_DEP_1)
	v_fmaak_f32 v3, s3, v1, 0x3ca908c9
	v_fmaak_f32 v3, v1, v3, 0xbd5c1c4e
	s_delay_alu instid0(VALU_DEP_1) | instskip(NEXT) | instid1(VALU_DEP_1)
	v_fmaak_f32 v3, v1, v3, 0x3e088382
	v_fmaak_f32 v3, v1, v3, 0xbeaaaa99
	s_delay_alu instid0(VALU_DEP_1) | instskip(NEXT) | instid1(VALU_DEP_1)
	v_mul_f32_e64 v3, |v5|, v3
	v_fma_f32 v3, v1, v3, |v5|
.LBB24_21:                              ;   in Loop: Header=BB24_13 Depth=1
	s_or_b32 exec_lo, exec_lo, s24
	v_dual_ashrrev_i32 v1, 31, v0 :: v_dual_bitop2_b32 v97, 16, v83 bitop3:0x14
	v_cmp_ngt_f32_e64 s24, 0x3f200000, |v37|
                                        ; implicit-def: $vgpr35
	v_xor_b32_e32 v93, 8, v83
	v_xor_b32_e32 v94, 4, v83
	s_delay_alu instid0(VALU_DEP_4)
	v_lshl_add_u64 v[0:1], v[0:1], 1, s[30:31]
	v_cmp_gt_i32_e32 vcc_lo, 32, v97
	v_xor_b32_e32 v95, 2, v83
	v_xor_b32_e32 v96, 1, v83
	global_load_u16 v28, v[0:1], off offset:64
	s_wait_xcnt 0x0
	v_bfi_b32 v0, 0x7fffffff, v2, v4
	v_bfi_b32 v1, 0x7fffffff, v3, v5
	s_wait_loadcnt 0x1
	s_wait_kmcnt 0x0
	s_delay_alu instid0(VALU_DEP_2) | instskip(NEXT) | instid1(VALU_DEP_1)
	v_fma_mix_f32 v25, s21, v0, v27 op_sel_hi:[0,0,1]
	v_add_f32_e32 v0, 0x40051340, v25
	s_wait_loadcnt 0x0
	v_fma_mix_f32 v26, s21, v1, v28 op_sel_hi:[0,0,1]
	v_cndmask_b32_e32 v1, v83, v97, vcc_lo
	v_cmp_gt_i32_e32 vcc_lo, 32, v93
	s_delay_alu instid0(VALU_DEP_2) | instskip(NEXT) | instid1(VALU_DEP_1)
	v_dual_add_f32 v2, 0x40051340, v26 :: v_dual_lshlrev_b32 v29, 2, v1
	v_max3_num_f32 v0, v23, v0, v2
	v_cndmask_b32_e32 v2, v83, v93, vcc_lo
	v_cmp_gt_i32_e32 vcc_lo, 32, v94
	ds_bpermute_b32 v1, v29, v0
	v_lshlrev_b32_e32 v30, 2, v2
	v_cndmask_b32_e32 v2, v83, v94, vcc_lo
	v_cmp_gt_i32_e32 vcc_lo, 32, v95
	s_delay_alu instid0(VALU_DEP_2) | instskip(SKIP_2) | instid1(VALU_DEP_2)
	v_dual_cndmask_b32 v2, v83, v95 :: v_dual_lshlrev_b32 v31, 2, v2
	v_cmp_gt_i32_e32 vcc_lo, 32, v96
	s_wait_dscnt 0x0
	v_dual_max_num_f32 v1, v1, v1 :: v_dual_lshlrev_b32 v32, 2, v2
	s_delay_alu instid0(VALU_DEP_1) | instskip(SKIP_3) | instid1(VALU_DEP_1)
	v_max_num_f32_e32 v0, v0, v1
	ds_bpermute_b32 v1, v30, v0
	s_wait_dscnt 0x0
	v_max_num_f32_e32 v1, v1, v1
	v_max_num_f32_e32 v0, v0, v1
	ds_bpermute_b32 v1, v31, v0
	s_wait_dscnt 0x0
	v_max_num_f32_e32 v1, v1, v1
	s_delay_alu instid0(VALU_DEP_1) | instskip(SKIP_3) | instid1(VALU_DEP_1)
	v_max_num_f32_e32 v0, v0, v1
	ds_bpermute_b32 v1, v32, v0
	s_wait_dscnt 0x0
	v_dual_cndmask_b32 v2, v83, v96 :: v_dual_max_num_f32 v1, v1, v1
	v_dual_max_num_f32 v33, v0, v1 :: v_dual_lshlrev_b32 v24, 2, v2
	ds_bpermute_b32 v34, v24, v33
	s_and_saveexec_b32 s25, s24
	s_delay_alu instid0(SALU_CYCLE_1)
	s_xor_b32 s24, exec_lo, s25
	s_cbranch_execz .LBB24_23
; %bb.22:                               ;   in Loop: Header=BB24_13 Depth=1
	v_add_f32_e64 v0, |v37|, |v37|
	s_delay_alu instid0(VALU_DEP_1) | instskip(SKIP_1) | instid1(VALU_DEP_2)
	v_mul_f32_e32 v1, 0x3fb8aa3b, v0
	v_cmp_ngt_f32_e32 vcc_lo, 0xc2ce8ed0, v0
	v_rndne_f32_e32 v2, v1
	v_fma_f32 v3, 0x3fb8aa3b, v0, -v1
	s_delay_alu instid0(VALU_DEP_2) | instskip(NEXT) | instid1(VALU_DEP_2)
	v_sub_f32_e32 v1, v1, v2
	v_fmac_f32_e32 v3, 0x32a5705f, v0
	v_cvt_i32_f32_e32 v2, v2
	s_delay_alu instid0(VALU_DEP_2) | instskip(NEXT) | instid1(VALU_DEP_1)
	v_add_f32_e32 v1, v1, v3
	v_exp_f32_e32 v1, v1
	v_nop
	s_delay_alu instid0(TRANS32_DEP_1) | instskip(NEXT) | instid1(VALU_DEP_1)
	v_ldexp_f32 v1, v1, v2
	v_cndmask_b32_e32 v1, 0, v1, vcc_lo
	v_cmp_nlt_f32_e32 vcc_lo, 0x42b17218, v0
	s_delay_alu instid0(VALU_DEP_2) | instskip(NEXT) | instid1(VALU_DEP_1)
	v_cndmask_b32_e32 v0, 0x7f800000, v1, vcc_lo
	v_add_f32_e32 v0, 1.0, v0
	s_delay_alu instid0(VALU_DEP_1) | instskip(SKIP_1) | instid1(TRANS32_DEP_1)
	v_rcp_f32_e32 v0, v0
	v_nop
	v_fma_f32 v35, v0, -2.0, 1.0
.LBB24_23:                              ;   in Loop: Header=BB24_13 Depth=1
	s_and_not1_saveexec_b32 s24, s24
	s_cbranch_execz .LBB24_25
; %bb.24:                               ;   in Loop: Header=BB24_13 Depth=1
	v_mul_f32_e32 v0, v37, v37
	s_delay_alu instid0(VALU_DEP_1) | instskip(NEXT) | instid1(VALU_DEP_1)
	v_fmaak_f32 v1, s3, v0, 0x3ca908c9
	v_fmaak_f32 v1, v0, v1, 0xbd5c1c4e
	s_delay_alu instid0(VALU_DEP_1) | instskip(NEXT) | instid1(VALU_DEP_1)
	v_fmaak_f32 v1, v0, v1, 0x3e088382
	v_fmaak_f32 v1, v0, v1, 0xbeaaaa99
	s_delay_alu instid0(VALU_DEP_1) | instskip(NEXT) | instid1(VALU_DEP_1)
	v_mul_f32_e64 v1, |v37|, v1
	v_fma_f32 v35, v0, v1, |v37|
.LBB24_25:                              ;   in Loop: Header=BB24_13 Depth=1
	s_or_b32 exec_lo, exec_lo, s24
	v_cmp_ngt_f32_e64 s24, 0x3f200000, |v38|
                                        ; implicit-def: $vgpr36
	s_and_saveexec_b32 s25, s24
	s_delay_alu instid0(SALU_CYCLE_1)
	s_xor_b32 s24, exec_lo, s25
	s_cbranch_execz .LBB24_27
; %bb.26:                               ;   in Loop: Header=BB24_13 Depth=1
	v_add_f32_e64 v0, |v38|, |v38|
	s_delay_alu instid0(VALU_DEP_1) | instskip(SKIP_1) | instid1(VALU_DEP_2)
	v_mul_f32_e32 v1, 0x3fb8aa3b, v0
	v_cmp_ngt_f32_e32 vcc_lo, 0xc2ce8ed0, v0
	v_rndne_f32_e32 v2, v1
	v_fma_f32 v3, 0x3fb8aa3b, v0, -v1
	s_delay_alu instid0(VALU_DEP_2) | instskip(NEXT) | instid1(VALU_DEP_2)
	v_sub_f32_e32 v1, v1, v2
	v_fmac_f32_e32 v3, 0x32a5705f, v0
	v_cvt_i32_f32_e32 v2, v2
	s_delay_alu instid0(VALU_DEP_2) | instskip(NEXT) | instid1(VALU_DEP_1)
	v_add_f32_e32 v1, v1, v3
	v_exp_f32_e32 v1, v1
	v_nop
	s_delay_alu instid0(TRANS32_DEP_1) | instskip(NEXT) | instid1(VALU_DEP_1)
	v_ldexp_f32 v1, v1, v2
	v_cndmask_b32_e32 v1, 0, v1, vcc_lo
	v_cmp_nlt_f32_e32 vcc_lo, 0x42b17218, v0
	s_delay_alu instid0(VALU_DEP_2) | instskip(NEXT) | instid1(VALU_DEP_1)
	v_cndmask_b32_e32 v0, 0x7f800000, v1, vcc_lo
	v_add_f32_e32 v0, 1.0, v0
	s_delay_alu instid0(VALU_DEP_1) | instskip(SKIP_1) | instid1(TRANS32_DEP_1)
	v_rcp_f32_e32 v0, v0
	v_nop
	v_fma_f32 v36, v0, -2.0, 1.0
.LBB24_27:                              ;   in Loop: Header=BB24_13 Depth=1
	s_and_not1_saveexec_b32 s24, s24
	s_cbranch_execz .LBB24_29
; %bb.28:                               ;   in Loop: Header=BB24_13 Depth=1
	v_mul_f32_e32 v0, v38, v38
	s_delay_alu instid0(VALU_DEP_1) | instskip(NEXT) | instid1(VALU_DEP_1)
	v_fmaak_f32 v1, s3, v0, 0x3ca908c9
	v_fmaak_f32 v1, v0, v1, 0xbd5c1c4e
	s_delay_alu instid0(VALU_DEP_1) | instskip(NEXT) | instid1(VALU_DEP_1)
	v_fmaak_f32 v1, v0, v1, 0x3e088382
	v_fmaak_f32 v1, v0, v1, 0xbeaaaa99
	s_delay_alu instid0(VALU_DEP_1) | instskip(NEXT) | instid1(VALU_DEP_1)
	v_mul_f32_e64 v1, |v38|, v1
	v_fma_f32 v36, v0, v1, |v38|
.LBB24_29:                              ;   in Loop: Header=BB24_13 Depth=1
	s_or_b32 exec_lo, exec_lo, s24
	s_mul_u64 s[24:25], s[4:5], s[10:11]
	s_wait_dscnt 0x0
	v_lshl_add_u64 v[40:41], s[24:25], 2, v[74:75]
	s_barrier_signal -1
	s_barrier_wait -1
	v_cvt_f32_f16_e32 v27, v27
	s_clause 0x1
	global_load_b128 v[0:3], v[40:41], off
	global_load_b128 v[4:7], v[40:41], off offset:512
	v_cvt_f32_f16_e32 v28, v28
	v_bfi_b32 v35, 0x7fffffff, v35, v37
	v_bfi_b32 v36, 0x7fffffff, v36, v38
	s_or_b32 s24, s4, 8
	v_add_nc_u32_e32 v100, 0x800, v92
	s_ashr_i32 s25, s24, 31
	s_delay_alu instid0(VALU_DEP_2) | instskip(SKIP_1) | instid1(SALU_CYCLE_1)
	v_dual_fmac_f32 v27, s21, v35 :: v_dual_fmac_f32 v28, s21, v36
	s_mul_u64 s[24:25], s[24:25], s[10:11]
	v_lshl_add_u64 v[56:57], s[24:25], 2, v[74:75]
	s_delay_alu instid0(VALU_DEP_2) | instskip(SKIP_1) | instid1(SALU_CYCLE_1)
	v_dual_add_f32 v35, 0x40051340, v27 :: v_dual_add_f32 v36, 0x40051340, v28
	s_or_b32 s24, s4, 16
	s_ashr_i32 s25, s24, 31
	s_delay_alu instid0(VALU_DEP_1) | instskip(SKIP_4) | instid1(VALU_DEP_1)
	v_max3_num_f32 v35, v22, v35, v36
	s_mul_u64 s[24:25], s[24:25], s[10:11]
	ds_bpermute_b32 v29, v29, v35
	s_wait_dscnt 0x0
	v_max_num_f32_e32 v29, v29, v29
	v_max_num_f32_e32 v29, v35, v29
	ds_bpermute_b32 v30, v30, v29
	s_wait_dscnt 0x0
	v_max_num_f32_e32 v30, v30, v30
	s_delay_alu instid0(VALU_DEP_1) | instskip(SKIP_4) | instid1(VALU_DEP_1)
	v_max_num_f32_e32 v29, v29, v30
	ds_bpermute_b32 v30, v31, v29
	v_max_num_f32_e32 v31, v34, v34
	s_wait_dscnt 0x0
	v_max_num_f32_e32 v30, v30, v30
	v_max_num_f32_e32 v29, v29, v30
	ds_bpermute_b32 v30, v32, v29
	v_dual_max_num_f32 v32, v33, v33 :: v_dual_add_nc_u32 v99, 0x1000, v92
	s_delay_alu instid0(VALU_DEP_1) | instskip(NEXT) | instid1(VALU_DEP_1)
	v_dual_max_num_f32 v76, v32, v31 :: v_dual_add_nc_u32 v31, v89, v81
	v_dual_sub_f32 v26, v26, v76 :: v_dual_sub_f32 v25, v25, v76
	v_sub_f32_e32 v23, v23, v76
	s_delay_alu instid0(VALU_DEP_2)
	v_dual_mul_f32 v33, 0x3fb8aa3b, v26 :: v_dual_mul_f32 v32, 0x3fb8aa3b, v25
	v_cmp_ngt_f32_e32 vcc_lo, 0xc2ce8ed0, v25
	s_wait_dscnt 0x0
	v_max_num_f32_e32 v30, v30, v30
	v_mul_f32_e32 v34, 0x3fb8aa3b, v23
	v_fma_f32 v35, 0x3fb8aa3b, v25, -v32
	v_rndne_f32_e32 v36, v32
	v_fma_f32 v37, 0x3fb8aa3b, v26, -v33
	v_max_num_f32_e32 v29, v29, v30
	v_fma_f32 v30, 0x3fb8aa3b, v23, -v34
	v_rndne_f32_e32 v38, v34
	v_rndne_f32_e32 v39, v33
	v_dual_fmac_f32 v35, 0x32a5705f, v25 :: v_dual_sub_f32 v32, v32, v36
	ds_bpermute_b32 v24, v24, v29
	v_dual_fmac_f32 v30, 0x32a5705f, v23 :: v_dual_fmac_f32 v37, 0x32a5705f, v26
	v_dual_sub_f32 v34, v34, v38 :: v_dual_sub_f32 v33, v33, v39
	v_add_f32_e32 v32, v32, v35
	v_add_nc_u32_e32 v98, 0x1800, v92
	v_cvt_i32_f32_e32 v35, v38
	s_delay_alu instid0(VALU_DEP_4) | instskip(NEXT) | instid1(VALU_DEP_4)
	v_dual_add_f32 v30, v34, v30 :: v_dual_add_f32 v33, v33, v37
	v_exp_f32_e32 v32, v32
	v_cvt_i32_f32_e32 v34, v36
	v_cvt_i32_f32_e32 v36, v39
	s_delay_alu instid0(VALU_DEP_3)
	v_exp_f32_e32 v30, v30
	v_exp_f32_e32 v33, v33
	s_delay_alu instid0(TRANS32_DEP_3) | instid1(VALU_DEP_2)
	v_ldexp_f32 v32, v32, v34
	s_delay_alu instid0(TRANS32_DEP_2) | instskip(NEXT) | instid1(TRANS32_DEP_1)
	v_ldexp_f32 v30, v30, v35
	v_ldexp_f32 v33, v33, v36
	s_wait_dscnt 0x0
	v_max_num_f32_e32 v24, v24, v24
	v_cndmask_b32_e32 v32, 0, v32, vcc_lo
	v_cmp_ngt_f32_e32 vcc_lo, 0xc2ce8ed0, v23
	s_delay_alu instid0(VALU_DEP_3) | instskip(SKIP_1) | instid1(VALU_DEP_2)
	v_dual_max_num_f32 v77, v29, v24 :: v_dual_cndmask_b32 v24, 0, v30
	v_cmp_ngt_f32_e32 vcc_lo, 0xc2ce8ed0, v26
	v_sub_f32_e32 v30, v22, v77
	v_cndmask_b32_e32 v29, 0, v33, vcc_lo
	v_cmp_nlt_f32_e32 vcc_lo, 0x42b17218, v23
	v_cndmask_b32_e32 v22, 0x7f800000, v24, vcc_lo
	v_cmp_nlt_f32_e32 vcc_lo, 0x42b17218, v25
	v_sub_f32_e32 v25, v27, v77
	v_dual_mul_f32 v23, 0x3fb8aa3b, v30 :: v_dual_sub_f32 v28, v28, v77
	s_delay_alu instid0(VALU_DEP_4) | instskip(NEXT) | instid1(VALU_DEP_2)
	v_cvt_f16_f32_e32 v27, v22
	v_rndne_f32_e32 v33, v23
	v_cndmask_b32_e32 v24, 0x7f800000, v32, vcc_lo
	v_cmp_nlt_f32_e32 vcc_lo, 0x42b17218, v26
	v_fma_f32 v32, 0x3fb8aa3b, v30, -v23
	s_delay_alu instid0(VALU_DEP_4) | instskip(SKIP_1) | instid1(VALU_DEP_3)
	v_dual_mul_f32 v34, 0x3fb8aa3b, v28 :: v_dual_sub_f32 v23, v23, v33
	v_and_b32_e32 v27, 0xffff, v27
	v_fmac_f32_e32 v32, 0x32a5705f, v30
	v_cndmask_b32_e32 v26, 0x7f800000, v29, vcc_lo
	v_mul_f32_e32 v29, 0x3fb8aa3b, v25
	v_fma_f32 v37, 0x3fb8aa3b, v28, -v34
	v_rndne_f32_e32 v38, v34
	v_mul_u32_u24_e32 v61, 0x10001, v27
	v_cmp_ngt_f32_e32 vcc_lo, 0xc2ce8ed0, v30
	v_fma_f32 v35, 0x3fb8aa3b, v25, -v29
	v_rndne_f32_e32 v36, v29
	v_fmac_f32_e32 v37, 0x32a5705f, v28
	v_pk_mul_f16 v59, v20, v61
	v_pk_mul_f16 v58, v21, v61
	v_fmac_f32_e32 v35, 0x32a5705f, v25
	v_add_f32_e32 v23, v23, v32
	v_dual_sub_f32 v29, v29, v36 :: v_dual_sub_f32 v32, v34, v38
	v_pk_mul_f16 v78, v19, v61
	v_pk_mul_f16 v101, v17, v61
	s_delay_alu instid0(VALU_DEP_4) | instskip(NEXT) | instid1(VALU_DEP_3)
	v_exp_f32_e32 v23, v23
	v_dual_add_f32 v27, v29, v35 :: v_dual_add_f32 v32, v32, v37
	v_cvt_i32_f32_e32 v29, v33
	v_pk_mul_f16 v79, v18, v61
	v_pk_mul_f16 v106, v16, v61
	s_delay_alu instid0(VALU_DEP_4)
	v_exp_f32_e32 v20, v27
	v_nop
	v_cvt_i32_f32_e32 v27, v36
	v_ldexp_f32 v21, v23, v29
	v_exp_f32_e32 v23, v32
	v_cvt_i32_f32_e32 v29, v38
	v_pk_mul_f16 v107, v15, v61
	v_ldexp_f32 v19, v20, v27
	v_cndmask_b32_e32 v21, 0, v21, vcc_lo
	v_cmp_nlt_f32_e32 vcc_lo, 0x42b17218, v30
	s_delay_alu instid0(TRANS32_DEP_1) | instskip(NEXT) | instid1(VALU_DEP_3)
	v_ldexp_f32 v20, v23, v29
	v_cndmask_b32_e32 v23, 0x7f800000, v21, vcc_lo
	v_cmp_ngt_f32_e32 vcc_lo, 0xc2ce8ed0, v25
	s_delay_alu instid0(VALU_DEP_2) | instskip(SKIP_4) | instid1(VALU_DEP_4)
	v_cvt_f16_f32_e32 v21, v23
	v_cndmask_b32_e32 v19, 0, v19, vcc_lo
	v_cmp_ngt_f32_e32 vcc_lo, 0xc2ce8ed0, v28
	v_cndmask_b32_e32 v20, 0, v20, vcc_lo
	v_cmp_nlt_f32_e32 vcc_lo, 0x42b17218, v25
	v_cndmask_b32_e32 v25, 0x7f800000, v19, vcc_lo
	v_cmp_nlt_f32_e32 vcc_lo, 0x42b17218, v28
	s_delay_alu instid0(VALU_DEP_2) | instskip(SKIP_2) | instid1(VALU_DEP_2)
	v_cvt_pk_f16_f32 v17, v24, v25
	v_cndmask_b32_e32 v27, 0x7f800000, v20, vcc_lo
	v_and_b32_e32 v20, 0xffff, v21
	v_cvt_pk_f16_f32 v21, v26, v27
	s_delay_alu instid0(VALU_DEP_2)
	v_mul_u32_u24_e32 v63, 0x10001, v20
	ds_store_2addr_b32 v31, v17, v21 offset1:32
	v_pk_mul_f16 v108, v14, v63
	v_pk_mul_f16 v109, v13, v63
	;; [unrolled: 1-line block ×7, first 2 shown]
	s_wait_loadcnt 0x1
	ds_store_b128 v90, v[0:3]
	s_wait_loadcnt 0x0
	ds_store_b128 v91, v[4:7]
	s_wait_dscnt 0x0
	s_barrier_signal -1
	s_barrier_wait -1
	ds_load_b128 v[40:43], v89
	s_wait_dscnt 0x0
	v_lshrrev_b32_e32 v120, 16, v43
	v_pk_add_f32 v[18:19], v[24:25], v[26:27]
	v_and_b32_e32 v115, 0xffff, v40
	v_lshrrev_b32_e32 v40, 16, v40
	v_and_b32_e32 v116, 0xffff, v41
	v_lshrrev_b32_e32 v117, 16, v41
	v_pk_fma_f32 v[66:67], v[66:67], v[22:23], v[18:19]
	ds_load_2addr_b64 v[44:47], v92 offset0:64 offset1:96
	ds_load_2addr_b64 v[52:55], v92 offset1:32
	ds_load_b128 v[48:51], v89 offset:16
	ds_load_2addr_b64 v[28:31], v92 offset0:128 offset1:160
	ds_load_2addr_b64 v[102:105], v92 offset0:192 offset1:224
	ds_load_2addr_b64 v[12:15], v100 offset1:32
	ds_load_2addr_b64 v[20:23], v100 offset0:64 offset1:96
	ds_load_2addr_b64 v[0:3], v100 offset0:128 offset1:160
	;; [unrolled: 1-line block ×3, first 2 shown]
	ds_load_2addr_b64 v[4:7], v99 offset1:32
	ds_load_2addr_b64 v[16:19], v99 offset0:64 offset1:96
	ds_load_2addr_b64 v[8:11], v99 offset0:128 offset1:160
	ds_load_2addr_b64 v[36:39], v99 offset0:192 offset1:224
	ds_load_2addr_b64 v[32:35], v98 offset1:32
	v_mul_u32_u24_e32 v115, 0x10001, v115
	v_mul_u32_u24_e32 v128, 0x10001, v40
	v_lshrrev_b32_e32 v118, 16, v42
	v_and_b32_e32 v119, 0xffff, v42
	v_and_b32_e32 v121, 0xffff, v43
	ds_load_2addr_b64 v[40:43], v98 offset0:128 offset1:160
	s_wait_dscnt 0xe
	v_pk_fma_f16 v79, v44, v115, v79
	v_pk_fma_f16 v111, v44, v128, v111
	s_wait_dscnt 0xc
	v_lshrrev_b32_e32 v122, 16, v48
	v_and_b32_e32 v123, 0xffff, v48
	v_dual_lshrrev_b32 v124, 16, v49 :: v_dual_lshrrev_b32 v126, 16, v50
	v_and_b32_e32 v125, 0xffff, v49
	v_and_b32_e32 v127, 0xffff, v50
	v_lshrrev_b32_e32 v129, 16, v51
	v_and_b32_e32 v130, 0xffff, v51
	ds_load_2addr_b64 v[48:51], v98 offset0:64 offset1:96
	v_pk_fma_f16 v101, v45, v115, v101
	v_pk_fma_f16 v112, v45, v128, v112
	v_pk_fma_f16 v106, v46, v115, v106
	v_pk_fma_f16 v113, v46, v128, v113
	v_pk_fma_f16 v107, v47, v115, v107
	v_pk_fma_f16 v114, v47, v128, v114
	v_pk_fma_f16 v131, v53, v115, v58
	v_pk_fma_f16 v132, v54, v115, v59
	v_pk_fma_f16 v78, v55, v115, v78
	v_pk_mul_f16 v115, v52, v115
	v_pk_fma_f16 v108, v53, v128, v108
	v_pk_fma_f16 v109, v54, v128, v109
	;; [unrolled: 1-line block ×3, first 2 shown]
	v_pk_mul_f16 v128, v52, v128
	ds_load_2addr_b64 v[44:47], v98 offset0:192 offset1:224
	s_wait_dscnt 0x0
	s_barrier_signal -1
	s_barrier_wait -1
	s_clause 0x1
	global_load_b128 v[52:55], v[56:57], off
	global_load_b128 v[56:59], v[56:57], off offset:512
	v_mul_u32_u24_e32 v116, 0x10001, v116
	v_mul_u32_u24_e32 v117, 0x10001, v117
	v_pk_fma_f16 v62, v62, v63, v128
	s_wait_loadcnt 0x1
	ds_store_b128 v90, v[52:55]
	s_wait_loadcnt 0x0
	ds_store_b128 v91, v[56:59]
	v_pk_fma_f16 v79, v102, v116, v79
	v_pk_fma_f16 v102, v102, v117, v111
	;; [unrolled: 1-line block ×9, first 2 shown]
	v_mul_u32_u24_e32 v112, 0x10001, v119
	v_mul_u32_u24_e32 v113, 0x10001, v118
	;; [unrolled: 1-line block ×4, first 2 shown]
	v_pk_fma_f16 v63, v29, v116, v131
	v_pk_fma_f16 v126, v30, v116, v132
	;; [unrolled: 1-line block ×6, first 2 shown]
	v_mul_u32_u24_e32 v114, 0x10001, v121
	v_mul_u32_u24_e32 v115, 0x10001, v120
	v_pk_fma_f16 v108, v28, v116, v111
	v_pk_fma_f16 v28, v28, v117, v62
	;; [unrolled: 1-line block ×16, first 2 shown]
	v_mul_u32_u24_e32 v119, 0x10001, v122
	v_pk_fma_f16 v31, v12, v112, v108
	v_pk_fma_f16 v12, v12, v113, v28
	;; [unrolled: 1-line block ×16, first 2 shown]
	v_mul_u32_u24_e32 v120, 0x10001, v125
	v_mul_u32_u24_e32 v121, 0x10001, v124
	v_pk_fma_f16 v13, v0, v114, v31
	v_pk_fma_f16 v0, v0, v115, v12
	;; [unrolled: 1-line block ×16, first 2 shown]
	v_mul_u32_u24_e32 v122, 0x10001, v127
	v_pk_fma_f16 v7, v4, v118, v13
	v_pk_fma_f16 v0, v4, v119, v0
	;; [unrolled: 1-line block ×26, first 2 shown]
	s_wait_dscnt 0x0
	s_barrier_signal -1
	s_barrier_wait -1
	ds_load_b128 v[48:51], v89 offset:32
	v_mul_u32_u24_e32 v124, 0x10001, v130
	v_pk_fma_f16 v4, v33, v122, v4
	v_pk_fma_f16 v1, v33, v123, v1
	;; [unrolled: 1-line block ×16, first 2 shown]
	v_lshl_add_u64 v[60:61], s[24:25], 2, v[74:75]
	s_or_b32 s24, s4, 24
	s_wait_dscnt 0x0
	v_and_b32_e32 v117, 0xffff, v48
	v_lshrrev_b32_e32 v48, 16, v48
	v_mul_u32_u24_e32 v125, 0x10001, v129
	v_dual_lshrrev_b32 v118, 16, v49 :: v_dual_lshrrev_b32 v120, 16, v50
	s_delay_alu instid0(VALU_DEP_4) | instskip(NEXT) | instid1(VALU_DEP_4)
	v_mul_u32_u24_e32 v117, 0x10001, v117
	v_mul_u32_u24_e32 v130, 0x10001, v48
	s_delay_alu instid0(VALU_DEP_4)
	v_pk_fma_f16 v63, v41, v125, v1
	v_pk_fma_f16 v79, v42, v125, v2
	;; [unrolled: 1-line block ×8, first 2 shown]
	ds_load_2addr_b64 v[56:59], v92 offset1:32
	ds_load_2addr_b64 v[102:105], v92 offset0:64 offset1:96
	ds_load_b128 v[52:55], v89 offset:48
	ds_load_2addr_b64 v[40:43], v92 offset0:128 offset1:160
	ds_load_2addr_b64 v[28:31], v92 offset0:192 offset1:224
	ds_load_2addr_b64 v[20:23], v100 offset1:32
	ds_load_2addr_b64 v[16:19], v100 offset0:64 offset1:96
	ds_load_2addr_b64 v[8:11], v100 offset0:128 offset1:160
	ds_load_2addr_b64 v[0:3], v100 offset0:192 offset1:224
	ds_load_2addr_b64 v[4:7], v99 offset1:32
	ds_load_2addr_b64 v[12:15], v99 offset0:64 offset1:96
	;; [unrolled: 4-line block ×3, first 2 shown]
	v_and_b32_e32 v119, 0xffff, v49
	v_and_b32_e32 v121, 0xffff, v50
	v_lshrrev_b32_e32 v122, 16, v51
	v_and_b32_e32 v123, 0xffff, v51
	ds_load_2addr_b64 v[48:51], v98 offset0:192 offset1:224
	s_wait_dscnt 0xf
	v_pk_fma_f16 v115, v56, v117, v115
	v_pk_fma_f16 v116, v56, v130, v116
	s_wait_dscnt 0xd
	v_lshrrev_b32_e32 v124, 16, v52
	v_and_b32_e32 v125, 0xffff, v52
	v_dual_lshrrev_b32 v126, 16, v53 :: v_dual_lshrrev_b32 v128, 16, v54
	v_and_b32_e32 v127, 0xffff, v53
	v_and_b32_e32 v129, 0xffff, v54
	v_lshrrev_b32_e32 v131, 16, v55
	v_and_b32_e32 v132, 0xffff, v55
	ds_load_2addr_b64 v[52:55], v98 offset0:128 offset1:160
	v_pk_fma_f16 v133, v57, v117, v62
	v_pk_fma_f16 v134, v57, v130, v63
	;; [unrolled: 1-line block ×6, first 2 shown]
	s_wait_dscnt 0x0
	s_barrier_signal -1
	s_barrier_wait -1
	s_clause 0x1
	global_load_b128 v[56:59], v[60:61], off
	global_load_b128 v[60:63], v[60:61], off offset:512
	v_pk_fma_f16 v107, v102, v117, v107
	v_pk_fma_f16 v102, v102, v130, v108
	;; [unrolled: 1-line block ×5, first 2 shown]
	v_mul_u32_u24_e32 v111, 0x10001, v119
	v_mul_u32_u24_e32 v112, 0x10001, v118
	v_pk_fma_f16 v103, v103, v130, v110
	v_pk_fma_f16 v110, v105, v117, v113
	;; [unrolled: 1-line block ×11, first 2 shown]
	v_mul_u32_u24_e32 v106, 0x10001, v121
	v_mul_u32_u24_e32 v116, 0x10001, v120
	;; [unrolled: 1-line block ×4, first 2 shown]
	v_pk_fma_f16 v107, v28, v111, v107
	v_pk_fma_f16 v108, v29, v111, v108
	v_pk_fma_f16 v109, v30, v111, v109
	v_pk_fma_f16 v110, v31, v111, v110
	v_pk_fma_f16 v28, v28, v112, v102
	v_pk_fma_f16 v29, v29, v112, v103
	v_pk_fma_f16 v30, v30, v112, v104
	v_pk_fma_f16 v31, v31, v112, v105
	v_pk_fma_f16 v102, v20, v106, v113
	v_pk_fma_f16 v20, v20, v116, v40
	v_pk_fma_f16 v40, v21, v106, v114
	v_pk_fma_f16 v21, v21, v116, v41
	v_pk_fma_f16 v41, v22, v106, v115
	v_pk_fma_f16 v22, v22, v116, v42
	v_pk_fma_f16 v42, v23, v106, v101
	v_pk_fma_f16 v23, v23, v116, v43
	v_mul_u32_u24_e32 v119, 0x10001, v125
	v_mul_u32_u24_e32 v120, 0x10001, v124
	v_pk_fma_f16 v43, v16, v106, v107
	v_pk_fma_f16 v16, v16, v116, v28
	v_pk_fma_f16 v28, v17, v106, v108
	v_pk_fma_f16 v17, v17, v116, v29
	v_pk_fma_f16 v29, v18, v106, v109
	v_pk_fma_f16 v18, v18, v116, v30
	v_pk_fma_f16 v30, v19, v106, v110
	v_pk_fma_f16 v19, v19, v116, v31
	v_pk_fma_f16 v31, v8, v117, v102
	v_pk_fma_f16 v8, v8, v118, v20
	v_pk_fma_f16 v20, v9, v117, v40
	v_pk_fma_f16 v9, v9, v118, v21
	v_pk_fma_f16 v21, v10, v117, v41
	v_pk_fma_f16 v10, v10, v118, v22
	v_pk_fma_f16 v22, v11, v117, v42
	v_pk_fma_f16 v11, v11, v118, v23
	v_mul_u32_u24_e32 v121, 0x10001, v127
	v_mul_u32_u24_e32 v122, 0x10001, v126
	v_pk_fma_f16 v23, v0, v117, v43
	v_pk_fma_f16 v28, v1, v117, v28
	v_pk_fma_f16 v29, v2, v117, v29
	v_pk_fma_f16 v30, v3, v117, v30
	v_pk_fma_f16 v0, v0, v118, v16
	v_pk_fma_f16 v1, v1, v118, v17
	v_pk_fma_f16 v2, v2, v118, v18
	v_pk_fma_f16 v3, v3, v118, v19
	v_pk_fma_f16 v16, v4, v119, v31
	v_pk_fma_f16 v4, v4, v120, v8
	v_pk_fma_f16 v8, v5, v119, v20
	v_pk_fma_f16 v5, v5, v120, v9
	v_pk_fma_f16 v9, v6, v119, v21
	v_pk_fma_f16 v6, v6, v120, v10
	v_pk_fma_f16 v10, v7, v119, v22
	v_pk_fma_f16 v7, v7, v120, v11
	v_mul_u32_u24_e32 v123, 0x10001, v129
	v_mul_u32_u24_e32 v124, 0x10001, v128
	v_pk_fma_f16 v11, v12, v119, v23
	v_pk_fma_f16 v0, v12, v120, v0
	v_pk_fma_f16 v12, v13, v119, v28
	v_pk_fma_f16 v1, v13, v120, v1
	v_pk_fma_f16 v13, v14, v119, v29
	v_pk_fma_f16 v2, v14, v120, v2
	v_pk_fma_f16 v14, v15, v119, v30
	v_pk_fma_f16 v3, v15, v120, v3
	v_pk_fma_f16 v15, v24, v121, v16
	v_pk_fma_f16 v4, v24, v122, v4
	v_pk_fma_f16 v8, v25, v121, v8
	v_pk_fma_f16 v5, v25, v122, v5
	v_pk_fma_f16 v9, v26, v121, v9
	v_pk_fma_f16 v6, v26, v122, v6
	v_pk_fma_f16 v10, v27, v121, v10
	v_pk_fma_f16 v7, v27, v122, v7
	v_mul_u32_u24_e32 v125, 0x10001, v132
	v_mul_u32_u24_e32 v126, 0x10001, v131
	v_pk_fma_f16 v15, v36, v123, v15
	v_pk_fma_f16 v4, v36, v124, v4
	v_pk_fma_f16 v8, v37, v123, v8
	v_pk_fma_f16 v5, v37, v124, v5
	v_pk_fma_f16 v9, v38, v123, v9
	v_pk_fma_f16 v6, v38, v124, v6
	v_pk_fma_f16 v10, v39, v123, v10
	v_pk_fma_f16 v7, v39, v124, v7
	v_pk_fma_f16 v101, v52, v125, v15
	v_pk_fma_f16 v102, v52, v126, v4
	v_pk_fma_f16 v103, v53, v125, v8
	v_pk_fma_f16 v104, v53, v126, v5
	v_pk_fma_f16 v105, v54, v125, v9
	v_pk_fma_f16 v106, v54, v126, v6
	v_pk_fma_f16 v107, v55, v125, v10
	v_pk_fma_f16 v108, v55, v126, v7
	v_pk_fma_f16 v11, v32, v121, v11
	v_pk_fma_f16 v0, v32, v122, v0
	v_pk_fma_f16 v12, v33, v121, v12
	v_pk_fma_f16 v1, v33, v122, v1
	v_pk_fma_f16 v13, v34, v121, v13
	v_pk_fma_f16 v2, v34, v122, v2
	v_pk_fma_f16 v14, v35, v121, v14
	v_pk_fma_f16 v3, v35, v122, v3
	v_pk_fma_f16 v11, v44, v123, v11
	v_pk_fma_f16 v0, v44, v124, v0
	v_pk_fma_f16 v12, v45, v123, v12
	v_pk_fma_f16 v1, v45, v124, v1
	v_pk_fma_f16 v13, v46, v123, v13
	v_pk_fma_f16 v2, v46, v124, v2
	v_pk_fma_f16 v14, v47, v123, v14
	v_pk_fma_f16 v3, v47, v124, v3
	v_pk_fma_f16 v109, v48, v125, v11
	v_pk_fma_f16 v110, v48, v126, v0
	v_pk_fma_f16 v111, v49, v125, v12
	v_pk_fma_f16 v112, v49, v126, v1
	v_pk_fma_f16 v113, v50, v125, v13
	v_pk_fma_f16 v114, v50, v126, v2
	v_pk_fma_f16 v115, v51, v125, v14
	v_pk_fma_f16 v116, v51, v126, v3
	s_ashr_i32 s25, s24, 31
	s_wait_loadcnt 0x1
	ds_store_b128 v90, v[56:59]
	s_wait_loadcnt 0x0
	ds_store_b128 v91, v[60:63]
	s_wait_dscnt 0x0
	s_barrier_signal -1
	s_barrier_wait -1
	ds_load_b128 v[52:55], v89 offset:64
	ds_load_2addr_b64 v[48:51], v92 offset1:32
	ds_load_2addr_b64 v[56:59], v92 offset0:64 offset1:96
	ds_load_b128 v[60:63], v89 offset:80
	ds_load_2addr_b64 v[40:43], v92 offset0:128 offset1:160
	ds_load_2addr_b64 v[28:31], v92 offset0:192 offset1:224
	ds_load_2addr_b64 v[20:23], v100 offset1:32
	ds_load_2addr_b64 v[16:19], v100 offset0:64 offset1:96
	ds_load_2addr_b64 v[8:11], v100 offset0:128 offset1:160
	ds_load_2addr_b64 v[0:3], v100 offset0:192 offset1:224
	ds_load_2addr_b64 v[4:7], v99 offset1:32
	ds_load_2addr_b64 v[12:15], v99 offset0:64 offset1:96
	;; [unrolled: 4-line block ×3, first 2 shown]
	s_mul_u64 s[24:25], s[24:25], s[10:11]
	s_delay_alu instid0(SALU_CYCLE_1) | instskip(SKIP_1) | instid1(SALU_CYCLE_1)
	v_lshl_add_u64 v[78:79], s[24:25], 2, v[74:75]
	s_or_b32 s24, s4, 32
	s_ashr_i32 s25, s24, 31
	s_wait_dscnt 0xc
	v_lshrrev_b32_e32 v124, 16, v60
	v_and_b32_e32 v125, 0xffff, v60
	v_dual_lshrrev_b32 v126, 16, v61 :: v_dual_lshrrev_b32 v128, 16, v62
	v_and_b32_e32 v127, 0xffff, v61
	v_and_b32_e32 v129, 0xffff, v62
	;; [unrolled: 1-line block ×3, first 2 shown]
	s_mul_u64 s[24:25], s[24:25], s[10:11]
	v_and_b32_e32 v117, 0xffff, v52
	v_dual_lshrrev_b32 v52, 16, v52 :: v_dual_lshrrev_b32 v122, 16, v55
	v_dual_lshrrev_b32 v118, 16, v53 :: v_dual_lshrrev_b32 v120, 16, v54
	s_delay_alu instid0(VALU_DEP_3) | instskip(NEXT) | instid1(VALU_DEP_3)
	v_mul_u32_u24_e32 v60, 0x10001, v117
	v_mul_u32_u24_e32 v61, 0x10001, v52
	v_and_b32_e32 v119, 0xffff, v53
	v_and_b32_e32 v121, 0xffff, v54
	;; [unrolled: 1-line block ×3, first 2 shown]
	v_lshrrev_b32_e32 v117, 16, v63
	ds_load_2addr_b64 v[52:55], v98 offset0:128 offset1:160
	v_pk_fma_f16 v101, v48, v60, v101
	v_pk_fma_f16 v102, v48, v61, v102
	;; [unrolled: 1-line block ×8, first 2 shown]
	ds_load_2addr_b64 v[48:51], v98 offset0:192 offset1:224
	s_wait_dscnt 0x0
	s_barrier_signal -1
	s_barrier_wait -1
	v_pk_fma_f16 v109, v56, v60, v109
	v_pk_fma_f16 v110, v56, v61, v110
	;; [unrolled: 1-line block ×8, first 2 shown]
	s_clause 0x1
	global_load_b128 v[56:59], v[78:79], off
	global_load_b128 v[60:63], v[78:79], off offset:512
	v_mul_u32_u24_e32 v119, 0x10001, v119
	v_mul_u32_u24_e32 v118, 0x10001, v118
	;; [unrolled: 1-line block ×3, first 2 shown]
	s_wait_xcnt 0x0
	v_lshl_add_u64 v[78:79], s[24:25], 2, v[74:75]
	s_or_b32 s24, s4, 40
	v_pk_fma_f16 v101, v40, v119, v101
	v_pk_fma_f16 v40, v40, v118, v102
	;; [unrolled: 1-line block ×8, first 2 shown]
	v_mul_u32_u24_e32 v105, 0x10001, v121
	v_mul_u32_u24_e32 v106, 0x10001, v120
	;; [unrolled: 1-line block ×4, first 2 shown]
	v_pk_fma_f16 v109, v28, v119, v109
	v_pk_fma_f16 v111, v29, v119, v111
	v_pk_fma_f16 v113, v30, v119, v113
	v_pk_fma_f16 v115, v31, v119, v115
	v_pk_fma_f16 v28, v28, v118, v110
	v_pk_fma_f16 v29, v29, v118, v112
	v_pk_fma_f16 v30, v30, v118, v114
	v_pk_fma_f16 v31, v31, v118, v116
	v_pk_fma_f16 v101, v20, v105, v101
	v_pk_fma_f16 v20, v20, v106, v40
	v_pk_fma_f16 v40, v21, v105, v102
	v_pk_fma_f16 v21, v21, v106, v41
	v_pk_fma_f16 v41, v22, v105, v103
	v_pk_fma_f16 v22, v22, v106, v42
	v_pk_fma_f16 v42, v23, v105, v104
	v_pk_fma_f16 v23, v23, v106, v43
	v_mul_u32_u24_e32 v120, 0x10001, v125
	v_mul_u32_u24_e32 v121, 0x10001, v124
	v_pk_fma_f16 v43, v16, v105, v109
	v_pk_fma_f16 v16, v16, v106, v28
	v_pk_fma_f16 v28, v17, v105, v111
	v_pk_fma_f16 v17, v17, v106, v29
	v_pk_fma_f16 v29, v18, v105, v113
	v_pk_fma_f16 v18, v18, v106, v30
	v_pk_fma_f16 v30, v19, v105, v115
	v_pk_fma_f16 v19, v19, v106, v31
	v_pk_fma_f16 v31, v8, v107, v101
	v_pk_fma_f16 v8, v8, v108, v20
	v_pk_fma_f16 v20, v9, v107, v40
	v_pk_fma_f16 v9, v9, v108, v21
	v_pk_fma_f16 v21, v10, v107, v41
	v_pk_fma_f16 v10, v10, v108, v22
	v_pk_fma_f16 v22, v11, v107, v42
	v_pk_fma_f16 v11, v11, v108, v23
	v_mul_u32_u24_e32 v122, 0x10001, v127
	v_mul_u32_u24_e32 v123, 0x10001, v126
	;; [unrolled: 18-line block ×3, first 2 shown]
	v_pk_fma_f16 v11, v12, v120, v23
	v_pk_fma_f16 v0, v12, v121, v0
	;; [unrolled: 1-line block ×16, first 2 shown]
	v_mul_u32_u24_e32 v126, 0x10001, v130
	v_pk_fma_f16 v15, v36, v124, v15
	v_pk_fma_f16 v4, v36, v125, v4
	;; [unrolled: 1-line block ×35, first 2 shown]
	s_wait_loadcnt 0x1
	ds_store_b128 v90, v[56:59]
	s_wait_loadcnt 0x0
	ds_store_b128 v91, v[60:63]
	s_wait_dscnt 0x0
	s_barrier_signal -1
	s_barrier_wait -1
	ds_load_b128 v[52:55], v89 offset:96
	v_pk_fma_f16 v112, v49, v117, v1
	v_pk_fma_f16 v113, v50, v126, v13
	;; [unrolled: 1-line block ×5, first 2 shown]
	ds_load_2addr_b64 v[48:51], v92 offset1:32
	ds_load_2addr_b64 v[56:59], v92 offset0:64 offset1:96
	ds_load_b128 v[60:63], v89 offset:112
	ds_load_2addr_b64 v[40:43], v92 offset0:128 offset1:160
	ds_load_2addr_b64 v[28:31], v92 offset0:192 offset1:224
	ds_load_2addr_b64 v[20:23], v100 offset1:32
	ds_load_2addr_b64 v[16:19], v100 offset0:64 offset1:96
	ds_load_2addr_b64 v[8:11], v100 offset0:128 offset1:160
	ds_load_2addr_b64 v[0:3], v100 offset0:192 offset1:224
	ds_load_2addr_b64 v[4:7], v99 offset1:32
	ds_load_2addr_b64 v[12:15], v99 offset0:64 offset1:96
	;; [unrolled: 4-line block ×3, first 2 shown]
	s_ashr_i32 s25, s24, 31
	s_delay_alu instid0(SALU_CYCLE_1)
	s_mul_u64 s[24:25], s[24:25], s[10:11]
	s_wait_dscnt 0xc
	v_lshrrev_b32_e32 v124, 16, v60
	v_and_b32_e32 v125, 0xffff, v60
	v_dual_lshrrev_b32 v126, 16, v61 :: v_dual_lshrrev_b32 v128, 16, v62
	v_and_b32_e32 v127, 0xffff, v61
	v_and_b32_e32 v129, 0xffff, v62
	;; [unrolled: 1-line block ×3, first 2 shown]
	v_dual_lshrrev_b32 v52, 16, v52 :: v_dual_lshrrev_b32 v122, 16, v55
	v_dual_lshrrev_b32 v118, 16, v53 :: v_dual_lshrrev_b32 v120, 16, v54
	s_delay_alu instid0(VALU_DEP_3) | instskip(NEXT) | instid1(VALU_DEP_3)
	v_mul_u32_u24_e32 v60, 0x10001, v117
	v_mul_u32_u24_e32 v61, 0x10001, v52
	v_and_b32_e32 v119, 0xffff, v53
	v_and_b32_e32 v121, 0xffff, v54
	;; [unrolled: 1-line block ×3, first 2 shown]
	v_lshrrev_b32_e32 v117, 16, v63
	v_and_b32_e32 v130, 0xffff, v63
	ds_load_2addr_b64 v[52:55], v98 offset0:128 offset1:160
	v_pk_fma_f16 v101, v48, v60, v101
	v_pk_fma_f16 v102, v48, v61, v102
	;; [unrolled: 1-line block ×8, first 2 shown]
	ds_load_2addr_b64 v[48:51], v98 offset0:192 offset1:224
	s_wait_dscnt 0x0
	s_barrier_signal -1
	s_barrier_wait -1
	v_pk_fma_f16 v109, v56, v60, v109
	v_pk_fma_f16 v110, v56, v61, v110
	;; [unrolled: 1-line block ×8, first 2 shown]
	s_clause 0x1
	global_load_b128 v[56:59], v[78:79], off
	global_load_b128 v[60:63], v[78:79], off offset:512
	v_mul_u32_u24_e32 v119, 0x10001, v119
	v_mul_u32_u24_e32 v118, 0x10001, v118
	;; [unrolled: 1-line block ×3, first 2 shown]
	s_wait_xcnt 0x0
	v_lshl_add_u64 v[78:79], s[24:25], 2, v[74:75]
	s_or_b32 s24, s4, 48
	v_pk_fma_f16 v101, v40, v119, v101
	v_pk_fma_f16 v40, v40, v118, v102
	v_pk_fma_f16 v102, v41, v119, v103
	v_pk_fma_f16 v41, v41, v118, v104
	v_pk_fma_f16 v103, v42, v119, v105
	v_pk_fma_f16 v42, v42, v118, v106
	v_pk_fma_f16 v104, v43, v119, v107
	v_pk_fma_f16 v43, v43, v118, v108
	v_mul_u32_u24_e32 v105, 0x10001, v121
	v_mul_u32_u24_e32 v106, 0x10001, v120
	v_mul_u32_u24_e32 v107, 0x10001, v123
	v_mul_u32_u24_e32 v108, 0x10001, v122
	v_pk_fma_f16 v109, v28, v119, v109
	v_pk_fma_f16 v111, v29, v119, v111
	v_pk_fma_f16 v113, v30, v119, v113
	v_pk_fma_f16 v115, v31, v119, v115
	v_pk_fma_f16 v28, v28, v118, v110
	v_pk_fma_f16 v29, v29, v118, v112
	v_pk_fma_f16 v30, v30, v118, v114
	v_pk_fma_f16 v31, v31, v118, v116
	v_pk_fma_f16 v101, v20, v105, v101
	v_pk_fma_f16 v20, v20, v106, v40
	v_pk_fma_f16 v40, v21, v105, v102
	v_pk_fma_f16 v21, v21, v106, v41
	v_pk_fma_f16 v41, v22, v105, v103
	v_pk_fma_f16 v22, v22, v106, v42
	v_pk_fma_f16 v42, v23, v105, v104
	v_pk_fma_f16 v23, v23, v106, v43
	v_mul_u32_u24_e32 v120, 0x10001, v125
	v_mul_u32_u24_e32 v121, 0x10001, v124
	v_pk_fma_f16 v43, v16, v105, v109
	v_pk_fma_f16 v16, v16, v106, v28
	v_pk_fma_f16 v28, v17, v105, v111
	v_pk_fma_f16 v17, v17, v106, v29
	v_pk_fma_f16 v29, v18, v105, v113
	v_pk_fma_f16 v18, v18, v106, v30
	v_pk_fma_f16 v30, v19, v105, v115
	v_pk_fma_f16 v19, v19, v106, v31
	v_pk_fma_f16 v31, v8, v107, v101
	v_pk_fma_f16 v8, v8, v108, v20
	v_pk_fma_f16 v20, v9, v107, v40
	v_pk_fma_f16 v9, v9, v108, v21
	v_pk_fma_f16 v21, v10, v107, v41
	v_pk_fma_f16 v10, v10, v108, v22
	v_pk_fma_f16 v22, v11, v107, v42
	v_pk_fma_f16 v11, v11, v108, v23
	v_mul_u32_u24_e32 v122, 0x10001, v127
	v_mul_u32_u24_e32 v123, 0x10001, v126
	v_pk_fma_f16 v23, v0, v107, v43
	v_pk_fma_f16 v28, v1, v107, v28
	v_pk_fma_f16 v29, v2, v107, v29
	v_pk_fma_f16 v30, v3, v107, v30
	v_pk_fma_f16 v0, v0, v108, v16
	v_pk_fma_f16 v1, v1, v108, v17
	v_pk_fma_f16 v2, v2, v108, v18
	v_pk_fma_f16 v3, v3, v108, v19
	v_pk_fma_f16 v16, v4, v120, v31
	v_pk_fma_f16 v4, v4, v121, v8
	v_pk_fma_f16 v8, v5, v120, v20
	v_pk_fma_f16 v5, v5, v121, v9
	v_pk_fma_f16 v9, v6, v120, v21
	v_pk_fma_f16 v6, v6, v121, v10
	v_pk_fma_f16 v10, v7, v120, v22
	v_pk_fma_f16 v7, v7, v121, v11
	v_mul_u32_u24_e32 v124, 0x10001, v129
	v_mul_u32_u24_e32 v125, 0x10001, v128
	v_pk_fma_f16 v11, v12, v120, v23
	v_pk_fma_f16 v0, v12, v121, v0
	;; [unrolled: 1-line block ×16, first 2 shown]
	v_mul_u32_u24_e32 v126, 0x10001, v130
	v_pk_fma_f16 v15, v36, v124, v15
	v_pk_fma_f16 v4, v36, v125, v4
	;; [unrolled: 1-line block ×16, first 2 shown]
	s_wait_loadcnt 0x1
	ds_store_b128 v90, v[56:59]
	s_wait_loadcnt 0x0
	ds_store_b128 v91, v[60:63]
	s_wait_dscnt 0x0
	s_barrier_signal -1
	s_barrier_wait -1
	ds_load_b128 v[52:55], v89 offset:128
	v_pk_fma_f16 v11, v32, v122, v11
	v_pk_fma_f16 v0, v32, v123, v0
	;; [unrolled: 1-line block ×24, first 2 shown]
	ds_load_2addr_b64 v[48:51], v92 offset1:32
	ds_load_2addr_b64 v[56:59], v92 offset0:64 offset1:96
	ds_load_b128 v[60:63], v89 offset:144
	ds_load_2addr_b64 v[40:43], v92 offset0:128 offset1:160
	ds_load_2addr_b64 v[28:31], v92 offset0:192 offset1:224
	ds_load_2addr_b64 v[20:23], v100 offset1:32
	ds_load_2addr_b64 v[16:19], v100 offset0:64 offset1:96
	ds_load_2addr_b64 v[8:11], v100 offset0:128 offset1:160
	ds_load_2addr_b64 v[0:3], v100 offset0:192 offset1:224
	ds_load_2addr_b64 v[4:7], v99 offset1:32
	ds_load_2addr_b64 v[12:15], v99 offset0:64 offset1:96
	;; [unrolled: 4-line block ×3, first 2 shown]
	s_wait_dscnt 0xf
	v_and_b32_e32 v117, 0xffff, v52
	v_dual_lshrrev_b32 v52, 16, v52 :: v_dual_lshrrev_b32 v122, 16, v55
	v_dual_lshrrev_b32 v118, 16, v53 :: v_dual_lshrrev_b32 v120, 16, v54
	v_and_b32_e32 v119, 0xffff, v53
	v_and_b32_e32 v121, 0xffff, v54
	s_wait_dscnt 0xc
	v_lshrrev_b32_e32 v124, 16, v60
	v_and_b32_e32 v125, 0xffff, v60
	v_dual_lshrrev_b32 v126, 16, v61 :: v_dual_lshrrev_b32 v128, 16, v62
	v_and_b32_e32 v127, 0xffff, v61
	v_mul_u32_u24_e32 v60, 0x10001, v117
	v_mul_u32_u24_e32 v61, 0x10001, v52
	v_and_b32_e32 v123, 0xffff, v55
	v_and_b32_e32 v129, 0xffff, v62
	v_lshrrev_b32_e32 v117, 16, v63
	v_and_b32_e32 v130, 0xffff, v63
	ds_load_2addr_b64 v[52:55], v98 offset0:128 offset1:160
	v_pk_fma_f16 v101, v48, v60, v101
	v_pk_fma_f16 v102, v48, v61, v102
	;; [unrolled: 1-line block ×8, first 2 shown]
	ds_load_2addr_b64 v[48:51], v98 offset0:192 offset1:224
	s_wait_dscnt 0x0
	s_barrier_signal -1
	s_barrier_wait -1
	v_pk_fma_f16 v109, v56, v60, v109
	v_pk_fma_f16 v110, v56, v61, v110
	;; [unrolled: 1-line block ×8, first 2 shown]
	s_clause 0x1
	global_load_b128 v[56:59], v[78:79], off
	global_load_b128 v[60:63], v[78:79], off offset:512
	v_mul_u32_u24_e32 v119, 0x10001, v119
	v_mul_u32_u24_e32 v118, 0x10001, v118
	;; [unrolled: 1-line block ×3, first 2 shown]
	s_ashr_i32 s25, s24, 31
	s_wait_loadcnt 0x1
	ds_store_b128 v90, v[56:59]
	s_wait_loadcnt 0x0
	ds_store_b128 v91, v[60:63]
	v_pk_fma_f16 v101, v40, v119, v101
	v_pk_fma_f16 v40, v40, v118, v102
	;; [unrolled: 1-line block ×8, first 2 shown]
	v_mul_u32_u24_e32 v105, 0x10001, v121
	v_mul_u32_u24_e32 v106, 0x10001, v120
	;; [unrolled: 1-line block ×4, first 2 shown]
	v_pk_fma_f16 v109, v28, v119, v109
	v_pk_fma_f16 v111, v29, v119, v111
	v_pk_fma_f16 v113, v30, v119, v113
	v_pk_fma_f16 v115, v31, v119, v115
	v_pk_fma_f16 v28, v28, v118, v110
	v_pk_fma_f16 v29, v29, v118, v112
	v_pk_fma_f16 v30, v30, v118, v114
	v_pk_fma_f16 v31, v31, v118, v116
	v_pk_fma_f16 v101, v20, v105, v101
	v_pk_fma_f16 v20, v20, v106, v40
	v_pk_fma_f16 v40, v21, v105, v102
	v_pk_fma_f16 v21, v21, v106, v41
	v_pk_fma_f16 v41, v22, v105, v103
	v_pk_fma_f16 v22, v22, v106, v42
	v_pk_fma_f16 v42, v23, v105, v104
	v_pk_fma_f16 v23, v23, v106, v43
	v_mul_u32_u24_e32 v120, 0x10001, v125
	v_mul_u32_u24_e32 v121, 0x10001, v124
	v_pk_fma_f16 v43, v16, v105, v109
	v_pk_fma_f16 v16, v16, v106, v28
	v_pk_fma_f16 v28, v17, v105, v111
	v_pk_fma_f16 v17, v17, v106, v29
	v_pk_fma_f16 v29, v18, v105, v113
	v_pk_fma_f16 v18, v18, v106, v30
	v_pk_fma_f16 v30, v19, v105, v115
	v_pk_fma_f16 v19, v19, v106, v31
	v_pk_fma_f16 v31, v8, v107, v101
	v_pk_fma_f16 v8, v8, v108, v20
	v_pk_fma_f16 v20, v9, v107, v40
	v_pk_fma_f16 v9, v9, v108, v21
	v_pk_fma_f16 v21, v10, v107, v41
	v_pk_fma_f16 v10, v10, v108, v22
	v_pk_fma_f16 v22, v11, v107, v42
	v_pk_fma_f16 v11, v11, v108, v23
	v_mul_u32_u24_e32 v122, 0x10001, v127
	v_mul_u32_u24_e32 v123, 0x10001, v126
	;; [unrolled: 18-line block ×3, first 2 shown]
	v_pk_fma_f16 v11, v12, v120, v23
	v_pk_fma_f16 v0, v12, v121, v0
	;; [unrolled: 1-line block ×16, first 2 shown]
	v_mul_u32_u24_e32 v126, 0x10001, v130
	v_pk_fma_f16 v15, v36, v124, v15
	v_pk_fma_f16 v4, v36, v125, v4
	;; [unrolled: 1-line block ×16, first 2 shown]
	s_wait_dscnt 0x0
	s_barrier_signal -1
	s_barrier_wait -1
	ds_load_b128 v[52:55], v89 offset:160
	v_pk_fma_f16 v11, v32, v122, v11
	v_pk_fma_f16 v0, v32, v123, v0
	;; [unrolled: 1-line block ×24, first 2 shown]
	ds_load_2addr_b64 v[48:51], v92 offset1:32
	ds_load_2addr_b64 v[56:59], v92 offset0:64 offset1:96
	ds_load_b128 v[60:63], v89 offset:176
	ds_load_2addr_b64 v[40:43], v92 offset0:128 offset1:160
	ds_load_2addr_b64 v[28:31], v92 offset0:192 offset1:224
	ds_load_2addr_b64 v[20:23], v100 offset1:32
	ds_load_2addr_b64 v[16:19], v100 offset0:64 offset1:96
	ds_load_2addr_b64 v[8:11], v100 offset0:128 offset1:160
	ds_load_2addr_b64 v[0:3], v100 offset0:192 offset1:224
	ds_load_2addr_b64 v[4:7], v99 offset1:32
	ds_load_2addr_b64 v[12:15], v99 offset0:64 offset1:96
	;; [unrolled: 4-line block ×3, first 2 shown]
	s_wait_dscnt 0xf
	v_and_b32_e32 v117, 0xffff, v52
	v_lshrrev_b32_e32 v52, 16, v52
	s_mul_u64 s[24:25], s[24:25], s[10:11]
	v_lshrrev_b32_e32 v122, 16, v55
	v_lshl_add_u64 v[78:79], s[24:25], 2, v[74:75]
	v_dual_lshrrev_b32 v118, 16, v53 :: v_dual_lshrrev_b32 v120, 16, v54
	s_wait_dscnt 0xc
	v_lshrrev_b32_e32 v124, 16, v60
	v_and_b32_e32 v125, 0xffff, v60
	v_dual_lshrrev_b32 v126, 16, v61 :: v_dual_lshrrev_b32 v128, 16, v62
	v_and_b32_e32 v127, 0xffff, v61
	v_mul_u32_u24_e32 v60, 0x10001, v117
	v_mul_u32_u24_e32 v61, 0x10001, v52
	v_and_b32_e32 v119, 0xffff, v53
	v_and_b32_e32 v121, 0xffff, v54
	v_and_b32_e32 v123, 0xffff, v55
	v_and_b32_e32 v129, 0xffff, v62
	v_lshrrev_b32_e32 v117, 16, v63
	v_and_b32_e32 v130, 0xffff, v63
	ds_load_2addr_b64 v[52:55], v98 offset0:128 offset1:160
	v_pk_fma_f16 v101, v48, v60, v101
	v_pk_fma_f16 v102, v48, v61, v102
	v_pk_fma_f16 v103, v49, v60, v103
	v_pk_fma_f16 v104, v49, v61, v104
	v_pk_fma_f16 v105, v50, v60, v105
	v_pk_fma_f16 v106, v50, v61, v106
	v_pk_fma_f16 v107, v51, v60, v107
	v_pk_fma_f16 v108, v51, v61, v108
	ds_load_2addr_b64 v[48:51], v98 offset0:192 offset1:224
	s_wait_dscnt 0x0
	s_barrier_signal -1
	s_barrier_wait -1
	v_pk_fma_f16 v109, v56, v60, v109
	v_pk_fma_f16 v110, v56, v61, v110
	;; [unrolled: 1-line block ×8, first 2 shown]
	s_clause 0x1
	global_load_b128 v[56:59], v[78:79], off
	global_load_b128 v[60:63], v[78:79], off offset:512
	s_wait_xcnt 0x0
	v_mul_u32_u24_e32 v78, 0x10001, v119
	v_mul_u32_u24_e32 v79, 0x10001, v118
	;; [unrolled: 1-line block ×5, first 2 shown]
	v_pk_fma_f16 v101, v40, v78, v101
	v_pk_fma_f16 v102, v40, v79, v102
	;; [unrolled: 1-line block ×8, first 2 shown]
	v_mul_u32_u24_e32 v107, 0x10001, v121
	v_mul_u32_u24_e32 v108, 0x10001, v120
	v_pk_fma_f16 v109, v28, v78, v109
	v_pk_fma_f16 v111, v29, v78, v111
	;; [unrolled: 1-line block ×24, first 2 shown]
	v_mul_u32_u24_e32 v120, 0x10001, v125
	v_mul_u32_u24_e32 v121, 0x10001, v124
	v_pk_fma_f16 v31, v8, v118, v79
	v_pk_fma_f16 v8, v8, v119, v20
	;; [unrolled: 1-line block ×16, first 2 shown]
	v_mul_u32_u24_e32 v123, 0x10001, v126
	v_pk_fma_f16 v16, v4, v120, v31
	v_pk_fma_f16 v4, v4, v121, v8
	;; [unrolled: 1-line block ×24, first 2 shown]
	s_wait_loadcnt 0x1
	ds_store_b128 v90, v[56:59]
	s_wait_loadcnt 0x0
	ds_store_b128 v91, v[60:63]
	s_wait_dscnt 0x0
	s_barrier_signal -1
	s_barrier_wait -1
	ds_load_b128 v[32:35], v89 offset:192
	v_mul_u32_u24_e32 v125, 0x10001, v128
	v_pk_fma_f16 v4, v24, v123, v4
	v_pk_fma_f16 v5, v25, v123, v5
	v_pk_fma_f16 v6, v26, v123, v6
	v_pk_fma_f16 v7, v27, v123, v7
	v_mul_u32_u24_e32 v124, 0x10001, v129
	v_pk_fma_f16 v15, v24, v122, v16
	v_pk_fma_f16 v8, v25, v122, v8
	v_pk_fma_f16 v9, v26, v122, v9
	v_pk_fma_f16 v10, v27, v122, v10
	;; [unrolled: 5-line block ×3, first 2 shown]
	v_pk_fma_f16 v0, v44, v125, v0
	v_pk_fma_f16 v1, v45, v125, v1
	;; [unrolled: 1-line block ×4, first 2 shown]
	v_mul_u32_u24_e32 v126, 0x10001, v130
	v_pk_fma_f16 v15, v36, v124, v15
	v_pk_fma_f16 v8, v37, v124, v8
	;; [unrolled: 1-line block ×8, first 2 shown]
	s_or_b32 s24, s4, 56
	v_pk_fma_f16 v79, v52, v117, v4
	v_pk_fma_f16 v106, v53, v117, v5
	;; [unrolled: 1-line block ×8, first 2 shown]
	s_wait_dscnt 0x0
	v_and_b32_e32 v117, 0xffff, v32
	v_lshrrev_b32_e32 v32, 16, v32
	s_ashr_i32 s25, s24, 31
	v_pk_fma_f16 v78, v52, v126, v15
	v_pk_fma_f16 v101, v53, v126, v8
	;; [unrolled: 1-line block ×8, first 2 shown]
	ds_load_2addr_b64 v[36:39], v92 offset1:32
	ds_load_2addr_b64 v[42:45], v92 offset0:64 offset1:96
	ds_load_b128 v[46:49], v89 offset:208
	ds_load_2addr_b64 v[50:53], v92 offset0:128 offset1:160
	ds_load_2addr_b64 v[28:31], v92 offset0:192 offset1:224
	ds_load_2addr_b64 v[20:23], v100 offset1:32
	ds_load_2addr_b64 v[16:19], v100 offset0:64 offset1:96
	ds_load_2addr_b64 v[8:11], v100 offset0:128 offset1:160
	ds_load_2addr_b64 v[0:3], v100 offset0:192 offset1:224
	ds_load_2addr_b64 v[4:7], v99 offset1:32
	ds_load_2addr_b64 v[12:15], v99 offset0:64 offset1:96
	ds_load_2addr_b64 v[24:27], v99 offset0:128 offset1:160
	ds_load_2addr_b64 v[54:57], v99 offset0:192 offset1:224
	ds_load_2addr_b64 v[58:61], v98 offset1:32
	ds_load_2addr_b64 v[102:105], v98 offset0:64 offset1:96
	s_mul_u64 s[24:25], s[24:25], s[10:11]
	v_mul_u32_u24_e32 v117, 0x10001, v117
	v_lshl_add_u64 v[40:41], s[24:25], 2, v[74:75]
	v_mul_u32_u24_e32 v130, 0x10001, v32
	v_dual_lshrrev_b32 v118, 16, v33 :: v_dual_lshrrev_b32 v120, 16, v34
	v_and_b32_e32 v119, 0xffff, v33
	v_and_b32_e32 v121, 0xffff, v34
	s_wait_dscnt 0xc
	v_dual_lshrrev_b32 v122, 16, v35 :: v_dual_lshrrev_b32 v124, 16, v46
	v_and_b32_e32 v123, 0xffff, v35
	v_and_b32_e32 v125, 0xffff, v46
	v_dual_lshrrev_b32 v126, 16, v47 :: v_dual_lshrrev_b32 v128, 16, v48
	v_and_b32_e32 v127, 0xffff, v47
	v_and_b32_e32 v129, 0xffff, v48
	v_lshrrev_b32_e32 v131, 16, v49
	v_and_b32_e32 v132, 0xffff, v49
	ds_load_2addr_b64 v[32:35], v98 offset0:128 offset1:160
	v_pk_fma_f16 v78, v36, v117, v78
	v_pk_fma_f16 v79, v36, v130, v79
	;; [unrolled: 1-line block ×8, first 2 shown]
	ds_load_2addr_b64 v[46:49], v98 offset0:192 offset1:224
	s_wait_dscnt 0x0
	s_barrier_signal -1
	s_barrier_wait -1
	v_pk_fma_f16 v111, v42, v117, v111
	v_pk_fma_f16 v112, v42, v130, v112
	;; [unrolled: 1-line block ×4, first 2 shown]
	s_clause 0x1
	global_load_b128 v[36:39], v[40:41], off
	global_load_b128 v[40:43], v[40:41], off offset:512
	v_pk_fma_f16 v62, v44, v117, v62
	v_pk_fma_f16 v44, v44, v130, v63
	;; [unrolled: 1-line block ×4, first 2 shown]
	v_mul_u32_u24_e32 v115, 0x10001, v119
	v_mul_u32_u24_e32 v116, 0x10001, v118
	;; [unrolled: 1-line block ×5, first 2 shown]
	v_pk_fma_f16 v78, v50, v115, v78
	v_pk_fma_f16 v50, v50, v116, v79
	;; [unrolled: 1-line block ×16, first 2 shown]
	v_mul_u32_u24_e32 v120, 0x10001, v122
	v_pk_fma_f16 v44, v20, v117, v78
	v_pk_fma_f16 v20, v20, v118, v50
	;; [unrolled: 1-line block ×16, first 2 shown]
	v_mul_u32_u24_e32 v121, 0x10001, v125
	v_mul_u32_u24_e32 v122, 0x10001, v124
	v_pk_fma_f16 v31, v8, v119, v44
	v_pk_fma_f16 v8, v8, v120, v20
	;; [unrolled: 1-line block ×16, first 2 shown]
	s_wait_loadcnt 0x1
	ds_store_b128 v90, v[36:39]
	s_wait_loadcnt 0x0
	ds_store_b128 v91, v[40:43]
	s_wait_dscnt 0x0
	s_barrier_signal -1
	s_barrier_wait -1
	ds_load_b128 v[36:39], v89 offset:224
	v_mul_u32_u24_e32 v123, 0x10001, v127
	v_mul_u32_u24_e32 v124, 0x10001, v126
	v_pk_fma_f16 v16, v4, v121, v31
	v_pk_fma_f16 v4, v4, v122, v8
	v_pk_fma_f16 v8, v5, v121, v20
	v_pk_fma_f16 v5, v5, v122, v9
	v_pk_fma_f16 v9, v6, v121, v21
	v_pk_fma_f16 v6, v6, v122, v10
	v_pk_fma_f16 v10, v7, v121, v22
	v_pk_fma_f16 v7, v7, v122, v11
	v_pk_fma_f16 v11, v12, v121, v23
	v_pk_fma_f16 v0, v12, v122, v0
	v_pk_fma_f16 v12, v13, v121, v28
	v_pk_fma_f16 v1, v13, v122, v1
	v_pk_fma_f16 v13, v14, v121, v29
	v_pk_fma_f16 v2, v14, v122, v2
	v_pk_fma_f16 v14, v15, v121, v30
	v_pk_fma_f16 v3, v15, v122, v3
	v_mul_u32_u24_e32 v125, 0x10001, v129
	v_mul_u32_u24_e32 v126, 0x10001, v128
	v_pk_fma_f16 v15, v24, v123, v16
	v_pk_fma_f16 v4, v24, v124, v4
	v_pk_fma_f16 v8, v25, v123, v8
	v_pk_fma_f16 v5, v25, v124, v5
	v_pk_fma_f16 v9, v26, v123, v9
	v_pk_fma_f16 v6, v26, v124, v6
	v_pk_fma_f16 v10, v27, v123, v10
	v_pk_fma_f16 v7, v27, v124, v7
	v_pk_fma_f16 v11, v54, v123, v11
	v_pk_fma_f16 v0, v54, v124, v0
	v_pk_fma_f16 v12, v55, v123, v12
	v_pk_fma_f16 v1, v55, v124, v1
	v_pk_fma_f16 v13, v56, v123, v13
	v_pk_fma_f16 v2, v56, v124, v2
	v_pk_fma_f16 v14, v57, v123, v14
	v_pk_fma_f16 v3, v57, v124, v3
	v_mul_u32_u24_e32 v127, 0x10001, v132
	v_mul_u32_u24_e32 v128, 0x10001, v131
	v_pk_fma_f16 v15, v58, v125, v15
	v_pk_fma_f16 v4, v58, v126, v4
	v_pk_fma_f16 v8, v59, v125, v8
	v_pk_fma_f16 v5, v59, v126, v5
	v_pk_fma_f16 v9, v60, v125, v9
	v_pk_fma_f16 v6, v60, v126, v6
	v_pk_fma_f16 v10, v61, v125, v10
	v_pk_fma_f16 v7, v61, v126, v7
	v_pk_fma_f16 v11, v102, v125, v11
	v_pk_fma_f16 v0, v102, v126, v0
	v_pk_fma_f16 v12, v103, v125, v12
	v_pk_fma_f16 v1, v103, v126, v1
	v_pk_fma_f16 v13, v104, v125, v13
	v_pk_fma_f16 v2, v104, v126, v2
	v_pk_fma_f16 v14, v105, v125, v14
	v_pk_fma_f16 v3, v105, v126, v3
	v_pk_fma_f16 v78, v32, v127, v15
	v_pk_fma_f16 v79, v32, v128, v4
	;; [unrolled: 1-line block ×16, first 2 shown]
	ds_load_2addr_b64 v[4:7], v92 offset1:32
	ds_load_2addr_b64 v[0:3], v92 offset0:64 offset1:96
	ds_load_b128 v[32:35], v89 offset:240
	ds_load_2addr_b64 v[12:15], v92 offset0:128 offset1:160
	ds_load_2addr_b64 v[8:11], v92 offset0:192 offset1:224
	ds_load_2addr_b64 v[20:23], v100 offset1:32
	ds_load_2addr_b64 v[16:19], v100 offset0:64 offset1:96
	ds_load_2addr_b64 v[28:31], v100 offset0:128 offset1:160
	ds_load_2addr_b64 v[24:27], v100 offset0:192 offset1:224
	ds_load_2addr_b64 v[40:43], v99 offset1:32
	ds_load_2addr_b64 v[44:47], v99 offset0:64 offset1:96
	;; [unrolled: 4-line block ×3, first 2 shown]
	ds_load_2addr_b64 v[100:103], v98 offset0:128 offset1:160
	s_wait_dscnt 0x10
	v_and_b32_e32 v99, 0xffff, v36
	v_dual_lshrrev_b32 v36, 16, v36 :: v_dual_lshrrev_b32 v118, 16, v37
	v_lshrrev_b32_e32 v119, 16, v38
	v_and_b32_e32 v37, 0xffff, v37
	v_and_b32_e32 v120, 0xffff, v39
	s_wait_dscnt 0xd
	v_dual_lshrrev_b32 v39, 16, v39 :: v_dual_lshrrev_b32 v121, 16, v32
	v_and_b32_e32 v122, 0xffff, v32
	v_dual_lshrrev_b32 v123, 16, v33 :: v_dual_lshrrev_b32 v125, 16, v34
	v_and_b32_e32 v124, 0xffff, v33
	v_and_b32_e32 v126, 0xffff, v34
	v_lshrrev_b32_e32 v127, 16, v35
	v_and_b32_e32 v128, 0xffff, v35
	ds_load_2addr_b64 v[32:35], v98 offset0:192 offset1:224
	v_mul_u32_u24_e32 v98, 0x10001, v99
	v_mul_u32_u24_e32 v36, 0x10001, v36
	v_and_b32_e32 v38, 0xffff, v38
	v_mul_u32_u24_e32 v37, 0x10001, v37
	v_mul_u32_u24_e32 v99, 0x10001, v118
	v_pk_fma_f16 v78, v4, v98, v78
	v_pk_fma_f16 v4, v4, v36, v79
	;; [unrolled: 1-line block ×16, first 2 shown]
	v_mul_u32_u24_e32 v38, 0x10001, v38
	v_mul_u32_u24_e32 v118, 0x10001, v119
	s_wait_dscnt 0xd
	v_pk_fma_f16 v36, v12, v37, v78
	v_pk_fma_f16 v4, v12, v99, v4
	;; [unrolled: 1-line block ×8, first 2 shown]
	s_wait_dscnt 0xc
	v_pk_fma_f16 v15, v8, v37, v106
	v_pk_fma_f16 v78, v9, v37, v107
	;; [unrolled: 1-line block ×8, first 2 shown]
	v_mul_u32_u24_e32 v119, 0x10001, v120
	v_mul_u32_u24_e32 v39, 0x10001, v39
	s_wait_dscnt 0xb
	v_pk_fma_f16 v8, v20, v38, v36
	v_pk_fma_f16 v4, v20, v118, v4
	;; [unrolled: 1-line block ×8, first 2 shown]
	s_wait_dscnt 0xa
	v_pk_fma_f16 v12, v16, v38, v15
	v_pk_fma_f16 v0, v16, v118, v0
	;; [unrolled: 1-line block ×8, first 2 shown]
	s_wait_dscnt 0x0
	s_barrier_signal -1
	s_barrier_wait -1
	s_load_b32 s5, s[8:9], 0x4
	v_mul_u32_u24_e32 v120, 0x10001, v122
	v_mul_u32_u24_e32 v121, 0x10001, v121
	v_pk_fma_f16 v8, v28, v119, v8
	v_pk_fma_f16 v4, v28, v39, v4
	v_pk_fma_f16 v9, v29, v119, v9
	v_pk_fma_f16 v5, v29, v39, v5
	v_pk_fma_f16 v10, v30, v119, v10
	v_pk_fma_f16 v6, v30, v39, v6
	v_pk_fma_f16 v11, v31, v119, v11
	v_pk_fma_f16 v7, v31, v39, v7
	v_pk_fma_f16 v12, v24, v119, v12
	v_pk_fma_f16 v0, v24, v39, v0
	v_pk_fma_f16 v13, v25, v119, v13
	v_pk_fma_f16 v1, v25, v39, v1
	v_pk_fma_f16 v14, v26, v119, v14
	v_pk_fma_f16 v2, v26, v39, v2
	v_pk_fma_f16 v15, v27, v119, v15
	v_pk_fma_f16 v3, v27, v39, v3
	v_mul_u32_u24_e32 v122, 0x10001, v124
	v_mul_u32_u24_e32 v123, 0x10001, v123
	v_pk_fma_f16 v8, v40, v120, v8
	v_pk_fma_f16 v4, v40, v121, v4
	v_pk_fma_f16 v9, v41, v120, v9
	v_pk_fma_f16 v5, v41, v121, v5
	v_pk_fma_f16 v10, v42, v120, v10
	v_pk_fma_f16 v6, v42, v121, v6
	v_pk_fma_f16 v11, v43, v120, v11
	v_pk_fma_f16 v7, v43, v121, v7
	v_pk_fma_f16 v12, v44, v120, v12
	v_pk_fma_f16 v0, v44, v121, v0
	v_pk_fma_f16 v13, v45, v120, v13
	v_pk_fma_f16 v1, v45, v121, v1
	v_pk_fma_f16 v14, v46, v120, v14
	v_pk_fma_f16 v2, v46, v121, v2
	v_pk_fma_f16 v15, v47, v120, v15
	v_pk_fma_f16 v3, v47, v121, v3
	;; [unrolled: 18-line block ×4, first 2 shown]
	s_wait_kmcnt 0x0
	s_lshl_b32 s5, s5, 6
	v_pk_fma_f16 v60, v100, v126, v8
	v_pk_fma_f16 v62, v100, v127, v4
	;; [unrolled: 1-line block ×16, first 2 shown]
	s_add_co_i32 s4, s5, s4
	s_delay_alu instid0(SALU_CYCLE_1)
	s_cmp_ge_i32 s4, s28
	s_cbranch_scc1 .LBB24_31
; %bb.30:                               ;   in Loop: Header=BB24_13 Depth=1
	v_dual_mov_b32 v23, v76 :: v_dual_mov_b32 v22, v77
	s_branch .LBB24_13
.LBB24_31:
	v_mov_b32_e32 v0, v83
.LBB24_32:
	v_cmp_lt_i32_e32 vcc_lo, v97, v84
	s_cmp_lg_u64 s[12:13], 0
	s_cselect_b32 s3, -1, 0
	s_cmp_eq_u32 s20, 0
	v_cndmask_b32_e32 v1, v0, v97, vcc_lo
	v_cmp_lt_i32_e32 vcc_lo, v93, v84
	s_cselect_b32 s4, -1, 0
	s_delay_alu instid0(SALU_CYCLE_1) | instskip(NEXT) | instid1(VALU_DEP_2)
	s_and_b32 s3, s4, s3
	v_lshlrev_b32_e32 v1, 2, v1
	ds_bpermute_b32 v2, v1, v66
	ds_bpermute_b32 v3, v1, v67
	v_cndmask_b32_e32 v1, v0, v93, vcc_lo
	v_cmp_lt_i32_e32 vcc_lo, v94, v84
	s_delay_alu instid0(VALU_DEP_2)
	v_lshlrev_b32_e32 v1, 2, v1
	s_wait_dscnt 0x0
	v_pk_add_f32 v[2:3], v[66:67], v[2:3]
	ds_bpermute_b32 v4, v1, v2
	ds_bpermute_b32 v5, v1, v3
	v_cndmask_b32_e32 v1, v0, v94, vcc_lo
	v_cmp_lt_i32_e32 vcc_lo, v95, v84
	s_delay_alu instid0(VALU_DEP_2)
	v_lshlrev_b32_e32 v1, 2, v1
	s_wait_dscnt 0x0
	v_pk_add_f32 v[2:3], v[2:3], v[4:5]
	ds_bpermute_b32 v4, v1, v2
	ds_bpermute_b32 v5, v1, v3
	v_cndmask_b32_e32 v1, v0, v95, vcc_lo
	v_cmp_lt_i32_e32 vcc_lo, v96, v84
	s_delay_alu instid0(VALU_DEP_2) | instskip(SKIP_2) | instid1(VALU_DEP_1)
	v_dual_cndmask_b32 v0, v0, v96 :: v_dual_lshlrev_b32 v1, 2, v1
	s_and_b32 vcc_lo, exec_lo, s3
	s_mov_b32 s3, 0
	v_lshlrev_b32_e32 v6, 2, v0
	s_wait_dscnt 0x0
	v_pk_add_f32 v[2:3], v[2:3], v[4:5]
	ds_bpermute_b32 v4, v1, v2
	ds_bpermute_b32 v5, v1, v3
	s_wait_dscnt 0x0
	v_pk_add_f32 v[0:1], v[2:3], v[4:5]
	v_add_nc_u32_e32 v2, s33, v64
	ds_bpermute_b32 v4, v6, v0
	ds_bpermute_b32 v5, v6, v1
	s_cbranch_vccnz .LBB24_35
; %bb.33:
	v_add_nc_u32_e32 v3, s33, v64
	s_wait_dscnt 0x0
	v_pk_add_f32 v[0:1], v[0:1], v[4:5]
	s_and_not1_b32 vcc_lo, exec_lo, s3
	s_cbranch_vccz .LBB24_36
; %bb.34:
	v_mov_b32_e32 v2, v3
	s_branch .LBB24_37
.LBB24_35:
                                        ; implicit-def: $vgpr3
	s_wait_dscnt 0x0
	v_pk_add_f32 v[0:1], v[0:1], v[4:5]
.LBB24_36:
	v_dual_ashrrev_i32 v3, 31, v2 :: v_dual_max_num_f32 v7, v77, v77
	s_delay_alu instid0(VALU_DEP_1) | instskip(SKIP_4) | instid1(VALU_DEP_1)
	v_lshl_add_u64 v[4:5], v[2:3], 2, s[12:13]
	v_max_num_f32_e32 v3, v76, v76
	global_load_b64 v[4:5], v[4:5], off
	s_wait_loadcnt 0x0
	v_dual_max_num_f32 v6, v4, v4 :: v_dual_max_num_f32 v22, v5, v5
	v_max_num_f32_e32 v6, v3, v6
	s_delay_alu instid0(VALU_DEP_1) | instskip(NEXT) | instid1(VALU_DEP_3)
	v_sub_f32_e32 v3, v76, v6
	v_max_num_f32_e32 v7, v7, v22
	v_sub_f32_e32 v22, v4, v6
	s_delay_alu instid0(VALU_DEP_3) | instskip(NEXT) | instid1(VALU_DEP_3)
	v_mul_f32_e32 v4, 0x3fb8aa3b, v3
	v_sub_f32_e32 v23, v77, v7
	s_delay_alu instid0(VALU_DEP_3) | instskip(SKIP_1) | instid1(VALU_DEP_4)
	v_dual_sub_f32 v24, v5, v7 :: v_dual_mul_f32 v5, 0x3fb8aa3b, v22
	v_cmp_ngt_f32_e32 vcc_lo, 0xc2ce8ed0, v3
	v_fma_f32 v27, 0x3fb8aa3b, v3, -v4
	v_rndne_f32_e32 v28, v4
	s_delay_alu instid0(VALU_DEP_4) | instskip(SKIP_2) | instid1(VALU_DEP_4)
	v_dual_mul_f32 v25, 0x3fb8aa3b, v23 :: v_dual_mul_f32 v26, 0x3fb8aa3b, v24
	v_fma_f32 v29, 0x3fb8aa3b, v22, -v5
	v_rndne_f32_e32 v30, v5
	v_sub_f32_e32 v4, v4, v28
	s_delay_alu instid0(VALU_DEP_4)
	v_rndne_f32_e32 v32, v25
	v_rndne_f32_e32 v34, v26
	v_fmac_f32_e32 v27, 0x32a5705f, v3
	v_fma_f32 v31, 0x3fb8aa3b, v23, -v25
	v_fma_f32 v33, 0x3fb8aa3b, v24, -v26
	v_mov_b64_e32 v[76:77], v[6:7]
	v_dual_sub_f32 v26, v26, v34 :: v_dual_sub_f32 v25, v25, v32
	v_add_f32_e32 v4, v4, v27
	v_cvt_i32_f32_e32 v27, v28
	v_fmac_f32_e32 v33, 0x32a5705f, v24
	v_fmac_f32_e32 v31, 0x32a5705f, v23
	v_cvt_i32_f32_e32 v28, v32
	v_exp_f32_e32 v4, v4
	s_delay_alu instid0(VALU_DEP_3) | instskip(NEXT) | instid1(TRANS32_DEP_1)
	v_add_f32_e32 v26, v26, v33
	v_ldexp_f32 v4, v4, v27
	v_fmac_f32_e32 v29, 0x32a5705f, v22
	s_delay_alu instid0(VALU_DEP_3) | instskip(SKIP_1) | instid1(VALU_DEP_3)
	v_exp_f32_e32 v26, v26
	v_cvt_i32_f32_e32 v27, v34
	v_dual_cndmask_b32 v4, 0, v4 :: v_dual_add_f32 v25, v25, v31
	v_cmp_ngt_f32_e32 vcc_lo, 0xc2ce8ed0, v23
	s_delay_alu instid0(TRANS32_DEP_1) | instid1(VALU_DEP_3)
	v_ldexp_f32 v26, v26, v27
	s_delay_alu instid0(VALU_DEP_3) | instskip(SKIP_1) | instid1(TRANS32_DEP_1)
	v_exp_f32_e32 v25, v25
	v_nop
	v_ldexp_f32 v25, v25, v28
	s_delay_alu instid0(VALU_DEP_1) | instskip(NEXT) | instid1(VALU_DEP_1)
	v_dual_sub_f32 v5, v5, v30 :: v_dual_cndmask_b32 v25, 0, v25, vcc_lo
	v_add_f32_e32 v5, v5, v29
	v_cmp_nlt_f32_e32 vcc_lo, 0x42b17218, v3
	v_cvt_i32_f32_e32 v29, v30
	s_delay_alu instid0(VALU_DEP_3) | instskip(SKIP_2) | instid1(VALU_DEP_2)
	v_exp_f32_e32 v5, v5
	v_cndmask_b32_e32 v4, 0x7f800000, v4, vcc_lo
	v_cmp_nlt_f32_e32 vcc_lo, 0x42b17218, v23
	v_cvt_f16_f32_e32 v23, v4
	s_delay_alu instid0(TRANS32_DEP_1) | instskip(SKIP_2) | instid1(VALU_DEP_4)
	v_ldexp_f32 v3, v5, v29
	v_cndmask_b32_e32 v5, 0x7f800000, v25, vcc_lo
	v_cmp_ngt_f32_e32 vcc_lo, 0xc2ce8ed0, v22
	v_and_b32_e32 v27, 0xffff, v23
	s_delay_alu instid0(VALU_DEP_4)
	v_cndmask_b32_e32 v3, 0, v3, vcc_lo
	v_cmp_ngt_f32_e32 vcc_lo, 0xc2ce8ed0, v24
	v_cndmask_b32_e32 v25, 0, v26, vcc_lo
	v_cvt_f16_f32_e32 v26, v5
	v_cmp_nlt_f32_e32 vcc_lo, 0x42b17218, v22
	v_cndmask_b32_e32 v22, 0x7f800000, v3, vcc_lo
	v_cmp_nlt_f32_e32 vcc_lo, 0x42b17218, v24
	s_delay_alu instid0(VALU_DEP_4) | instskip(SKIP_2) | instid1(VALU_DEP_3)
	v_and_b32_e32 v3, 0xffff, v26
	v_mul_u32_u24_e32 v24, 0x10001, v27
	v_cndmask_b32_e32 v23, 0x7f800000, v25, vcc_lo
	v_mul_u32_u24_e32 v3, 0x10001, v3
	s_delay_alu instid0(VALU_DEP_3)
	v_pk_mul_f16 v60, v60, v24
	v_pk_mul_f16 v21, v21, v24
	;; [unrolled: 1-line block ×3, first 2 shown]
	v_pk_fma_f32 v[0:1], v[0:1], v[4:5], v[22:23]
	v_pk_mul_f16 v19, v19, v24
	v_pk_mul_f16 v18, v18, v24
	;; [unrolled: 1-line block ×13, first 2 shown]
.LBB24_37:
	s_load_b32 s0, s[0:1], 0xd4
	v_mov_b32_e32 v4, 1.0
	s_wait_kmcnt 0x0
	s_cmp_lg_u32 s0, 1
	s_cselect_b32 s3, -1, 0
	s_cmp_eq_u32 s0, 1
	s_cselect_b32 s1, -1, 0
	s_and_b32 vcc_lo, exec_lo, s3
	s_cbranch_vccnz .LBB24_39
; %bb.38:
	v_div_scale_f32 v3, null, v0, v0, 1.0
	s_delay_alu instid0(VALU_DEP_1) | instskip(SKIP_1) | instid1(TRANS32_DEP_1)
	v_rcp_f32_e32 v4, v3
	v_nop
	v_fma_f32 v5, -v3, v4, 1.0
	s_delay_alu instid0(VALU_DEP_1) | instskip(SKIP_1) | instid1(VALU_DEP_1)
	v_fmac_f32_e32 v4, v5, v4
	v_div_scale_f32 v5, vcc_lo, 1.0, v0, 1.0
	v_mul_f32_e32 v6, v5, v4
	s_delay_alu instid0(VALU_DEP_1) | instskip(NEXT) | instid1(VALU_DEP_1)
	v_fma_f32 v7, -v3, v6, v5
	v_fmac_f32_e32 v6, v7, v4
	s_delay_alu instid0(VALU_DEP_1) | instskip(NEXT) | instid1(VALU_DEP_1)
	v_fma_f32 v3, -v3, v6, v5
	v_div_fmas_f32 v3, v3, v4, v6
	s_delay_alu instid0(VALU_DEP_1)
	v_div_fixup_f32 v4, v3, v0, 1.0
.LBB24_39:
	v_mad_u32 v3, s2, s22, v80
	v_dual_mov_b32 v7, 0 :: v_dual_lshrrev_b32 v6, 16, v21
	v_lshrrev_b32_e32 v5, 16, v60
	v_cvt_f32_f16_e32 v24, v21
	v_lshrrev_b32_e32 v21, 16, v20
	s_delay_alu instid0(VALU_DEP_4)
	v_cvt_f32_f16_e32 v25, v6
	v_cvt_f32_f16_e32 v26, v19
	;; [unrolled: 1-line block ×5, first 2 shown]
	v_mad_u32 v2, v3, s23, v2
	v_dual_lshrrev_b32 v3, 16, v19 :: v_dual_lshrrev_b32 v19, 16, v18
	v_dual_lshrrev_b32 v18, 16, v17 :: v_dual_lshrrev_b32 v17, 16, v16
	v_dual_mov_b32 v37, v7 :: v_dual_lshrrev_b32 v16, 16, v15
	v_cvt_f32_f16_e32 v22, v60
	v_cvt_f32_f16_e32 v23, v5
	;; [unrolled: 1-line block ×4, first 2 shown]
	v_mad_u32 v2, s0, v2, s20
	v_cvt_f32_f16_e32 v27, v3
	v_cvt_f32_f16_e32 v29, v19
	;; [unrolled: 1-line block ×3, first 2 shown]
	v_cmp_eq_u32_e32 vcc_lo, 0, v65
	v_cvt_f32_f16_e32 v34, v15
	v_cvt_f32_f16_e32 v33, v17
	;; [unrolled: 1-line block ×3, first 2 shown]
	v_pk_mul_f32 v[16:17], v[4:5], v[22:23] op_sel_hi:[0,1]
	v_pk_mul_f32 v[18:19], v[4:5], v[24:25] op_sel_hi:[0,1]
	;; [unrolled: 1-line block ×3, first 2 shown]
	v_lshl_add_u32 v6, v2, 9, v81
	v_mov_b32_e32 v39, v7
	v_pk_mul_f32 v[22:23], v[4:5], v[26:27] op_sel_hi:[0,1]
	v_pk_mul_f32 v[24:25], v[4:5], v[28:29] op_sel_hi:[0,1]
	;; [unrolled: 1-line block ×3, first 2 shown]
	v_add_nc_u32_e32 v36, 0x80, v6
	v_add_nc_u32_e32 v38, 0x100, v6
	v_lshl_add_u64 v[40:41], v[6:7], 2, s[16:17]
	v_add_nc_u32_e32 v6, 0x180, v6
	v_pk_mul_f32 v[28:29], v[4:5], v[32:33] op_sel_hi:[0,1]
	v_lshl_add_u64 v[36:37], v[36:37], 2, s[16:17]
	v_lshl_add_u64 v[38:39], v[38:39], 2, s[16:17]
	v_pk_mul_f32 v[30:31], v[4:5], v[34:35] op_sel_hi:[0,1]
	v_lshl_add_u64 v[6:7], v[6:7], 2, s[16:17]
	s_and_b32 s2, vcc_lo, s3
	s_clause 0x3
	global_store_b128 v[40:41], v[16:19], off
	global_store_b128 v[36:37], v[20:23], off
	;; [unrolled: 1-line block ×4, first 2 shown]
	s_wait_xcnt 0x0
	s_and_saveexec_b32 s3, s2
	s_cbranch_execz .LBB24_41
; %bb.40:
	v_dual_mov_b32 v4, v76 :: v_dual_mov_b32 v5, v0
	global_store_b64 v2, v[4:5], s[18:19] scale_offset
.LBB24_41:
	s_wait_xcnt 0x0
	s_or_b32 exec_lo, exec_lo, s3
	v_mov_b32_e32 v0, 1.0
	s_and_not1_b32 vcc_lo, exec_lo, s1
	s_cbranch_vccnz .LBB24_43
; %bb.42:
	v_div_scale_f32 v0, null, v1, v1, 1.0
	s_delay_alu instid0(VALU_DEP_1) | instskip(SKIP_1) | instid1(TRANS32_DEP_1)
	v_rcp_f32_e32 v3, v0
	v_nop
	v_fma_f32 v4, -v0, v3, 1.0
	s_delay_alu instid0(VALU_DEP_1) | instskip(SKIP_1) | instid1(VALU_DEP_1)
	v_fmac_f32_e32 v3, v4, v3
	v_div_scale_f32 v4, vcc_lo, 1.0, v1, 1.0
	v_mul_f32_e32 v5, v4, v3
	s_delay_alu instid0(VALU_DEP_1) | instskip(NEXT) | instid1(VALU_DEP_1)
	v_fma_f32 v6, -v0, v5, v4
	v_fmac_f32_e32 v5, v6, v3
	s_delay_alu instid0(VALU_DEP_1) | instskip(NEXT) | instid1(VALU_DEP_1)
	v_fma_f32 v0, -v0, v5, v4
	v_div_fmas_f32 v0, v0, v3, v5
	s_delay_alu instid0(VALU_DEP_1)
	v_div_fixup_f32 v0, v0, v1, 1.0
.LBB24_43:
	v_dual_mov_b32 v17, 0 :: v_dual_add_nc_u32 v2, s0, v2
	v_lshrrev_b32_e32 v3, 16, v62
	v_lshrrev_b32_e32 v7, 16, v14
	v_cvt_f32_f16_e32 v6, v14
	s_delay_alu instid0(VALU_DEP_4) | instskip(SKIP_3) | instid1(VALU_DEP_4)
	v_lshl_add_u32 v16, v2, 9, v81
	v_mov_b32_e32 v15, v17
	v_cvt_f32_f16_e32 v5, v3
	v_dual_lshrrev_b32 v3, 16, v13 :: v_dual_lshrrev_b32 v18, 16, v12
	v_dual_mov_b32 v25, v17 :: v_dual_add_nc_u32 v14, 0x80, v16
	v_dual_lshrrev_b32 v26, 16, v10 :: v_dual_lshrrev_b32 v28, 16, v8
	v_cvt_f32_f16_e32 v4, v62
	s_delay_alu instid0(VALU_DEP_3)
	v_lshl_add_u64 v[22:23], v[14:15], 2, s[16:17]
	v_cvt_f32_f16_e32 v15, v3
	v_cvt_f32_f16_e32 v14, v13
	v_lshrrev_b32_e32 v3, 16, v11
	v_cvt_f32_f16_e32 v19, v18
	v_cvt_f32_f16_e32 v18, v12
	;; [unrolled: 1-line block ×3, first 2 shown]
	v_pk_mul_f32 v[12:13], v[0:1], v[14:15] op_sel_hi:[0,1]
	v_add_nc_u32_e32 v24, 0x100, v16
	v_cvt_f32_f16_e32 v10, v10
	v_pk_mul_f32 v[14:15], v[0:1], v[18:19] op_sel_hi:[0,1]
	v_cvt_f32_f16_e32 v19, v3
	v_lshrrev_b32_e32 v3, 16, v9
	v_cvt_f32_f16_e32 v18, v11
	v_cvt_f32_f16_e32 v11, v26
	v_lshl_add_u64 v[20:21], v[16:17], 2, s[16:17]
	v_add_nc_u32_e32 v16, 0x180, v16
	v_cvt_f32_f16_e32 v27, v3
	v_cvt_f32_f16_e32 v26, v9
	;; [unrolled: 1-line block ×4, first 2 shown]
	v_pk_mul_f32 v[4:5], v[0:1], v[4:5] op_sel_hi:[0,1]
	v_pk_mul_f32 v[6:7], v[0:1], v[6:7] op_sel_hi:[0,1]
	v_lshl_add_u64 v[24:25], v[24:25], 2, s[16:17]
	v_pk_mul_f32 v[8:9], v[0:1], v[18:19] op_sel_hi:[0,1]
	v_pk_mul_f32 v[10:11], v[0:1], v[10:11] op_sel_hi:[0,1]
	v_lshl_add_u64 v[30:31], v[16:17], 2, s[16:17]
	v_pk_mul_f32 v[16:17], v[0:1], v[26:27] op_sel_hi:[0,1]
	v_pk_mul_f32 v[18:19], v[0:1], v[28:29] op_sel_hi:[0,1]
	s_clause 0x3
	global_store_b128 v[20:21], v[4:7], off
	global_store_b128 v[22:23], v[12:15], off
	;; [unrolled: 1-line block ×4, first 2 shown]
	s_wait_xcnt 0x0
	s_and_saveexec_b32 s0, s2
	s_cbranch_execz .LBB24_45
; %bb.44:
	v_mov_b32_e32 v0, v77
	global_store_b64 v2, v[0:1], s[18:19] scale_offset
.LBB24_45:
	s_sendmsg sendmsg(MSG_DEALLOC_VGPRS)
	s_endpgm
	.section	.rodata,"a",@progbits
	.p2align	6, 0x0
	.amdhsa_kernel _ZL15flash_attn_tileILi576ELi512ELi1ELi16ELb1EEvPKcS1_S1_S1_S1_PKiPfP15HIP_vector_typeIfLj2EEffffjfiS5_IjLj3EEiiiiiiiiiiiliiliiiiil
		.amdhsa_group_segment_fixed_size 29696
		.amdhsa_private_segment_fixed_size 0
		.amdhsa_kernarg_size 464
		.amdhsa_user_sgpr_count 2
		.amdhsa_user_sgpr_dispatch_ptr 0
		.amdhsa_user_sgpr_queue_ptr 0
		.amdhsa_user_sgpr_kernarg_segment_ptr 1
		.amdhsa_user_sgpr_dispatch_id 0
		.amdhsa_user_sgpr_kernarg_preload_length 0
		.amdhsa_user_sgpr_kernarg_preload_offset 0
		.amdhsa_user_sgpr_private_segment_size 0
		.amdhsa_wavefront_size32 1
		.amdhsa_uses_dynamic_stack 0
		.amdhsa_enable_private_segment 0
		.amdhsa_system_sgpr_workgroup_id_x 1
		.amdhsa_system_sgpr_workgroup_id_y 1
		.amdhsa_system_sgpr_workgroup_id_z 1
		.amdhsa_system_sgpr_workgroup_info 0
		.amdhsa_system_vgpr_workitem_id 1
		.amdhsa_next_free_vgpr 135
		.amdhsa_next_free_sgpr 43
		.amdhsa_named_barrier_count 0
		.amdhsa_reserve_vcc 1
		.amdhsa_float_round_mode_32 0
		.amdhsa_float_round_mode_16_64 0
		.amdhsa_float_denorm_mode_32 3
		.amdhsa_float_denorm_mode_16_64 3
		.amdhsa_fp16_overflow 0
		.amdhsa_memory_ordered 1
		.amdhsa_forward_progress 1
		.amdhsa_inst_pref_size 180
		.amdhsa_round_robin_scheduling 0
		.amdhsa_exception_fp_ieee_invalid_op 0
		.amdhsa_exception_fp_denorm_src 0
		.amdhsa_exception_fp_ieee_div_zero 0
		.amdhsa_exception_fp_ieee_overflow 0
		.amdhsa_exception_fp_ieee_underflow 0
		.amdhsa_exception_fp_ieee_inexact 0
		.amdhsa_exception_int_div_zero 0
	.end_amdhsa_kernel
	.section	.text._ZL15flash_attn_tileILi576ELi512ELi1ELi16ELb1EEvPKcS1_S1_S1_S1_PKiPfP15HIP_vector_typeIfLj2EEffffjfiS5_IjLj3EEiiiiiiiiiiiliiliiiiil,"axG",@progbits,_ZL15flash_attn_tileILi576ELi512ELi1ELi16ELb1EEvPKcS1_S1_S1_S1_PKiPfP15HIP_vector_typeIfLj2EEffffjfiS5_IjLj3EEiiiiiiiiiiiliiliiiiil,comdat
.Lfunc_end24:
	.size	_ZL15flash_attn_tileILi576ELi512ELi1ELi16ELb1EEvPKcS1_S1_S1_S1_PKiPfP15HIP_vector_typeIfLj2EEffffjfiS5_IjLj3EEiiiiiiiiiiiliiliiiiil, .Lfunc_end24-_ZL15flash_attn_tileILi576ELi512ELi1ELi16ELb1EEvPKcS1_S1_S1_S1_PKiPfP15HIP_vector_typeIfLj2EEffffjfiS5_IjLj3EEiiiiiiiiiiiliiliiiiil
                                        ; -- End function
	.set _ZL15flash_attn_tileILi576ELi512ELi1ELi16ELb1EEvPKcS1_S1_S1_S1_PKiPfP15HIP_vector_typeIfLj2EEffffjfiS5_IjLj3EEiiiiiiiiiiiliiliiiiil.num_vgpr, 135
	.set _ZL15flash_attn_tileILi576ELi512ELi1ELi16ELb1EEvPKcS1_S1_S1_S1_PKiPfP15HIP_vector_typeIfLj2EEffffjfiS5_IjLj3EEiiiiiiiiiiiliiliiiiil.num_agpr, 0
	.set _ZL15flash_attn_tileILi576ELi512ELi1ELi16ELb1EEvPKcS1_S1_S1_S1_PKiPfP15HIP_vector_typeIfLj2EEffffjfiS5_IjLj3EEiiiiiiiiiiiliiliiiiil.numbered_sgpr, 43
	.set _ZL15flash_attn_tileILi576ELi512ELi1ELi16ELb1EEvPKcS1_S1_S1_S1_PKiPfP15HIP_vector_typeIfLj2EEffffjfiS5_IjLj3EEiiiiiiiiiiiliiliiiiil.num_named_barrier, 0
	.set _ZL15flash_attn_tileILi576ELi512ELi1ELi16ELb1EEvPKcS1_S1_S1_S1_PKiPfP15HIP_vector_typeIfLj2EEffffjfiS5_IjLj3EEiiiiiiiiiiiliiliiiiil.private_seg_size, 0
	.set _ZL15flash_attn_tileILi576ELi512ELi1ELi16ELb1EEvPKcS1_S1_S1_S1_PKiPfP15HIP_vector_typeIfLj2EEffffjfiS5_IjLj3EEiiiiiiiiiiiliiliiiiil.uses_vcc, 1
	.set _ZL15flash_attn_tileILi576ELi512ELi1ELi16ELb1EEvPKcS1_S1_S1_S1_PKiPfP15HIP_vector_typeIfLj2EEffffjfiS5_IjLj3EEiiiiiiiiiiiliiliiiiil.uses_flat_scratch, 0
	.set _ZL15flash_attn_tileILi576ELi512ELi1ELi16ELb1EEvPKcS1_S1_S1_S1_PKiPfP15HIP_vector_typeIfLj2EEffffjfiS5_IjLj3EEiiiiiiiiiiiliiliiiiil.has_dyn_sized_stack, 0
	.set _ZL15flash_attn_tileILi576ELi512ELi1ELi16ELb1EEvPKcS1_S1_S1_S1_PKiPfP15HIP_vector_typeIfLj2EEffffjfiS5_IjLj3EEiiiiiiiiiiiliiliiiiil.has_recursion, 0
	.set _ZL15flash_attn_tileILi576ELi512ELi1ELi16ELb1EEvPKcS1_S1_S1_S1_PKiPfP15HIP_vector_typeIfLj2EEffffjfiS5_IjLj3EEiiiiiiiiiiiliiliiiiil.has_indirect_call, 0
	.section	.AMDGPU.csdata,"",@progbits
; Kernel info:
; codeLenInByte = 23016
; TotalNumSgprs: 45
; NumVgprs: 135
; ScratchSize: 0
; MemoryBound: 0
; FloatMode: 240
; IeeeMode: 1
; LDSByteSize: 29696 bytes/workgroup (compile time only)
; SGPRBlocks: 0
; VGPRBlocks: 8
; NumSGPRsForWavesPerEU: 45
; NumVGPRsForWavesPerEU: 135
; NamedBarCnt: 0
; Occupancy: 7
; WaveLimiterHint : 1
; COMPUTE_PGM_RSRC2:SCRATCH_EN: 0
; COMPUTE_PGM_RSRC2:USER_SGPR: 2
; COMPUTE_PGM_RSRC2:TRAP_HANDLER: 0
; COMPUTE_PGM_RSRC2:TGID_X_EN: 1
; COMPUTE_PGM_RSRC2:TGID_Y_EN: 1
; COMPUTE_PGM_RSRC2:TGID_Z_EN: 1
; COMPUTE_PGM_RSRC2:TIDIG_COMP_CNT: 1
	.section	.text._ZL15flash_attn_tileILi576ELi512ELi8ELi4ELb1EEvPKcS1_S1_S1_S1_PKiPfP15HIP_vector_typeIfLj2EEffffjfiS5_IjLj3EEiiiiiiiiiiiliiliiiiil,"axG",@progbits,_ZL15flash_attn_tileILi576ELi512ELi8ELi4ELb1EEvPKcS1_S1_S1_S1_PKiPfP15HIP_vector_typeIfLj2EEffffjfiS5_IjLj3EEiiiiiiiiiiiliiliiiiil,comdat
	.globl	_ZL15flash_attn_tileILi576ELi512ELi8ELi4ELb1EEvPKcS1_S1_S1_S1_PKiPfP15HIP_vector_typeIfLj2EEffffjfiS5_IjLj3EEiiiiiiiiiiiliiliiiiil ; -- Begin function _ZL15flash_attn_tileILi576ELi512ELi8ELi4ELb1EEvPKcS1_S1_S1_S1_PKiPfP15HIP_vector_typeIfLj2EEffffjfiS5_IjLj3EEiiiiiiiiiiiliiliiiiil
	.p2align	8
	.type	_ZL15flash_attn_tileILi576ELi512ELi8ELi4ELb1EEvPKcS1_S1_S1_S1_PKiPfP15HIP_vector_typeIfLj2EEffffjfiS5_IjLj3EEiiiiiiiiiiiliiliiiiil,@function
_ZL15flash_attn_tileILi576ELi512ELi8ELi4ELb1EEvPKcS1_S1_S1_S1_PKiPfP15HIP_vector_typeIfLj2EEffffjfiS5_IjLj3EEiiiiiiiiiiiliiliiiiil: ; @_ZL15flash_attn_tileILi576ELi512ELi8ELi4ELb1EEvPKcS1_S1_S1_S1_PKiPfP15HIP_vector_typeIfLj2EEffffjfiS5_IjLj3EEiiiiiiiiiiiliiliiiiil
; %bb.0:
	s_clause 0x1
	s_load_b128 s[20:23], s[0:1], 0x5c
	s_load_b64 s[30:31], s[0:1], 0x80
	s_bfe_u32 s5, ttmp6, 0x40014
	s_lshr_b32 s4, ttmp7, 16
	s_add_co_i32 s5, s5, 1
	s_bfe_u32 s6, ttmp6, 0x40008
	s_mul_i32 s5, s4, s5
	s_getreg_b32 s27, hwreg(HW_REG_IB_STS2, 6, 4)
	s_add_co_i32 s6, s6, s5
	s_load_b64 s[38:39], s[0:1], 0xb8
	s_mov_b32 s37, 0
	s_mov_b64 s[34:35], 0
	s_wait_kmcnt 0x0
	s_ashr_i32 s2, s23, 31
	s_delay_alu instid0(SALU_CYCLE_1) | instskip(NEXT) | instid1(SALU_CYCLE_1)
	s_lshr_b32 s2, s2, 30
	s_add_co_i32 s2, s23, s2
	s_delay_alu instid0(SALU_CYCLE_1) | instskip(NEXT) | instid1(SALU_CYCLE_1)
	s_ashr_i32 s2, s2, 2
	s_cvt_f32_u32 s3, s2
	s_sub_co_i32 s7, 0, s2
	s_delay_alu instid0(SALU_CYCLE_2) | instskip(SKIP_1) | instid1(TRANS32_DEP_1)
	v_rcp_iflag_f32_e32 v1, s3
	v_nop
	v_readfirstlane_b32 s3, v1
	s_mul_f32 s3, s3, 0x4f7ffffe
	s_delay_alu instid0(SALU_CYCLE_3) | instskip(NEXT) | instid1(SALU_CYCLE_3)
	s_cvt_u32_f32 s3, s3
	s_mul_i32 s7, s7, s3
	s_delay_alu instid0(SALU_CYCLE_1) | instskip(NEXT) | instid1(SALU_CYCLE_1)
	s_mul_hi_u32 s7, s3, s7
	s_add_co_i32 s3, s3, s7
	s_cmp_eq_u32 s27, 0
	s_cselect_b32 s4, s4, s6
	s_delay_alu instid0(SALU_CYCLE_1) | instskip(NEXT) | instid1(SALU_CYCLE_1)
	s_mul_hi_u32 s3, s4, s3
	s_mul_i32 s5, s3, s2
	s_add_co_i32 s6, s3, 1
	s_sub_co_i32 s5, s4, s5
	s_delay_alu instid0(SALU_CYCLE_1)
	s_sub_co_i32 s7, s5, s2
	s_cmp_ge_u32 s5, s2
	s_cselect_b32 s3, s6, s3
	s_cselect_b32 s5, s7, s5
	s_add_co_i32 s6, s3, 1
	s_cmp_ge_u32 s5, s2
	s_cselect_b32 s28, s6, s3
	s_abs_i32 s3, s31
	s_lshl_b32 s4, s4, 2
	s_cvt_f32_u32 s2, s3
	s_sub_co_i32 s5, 0, s3
	s_mul_i32 s6, s28, s23
	s_abs_i32 s7, s23
	v_rcp_iflag_f32_e32 v1, s2
	v_nop
	s_delay_alu instid0(TRANS32_DEP_1) | instskip(SKIP_1) | instid1(SALU_CYCLE_3)
	v_readfirstlane_b32 s2, v1
	s_mul_f32 s2, s2, 0x4f7ffffe
	s_cvt_u32_f32 s2, s2
	s_delay_alu instid0(SALU_CYCLE_3) | instskip(NEXT) | instid1(SALU_CYCLE_1)
	s_mul_i32 s5, s5, s2
	s_mul_hi_u32 s5, s2, s5
	s_delay_alu instid0(SALU_CYCLE_1)
	s_add_co_i32 s5, s2, s5
	s_sub_co_i32 s2, s4, s6
	s_mul_hi_u32 s4, s7, s5
	s_xor_b32 s5, s23, s31
	s_mul_i32 s6, s4, s3
	s_ashr_i32 s24, s5, 31
	s_sub_co_i32 s5, s7, s6
	s_add_co_i32 s6, s4, 1
	s_sub_co_i32 s7, s5, s3
	s_cmp_ge_u32 s5, s3
	s_cselect_b32 s4, s6, s4
	s_cselect_b32 s5, s7, s5
	s_add_co_i32 s6, s4, 1
	s_cmp_ge_u32 s5, s3
	s_cselect_b32 s3, s6, s4
	s_load_b512 s[4:19], s[0:1], 0x0
	s_xor_b32 s3, s3, s24
	s_delay_alu instid0(SALU_CYCLE_1) | instskip(NEXT) | instid1(SALU_CYCLE_1)
	s_sub_co_i32 s29, s3, s24
	s_abs_i32 s3, s29
	s_delay_alu instid0(SALU_CYCLE_1) | instskip(NEXT) | instid1(SALU_CYCLE_3)
	s_cvt_f32_u32 s24, s3
	v_rcp_iflag_f32_e32 v1, s24
	v_nop
	s_delay_alu instid0(TRANS32_DEP_1)
	v_readfirstlane_b32 s33, v1
	s_wait_kmcnt 0x0
	s_cmp_eq_u64 s[10:11], 0
	s_cbranch_scc1 .LBB25_2
; %bb.1:
	s_abs_i32 s26, s38
	s_abs_i32 s31, s28
	s_cvt_f32_u32 s24, s26
	s_sub_co_i32 s25, 0, s26
	s_delay_alu instid0(SALU_CYCLE_2) | instskip(SKIP_1) | instid1(TRANS32_DEP_1)
	v_rcp_iflag_f32_e32 v1, s24
	v_nop
	v_readfirstlane_b32 s24, v1
	s_mul_f32 s24, s24, 0x4f7ffffe
	s_delay_alu instid0(SALU_CYCLE_3) | instskip(NEXT) | instid1(SALU_CYCLE_3)
	s_cvt_u32_f32 s24, s24
	s_mul_i32 s25, s25, s24
	s_delay_alu instid0(SALU_CYCLE_1) | instskip(NEXT) | instid1(SALU_CYCLE_1)
	s_mul_hi_u32 s25, s24, s25
	s_add_co_i32 s24, s24, s25
	s_delay_alu instid0(SALU_CYCLE_1) | instskip(SKIP_2) | instid1(SALU_CYCLE_1)
	s_mul_hi_u32 s34, s31, s24
	s_load_b64 s[24:25], s[0:1], 0xc8
	s_mul_i32 s34, s34, s26
	s_sub_co_i32 s31, s31, s34
	s_ashr_i32 s34, s28, 31
	s_sub_co_i32 s35, s31, s26
	s_cmp_ge_u32 s31, s26
	s_cselect_b32 s31, s35, s31
	s_delay_alu instid0(SALU_CYCLE_1) | instskip(SKIP_2) | instid1(SALU_CYCLE_1)
	s_sub_co_i32 s35, s31, s26
	s_cmp_ge_u32 s31, s26
	s_cselect_b32 s26, s35, s31
	s_xor_b32 s26, s26, s34
	s_delay_alu instid0(SALU_CYCLE_1) | instskip(NEXT) | instid1(SALU_CYCLE_1)
	s_sub_co_i32 s34, s26, s34
	s_ashr_i32 s35, s34, 31
	s_wait_kmcnt 0x0
	s_mul_u64 s[24:25], s[24:25], s[34:35]
	s_delay_alu instid0(SALU_CYCLE_1)
	s_add_nc_u64 s[34:35], s[10:11], s[24:25]
.LBB25_2:
	s_bfe_u32 s10, ttmp6, 0x4000c
	s_and_b32 s11, ttmp6, 15
	s_add_co_i32 s10, s10, 1
	v_bfe_u32 v6, v0, 10, 10
	s_mul_i32 s10, ttmp9, s10
	s_load_b96 s[24:26], s[0:1], 0x70
	s_add_co_i32 s11, s11, s10
	s_cmp_eq_u32 s27, 0
	v_and_b32_e32 v73, 0x3ff, v0
	s_cselect_b32 s31, ttmp9, s11
	v_mul_u32_u24_e32 v76, 0x1200, v6
	v_lshl_add_u32 v72, s31, 3, v6
	s_delay_alu instid0(VALU_DEP_3) | instskip(SKIP_2) | instid1(VALU_DEP_4)
	v_dual_mov_b32 v3, 0 :: v_dual_lshlrev_b32 v0, 4, v73
	v_lshlrev_b32_e32 v75, 3, v73
	v_cmp_gt_u32_e32 vcc_lo, 16, v73
	v_mul_hi_u32 v1, s20, v72
	s_delay_alu instid0(VALU_DEP_3) | instskip(SKIP_3) | instid1(VALU_DEP_2)
	v_mad_u32_u24 v7, 0x1200, v6, v75
	s_wait_kmcnt 0x0
	s_ashr_i32 s11, s24, 31
	s_mov_b32 s10, s24
	v_add_nc_u32_e32 v1, v72, v1
	s_lshr_b64 s[10:11], s[10:11], 2
	s_mul_i32 s20, s2, s25
	s_delay_alu instid0(VALU_DEP_1) | instskip(SKIP_1) | instid1(VALU_DEP_1)
	v_lshrrev_b32_e32 v1, s21, v1
	s_ashr_i32 s21, s20, 31
	v_mul_lo_u32 v1, v1, s22
	s_delay_alu instid0(VALU_DEP_1) | instskip(NEXT) | instid1(VALU_DEP_1)
	v_dual_mov_b32 v1, v3 :: v_dual_sub_nc_u32 v2, v72, v1
	v_mul_u64_e32 v[4:5], s[10:11], v[2:3]
	s_mul_i32 s10, s28, s26
	s_delay_alu instid0(SALU_CYCLE_1) | instskip(NEXT) | instid1(SALU_CYCLE_1)
	s_ashr_i32 s11, s10, 31
	s_add_nc_u64 s[4:5], s[4:5], s[10:11]
	s_delay_alu instid0(SALU_CYCLE_1)
	s_add_nc_u64 s[4:5], s[4:5], s[20:21]
	s_delay_alu instid0(VALU_DEP_1) | instid1(SALU_CYCLE_1)
	v_lshl_add_u64 v[4:5], v[4:5], 2, s[4:5]
	s_load_b32 s4, s[0:1], 0x40
	s_delay_alu instid0(VALU_DEP_1)
	v_add_nc_u64_e32 v[0:1], v[4:5], v[0:1]
	s_clause 0x3
	global_load_b128 v[8:11], v[0:1], off
	global_load_b128 v[12:15], v[0:1], off offset:512
	global_load_b128 v[16:19], v[0:1], off offset:1024
	;; [unrolled: 1-line block ×3, first 2 shown]
	s_wait_loadcnt 0x3
	s_wait_kmcnt 0x0
	v_fma_mixlo_f16 v3, s4, v8, 0
	v_fma_mixlo_f16 v4, s4, v9, 0
	v_fma_mixlo_f16 v5, s4, v10, 0
	v_fma_mixlo_f16 v8, s4, v11, 0
	s_wait_loadcnt 0x2
	v_fma_mixlo_f16 v9, s4, v12, 0
	v_fma_mixlo_f16 v10, s4, v13, 0
	v_fma_mixlo_f16 v11, s4, v14, 0
	v_fma_mixlo_f16 v12, s4, v15, 0
	s_wait_loadcnt 0x1
	;; [unrolled: 5-line block ×3, first 2 shown]
	v_fma_mixlo_f16 v17, s4, v20, 0
	v_fma_mixlo_f16 v18, s4, v21, 0
	;; [unrolled: 1-line block ×3, first 2 shown]
	v_lshlrev_b32_e32 v4, 16, v4
	v_and_b32_e32 v3, 0xffff, v3
	v_dual_lshlrev_b32 v8, 16, v8 :: v_dual_lshlrev_b32 v10, 16, v10
	v_and_b32_e32 v5, 0xffff, v5
	v_and_b32_e32 v9, 0xffff, v9
	v_fma_mixlo_f16 v19, s4, v22, 0
	v_dual_lshlrev_b32 v12, 16, v12 :: v_dual_lshlrev_b32 v14, 16, v14
	v_and_b32_e32 v11, 0xffff, v11
	v_and_b32_e32 v13, 0xffff, v13
	v_dual_lshlrev_b32 v16, 16, v16 :: v_dual_lshlrev_b32 v18, 16, v18
	v_and_b32_e32 v17, 0xffff, v17
	v_dual_lshlrev_b32 v20, 16, v20 :: v_dual_bitop2_b32 v3, v4, v3 bitop3:0x54
	v_or3_b32 v5, v8, v5, 0
	v_or_b32_e32 v8, v10, v9
	v_and_b32_e32 v15, 0xffff, v15
	v_and_b32_e32 v19, 0xffff, v19
	v_or3_b32 v9, v12, v11, 0
	v_or_b32_e32 v10, v14, v13
	v_or_b32_e32 v12, v18, v17
	v_or3_b32 v4, 0, 0, v3
	v_add_nc_u32_e32 v3, v75, v76
	v_or3_b32 v8, 0, 0, v8
	v_or3_b32 v11, v16, v15, 0
	;; [unrolled: 1-line block ×5, first 2 shown]
	ds_store_2addr_b64 v7, v[4:5], v[8:9] offset1:32
	ds_store_2addr_b64 v7, v[10:11], v[12:13] offset0:64 offset1:96
	s_and_saveexec_b32 s5, vcc_lo
	s_cbranch_execz .LBB25_4
; %bb.3:
	global_load_b128 v[8:11], v[0:1], off offset:2048
	s_wait_loadcnt 0x0
	v_fma_mixlo_f16 v7, s4, v8, 0
	v_mov_b32_e32 v8, v11
	s_delay_alu instid0(VALU_DEP_2) | instskip(NEXT) | instid1(VALU_DEP_2)
	v_and_b32_e32 v7, 0xffff, v7
	v_pk_mul_f32 v[4:5], s[4:5], v[8:9] op_sel_hi:[0,1]
	s_delay_alu instid0(VALU_DEP_1) | instskip(SKIP_1) | instid1(VALU_DEP_2)
	v_cvt_pk_f16_f32 v4, v4, v5
	v_fma_mixlo_f16 v5, s4, v10, 0
	v_and_b32_e32 v8, 0xffff0000, v4
	s_delay_alu instid0(VALU_DEP_2) | instskip(NEXT) | instid1(VALU_DEP_2)
	v_and_b32_e32 v5, 0xffff, v5
	v_dual_lshlrev_b32 v4, 16, v4 :: v_dual_bitop2_b32 v7, v8, v7 bitop3:0x54
	s_delay_alu instid0(VALU_DEP_1) | instskip(NEXT) | instid1(VALU_DEP_2)
	v_or3_b32 v5, v4, v5, 0
	v_or3_b32 v4, 0, 0, v7
	ds_store_b64 v3, v[4:5] offset:1024
.LBB25_4:
	s_or_b32 exec_lo, exec_lo, s5
	s_ashr_i32 s11, s25, 31
	s_mov_b32 s10, s25
	s_delay_alu instid0(SALU_CYCLE_1)
	s_and_b64 s[20:21], s[10:11], -4
	s_lshr_b64 s[10:11], s[10:11], 2
	v_add_nc_u64_e32 v[4:5], s[20:21], v[0:1]
	s_clause 0x3
	global_load_b128 v[8:11], v[4:5], off
	global_load_b128 v[12:15], v[4:5], off offset:512
	global_load_b128 v[16:19], v[4:5], off offset:1024
	;; [unrolled: 1-line block ×3, first 2 shown]
	s_wait_loadcnt 0x3
	v_fma_mixlo_f16 v7, s4, v8, 0
	v_fma_mixlo_f16 v8, s4, v9, 0
	v_fma_mixlo_f16 v9, s4, v10, 0
	v_fma_mixlo_f16 v10, s4, v11, 0
	s_wait_loadcnt 0x2
	v_fma_mixlo_f16 v11, s4, v12, 0
	v_fma_mixlo_f16 v12, s4, v13, 0
	v_fma_mixlo_f16 v13, s4, v14, 0
	v_fma_mixlo_f16 v14, s4, v15, 0
	;; [unrolled: 5-line block ×3, first 2 shown]
	s_wait_loadcnt 0x0
	v_fma_mixlo_f16 v19, s4, v20, 0
	v_fma_mixlo_f16 v20, s4, v21, 0
	v_dual_lshlrev_b32 v8, 16, v8 :: v_dual_lshlrev_b32 v10, 16, v10
	v_and_b32_e32 v7, 0xffff, v7
	v_and_b32_e32 v9, 0xffff, v9
	v_dual_lshlrev_b32 v12, 16, v12 :: v_dual_lshlrev_b32 v14, 16, v14
	v_and_b32_e32 v11, 0xffff, v11
	v_fma_mixlo_f16 v21, s4, v22, 0
	v_fma_mixlo_f16 v22, s4, v23, 0
	v_and_b32_e32 v13, 0xffff, v13
	v_dual_lshlrev_b32 v16, 16, v16 :: v_dual_lshlrev_b32 v18, 16, v18
	v_and_b32_e32 v15, 0xffff, v15
	s_delay_alu instid0(VALU_DEP_4)
	v_dual_lshlrev_b32 v20, 16, v20 :: v_dual_lshlrev_b32 v22, 16, v22
	v_and_b32_e32 v19, 0xffff, v19
	v_or_b32_e32 v7, v8, v7
	v_or3_b32 v9, v10, v9, 0
	v_or_b32_e32 v10, v12, v11
	v_and_b32_e32 v17, 0xffff, v17
	v_and_b32_e32 v21, 0xffff, v21
	v_or3_b32 v11, v14, v13, 0
	v_or_b32_e32 v12, v16, v15
	v_or_b32_e32 v14, v20, v19
	v_or3_b32 v8, 0, 0, v7
	v_or3_b32 v10, 0, 0, v10
	v_or3_b32 v13, v18, v17, 0
	v_or3_b32 v15, v22, v21, 0
	v_or3_b32 v12, 0, 0, v12
	v_or3_b32 v14, 0, 0, v14
	ds_store_2addr_b64 v3, v[8:9], v[10:11] offset0:144 offset1:176
	ds_store_2addr_b64 v3, v[12:13], v[14:15] offset0:208 offset1:240
	s_and_saveexec_b32 s5, vcc_lo
	s_cbranch_execz .LBB25_6
; %bb.5:
	global_load_b128 v[8:11], v[4:5], off offset:2048
	s_wait_loadcnt 0x0
	v_fma_mixlo_f16 v7, s4, v8, 0
	v_mov_b32_e32 v8, v11
	s_delay_alu instid0(VALU_DEP_2) | instskip(NEXT) | instid1(VALU_DEP_2)
	v_and_b32_e32 v7, 0xffff, v7
	v_pk_mul_f32 v[4:5], s[4:5], v[8:9] op_sel_hi:[0,1]
	s_delay_alu instid0(VALU_DEP_1) | instskip(SKIP_1) | instid1(VALU_DEP_2)
	v_cvt_pk_f16_f32 v4, v4, v5
	v_fma_mixlo_f16 v5, s4, v10, 0
	v_and_b32_e32 v8, 0xffff0000, v4
	s_delay_alu instid0(VALU_DEP_2) | instskip(NEXT) | instid1(VALU_DEP_2)
	v_and_b32_e32 v5, 0xffff, v5
	v_dual_lshlrev_b32 v4, 16, v4 :: v_dual_bitop2_b32 v7, v8, v7 bitop3:0x54
	s_delay_alu instid0(VALU_DEP_1) | instskip(NEXT) | instid1(VALU_DEP_2)
	v_or3_b32 v5, v4, v5, 0
	v_or3_b32 v4, 0, 0, v7
	ds_store_b64 v3, v[4:5] offset:2176
.LBB25_6:
	s_or_b32 exec_lo, exec_lo, s5
	v_lshl_add_u64 v[4:5], s[10:11], 3, v[0:1]
	v_add_nc_u32_e32 v7, 0x800, v3
	s_clause 0x3
	global_load_b128 v[8:11], v[4:5], off
	global_load_b128 v[12:15], v[4:5], off offset:512
	global_load_b128 v[16:19], v[4:5], off offset:1024
	;; [unrolled: 1-line block ×3, first 2 shown]
	s_wait_loadcnt 0x3
	v_fma_mixlo_f16 v8, s4, v8, 0
	v_fma_mixlo_f16 v9, s4, v9, 0
	;; [unrolled: 1-line block ×4, first 2 shown]
	s_wait_loadcnt 0x2
	v_fma_mixlo_f16 v12, s4, v12, 0
	v_fma_mixlo_f16 v13, s4, v13, 0
	;; [unrolled: 1-line block ×4, first 2 shown]
	s_wait_loadcnt 0x1
	v_fma_mixlo_f16 v16, s4, v16, 0
	v_fma_mixlo_f16 v17, s4, v17, 0
	s_wait_loadcnt 0x0
	v_fma_mixlo_f16 v20, s4, v20, 0
	v_fma_mixlo_f16 v21, s4, v21, 0
	v_dual_lshlrev_b32 v9, 16, v9 :: v_dual_lshlrev_b32 v11, 16, v11
	v_and_b32_e32 v8, 0xffff, v8
	v_and_b32_e32 v10, 0xffff, v10
	v_dual_lshlrev_b32 v13, 16, v13 :: v_dual_lshlrev_b32 v15, 16, v15
	v_and_b32_e32 v12, 0xffff, v12
	v_fma_mixlo_f16 v18, s4, v18, 0
	v_fma_mixlo_f16 v19, s4, v19, 0
	;; [unrolled: 1-line block ×4, first 2 shown]
	v_and_b32_e32 v14, 0xffff, v14
	s_delay_alu instid0(VALU_DEP_4) | instskip(SKIP_1) | instid1(VALU_DEP_4)
	v_dual_lshlrev_b32 v17, 16, v17 :: v_dual_lshlrev_b32 v19, 16, v19
	v_and_b32_e32 v16, 0xffff, v16
	v_dual_lshlrev_b32 v21, 16, v21 :: v_dual_lshlrev_b32 v23, 16, v23
	v_and_b32_e32 v20, 0xffff, v20
	v_or_b32_e32 v8, v9, v8
	v_or3_b32 v9, v11, v10, 0
	v_or_b32_e32 v10, v13, v12
	v_and_b32_e32 v18, 0xffff, v18
	v_and_b32_e32 v22, 0xffff, v22
	v_or3_b32 v11, v15, v14, 0
	v_or_b32_e32 v12, v17, v16
	v_or_b32_e32 v14, v21, v20
	v_or3_b32 v8, 0, 0, v8
	v_or3_b32 v10, 0, 0, v10
	;; [unrolled: 1-line block ×6, first 2 shown]
	ds_store_2addr_b64 v7, v[8:9], v[10:11] offset0:32 offset1:64
	ds_store_2addr_b64 v7, v[12:13], v[14:15] offset0:96 offset1:128
	s_and_saveexec_b32 s5, vcc_lo
	s_cbranch_execz .LBB25_8
; %bb.7:
	global_load_b128 v[8:11], v[4:5], off offset:2048
	s_wait_loadcnt 0x0
	v_fma_mixlo_f16 v12, s4, v8, 0
	v_mov_b32_e32 v8, v11
	s_delay_alu instid0(VALU_DEP_1) | instskip(NEXT) | instid1(VALU_DEP_3)
	v_pk_mul_f32 v[4:5], s[4:5], v[8:9] op_sel_hi:[0,1]
	v_and_b32_e32 v8, 0xffff, v12
	s_delay_alu instid0(VALU_DEP_2) | instskip(SKIP_1) | instid1(VALU_DEP_2)
	v_cvt_pk_f16_f32 v4, v4, v5
	v_fma_mixlo_f16 v5, s4, v10, 0
	v_and_b32_e32 v9, 0xffff0000, v4
	s_delay_alu instid0(VALU_DEP_2) | instskip(SKIP_1) | instid1(VALU_DEP_3)
	v_and_b32_e32 v5, 0xffff, v5
	v_lshlrev_b32_e32 v4, 16, v4
	v_or_b32_e32 v8, v9, v8
	s_delay_alu instid0(VALU_DEP_2) | instskip(NEXT) | instid1(VALU_DEP_2)
	v_or3_b32 v5, v4, v5, 0
	v_or3_b32 v4, 0, 0, v8
	ds_store_b64 v3, v[4:5] offset:3328
.LBB25_8:
	s_or_b32 exec_lo, exec_lo, s5
	v_mad_nc_u64_u32 v[0:1], s10, 12, v[0:1]
	v_add_nc_u32_e32 v24, 0xc00, v3
	s_delay_alu instid0(VALU_DEP_2)
	v_mad_u32 v1, s11, 12, v1
	s_clause 0x3
	global_load_b128 v[8:11], v[0:1], off
	global_load_b128 v[12:15], v[0:1], off offset:512
	global_load_b128 v[16:19], v[0:1], off offset:1024
	;; [unrolled: 1-line block ×3, first 2 shown]
	s_wait_loadcnt 0x3
	v_fma_mixlo_f16 v4, s4, v8, 0
	v_fma_mixlo_f16 v5, s4, v9, 0
	v_fma_mixlo_f16 v8, s4, v10, 0
	v_fma_mixlo_f16 v9, s4, v11, 0
	s_wait_loadcnt 0x2
	v_fma_mixlo_f16 v10, s4, v12, 0
	v_fma_mixlo_f16 v11, s4, v13, 0
	v_fma_mixlo_f16 v12, s4, v14, 0
	v_fma_mixlo_f16 v13, s4, v15, 0
	;; [unrolled: 5-line block ×3, first 2 shown]
	s_wait_loadcnt 0x0
	v_fma_mixlo_f16 v18, s4, v20, 0
	v_fma_mixlo_f16 v19, s4, v21, 0
	;; [unrolled: 1-line block ×3, first 2 shown]
	v_dual_lshlrev_b32 v5, 16, v5 :: v_dual_lshlrev_b32 v11, 16, v11
	v_and_b32_e32 v4, 0xffff, v4
	v_dual_lshlrev_b32 v9, 16, v9 :: v_dual_lshlrev_b32 v15, 16, v15
	v_and_b32_e32 v8, 0xffff, v8
	v_and_b32_e32 v10, 0xffff, v10
	v_fma_mixlo_f16 v20, s4, v22, 0
	v_dual_lshlrev_b32 v13, 16, v13 :: v_dual_lshlrev_b32 v19, 16, v19
	v_and_b32_e32 v12, 0xffff, v12
	v_and_b32_e32 v14, 0xffff, v14
	;; [unrolled: 1-line block ×3, first 2 shown]
	v_dual_lshlrev_b32 v17, 16, v17 :: v_dual_bitop2_b32 v4, v5, v4 bitop3:0x54
	v_lshlrev_b32_e32 v21, 16, v21
	v_or3_b32 v5, v9, v8, 0
	v_or_b32_e32 v8, v11, v10
	v_and_b32_e32 v16, 0xffff, v16
	v_and_b32_e32 v20, 0xffff, v20
	v_or3_b32 v9, v13, v12, 0
	v_or_b32_e32 v10, v15, v14
	v_or_b32_e32 v12, v19, v18
	v_or3_b32 v4, 0, 0, v4
	v_or3_b32 v8, 0, 0, v8
	;; [unrolled: 1-line block ×6, first 2 shown]
	ds_store_2addr_b64 v7, v[4:5], v[8:9] offset0:176 offset1:208
	ds_store_2addr_b64 v24, v[10:11], v[12:13] offset0:112 offset1:144
	s_and_saveexec_b32 s5, vcc_lo
	s_cbranch_execz .LBB25_10
; %bb.9:
	global_load_b128 v[8:11], v[0:1], off offset:2048
	s_wait_loadcnt 0x0
	v_fma_mixlo_f16 v4, s4, v8, 0
	v_mov_b32_e32 v8, v11
	s_delay_alu instid0(VALU_DEP_2) | instskip(NEXT) | instid1(VALU_DEP_2)
	v_and_b32_e32 v4, 0xffff, v4
	v_pk_mul_f32 v[0:1], s[4:5], v[8:9] op_sel_hi:[0,1]
	s_delay_alu instid0(VALU_DEP_1) | instskip(SKIP_1) | instid1(VALU_DEP_2)
	v_cvt_pk_f16_f32 v0, v0, v1
	v_fma_mixlo_f16 v1, s4, v10, 0
	v_and_b32_e32 v5, 0xffff0000, v0
	s_delay_alu instid0(VALU_DEP_2) | instskip(SKIP_1) | instid1(VALU_DEP_3)
	v_and_b32_e32 v1, 0xffff, v1
	v_lshlrev_b32_e32 v0, 16, v0
	v_or_b32_e32 v4, v5, v4
	s_delay_alu instid0(VALU_DEP_2) | instskip(NEXT) | instid1(VALU_DEP_2)
	v_or3_b32 v1, v0, v1, 0
	v_or3_b32 v0, 0, 0, v4
	ds_store_b64 v3, v[0:1] offset:4480
.LBB25_10:
	s_or_b32 exec_lo, exec_lo, s5
	s_cmp_eq_u64 s[14:15], 0
	s_wait_dscnt 0x0
	s_barrier_signal -1
	s_barrier_wait -1
	s_cbranch_scc1 .LBB25_12
; %bb.11:
	s_load_b32 s4, s[0:1], 0xd0
	s_wait_kmcnt 0x0
	s_mul_i32 s4, s4, s28
	s_delay_alu instid0(SALU_CYCLE_1)
	s_add_co_i32 s4, s4, s31
	s_load_b32 s30, s[14:15], s4 offset:0x0 scale_offset
.LBB25_12:
	s_wait_xcnt 0x0
	s_bfe_u32 s4, ttmp6, 0x40010
	s_and_b32 s5, ttmp7, 0xffff
	s_add_co_i32 s4, s4, 1
	s_bfe_u32 s10, ttmp6, 0x40004
	s_mul_i32 s4, s5, s4
	v_lshlrev_b32_e32 v74, 2, v73
	s_add_co_i32 s10, s10, s4
	s_cmp_eq_u32 s27, 0
	v_mbcnt_lo_u32_b32 v78, -1, 0
	s_cselect_b32 s31, s5, s10
	s_mov_b32 s5, 0
	s_lshl_b32 s4, s31, 7
	s_wait_kmcnt 0x0
	s_cmp_lt_i32 s4, s30
	s_cbranch_scc1 .LBB25_15
; %bb.13:
	v_mbcnt_lo_u32_b32 v4, -1, 0
	s_delay_alu instid0(VALU_DEP_1)
	v_dual_mov_b32 v77, 32 :: v_dual_bitop2_b32 v94, 16, v4 bitop3:0x14
	v_xor_b32_e32 v93, 8, v4
	v_xor_b32_e32 v92, 4, v4
	;; [unrolled: 1-line block ×4, first 2 shown]
	s_and_not1_b32 vcc_lo, exec_lo, s5
	s_mov_b32 s11, 0
	s_cbranch_vccz .LBB25_16
; %bb.14:
	v_dual_mov_b32 v105, 0 :: v_dual_mov_b32 v33, 0
	v_dual_mov_b32 v3, 0xfeffffff :: v_dual_mov_b32 v2, 0xfeffffff
	;; [unrolled: 1-line block ×3, first 2 shown]
	s_delay_alu instid0(VALU_DEP_3)
	v_dual_mov_b32 v32, v33 :: v_dual_mov_b32 v35, v33
	v_dual_mov_b32 v34, v33 :: v_dual_mov_b32 v114, 0
	;; [unrolled: 1-line block ×17, first 2 shown]
	s_branch .LBB25_88
.LBB25_15:
                                        ; implicit-def: $vgpr4
                                        ; implicit-def: $vgpr77
                                        ; implicit-def: $vgpr94
                                        ; implicit-def: $vgpr93
                                        ; implicit-def: $vgpr92
                                        ; implicit-def: $vgpr91
                                        ; implicit-def: $vgpr90
	s_mov_b32 s11, 0
.LBB25_16:
	s_mul_f32 s5, s33, 0x4f7ffffe
	s_clause 0x1
	s_load_b128 s[24:27], s[0:1], 0x98
	s_load_b64 s[20:21], s[0:1], 0x8c
	s_sub_co_i32 s10, 0, s3
	s_abs_i32 s36, s2
	s_cvt_u32_f32 s5, s5
	s_mov_b32 s15, s37
	s_ashr_i32 s33, s2, 31
	s_ashr_i32 s40, s29, 31
	s_mul_i32 s10, s10, s5
	s_ashr_i32 s41, s39, 1
	s_mul_hi_u32 s10, s5, s10
	s_ashr_i32 s29, s28, 31
	s_add_co_i32 s14, s5, s10
	s_xor_b32 s10, s33, s40
	s_mul_u64 s[14:15], s[36:37], s[14:15]
	s_load_b64 s[38:39], s[0:1], 0xa8
	s_mul_i32 s5, s15, s3
	v_mad_u32 v84, v2, s41, v73
	s_sub_co_i32 s5, s36, s5
	v_dual_mov_b32 v29, 0 :: v_dual_mov_b32 v31, 0
	s_wait_kmcnt 0x0
	s_ashr_i32 s14, s26, 2
	s_ashr_i32 s20, s20, 2
	s_add_co_i32 s26, s15, 1
	s_sub_co_i32 s33, s5, s3
	s_cmp_ge_u32 s5, s3
	s_mul_u64 s[24:25], s[24:25], s[28:29]
	s_cselect_b32 s15, s26, s15
	s_cselect_b32 s5, s33, s5
	s_add_co_i32 s26, s15, 1
	s_cmp_ge_u32 s5, s3
	s_add_nc_u64 s[6:7], s[6:7], s[24:25]
	s_cselect_b32 s5, s26, s15
	v_mul_lo_u32 v12, s14, v6
	s_xor_b32 s5, s5, s10
	s_load_b32 s3, s[0:1], 0x54
	s_sub_co_i32 s5, s5, s10
	s_mov_b32 s10, 0x9000
	s_mul_i32 s24, s5, s21
	s_mul_i32 s26, s5, s27
	s_lshl_b32 s5, s20, 5
	v_dual_mov_b32 v37, 0 :: v_dual_lshrrev_b32 v0, 3, v73
	s_mul_u64 s[36:37], s[38:39], s[28:29]
	s_delay_alu instid0(VALU_DEP_2) | instskip(SKIP_1) | instid1(VALU_DEP_3)
	v_lshl_add_u32 v2, s14, 3, v12
	v_mad_u32_u24 v83, 0x90, v73, s10
	v_lshl_add_u32 v1, v6, 2, v0
	v_dual_mov_b32 v99, 0 :: v_dual_bitop2_b32 v0, 28, v74 bitop3:0x40
	v_dual_mov_b32 v97, 0 :: v_dual_mov_b32 v96, 0
	v_mov_b32_e32 v101, 0
	s_delay_alu instid0(VALU_DEP_4)
	v_mul_lo_u32 v4, s20, v1
	v_dual_mov_b32 v100, 0 :: v_dual_mov_b32 v102, 0
	v_dual_mov_b32 v95, 0 :: v_dual_mov_b32 v104, 0
	;; [unrolled: 1-line block ×5, first 2 shown]
	v_dual_add_nc_u32 v8, s5, v4 :: v_dual_ashrrev_i32 v5, 31, v4
	v_dual_ashrrev_i32 v13, 31, v12 :: v_dual_mov_b32 v103, 0
	s_delay_alu instid0(VALU_DEP_2) | instskip(SKIP_2) | instid1(VALU_DEP_3)
	v_dual_mov_b32 v59, 0 :: v_dual_add_nc_u32 v10, s5, v8
	v_ashrrev_i32_e32 v9, 31, v8
	v_dual_mov_b32 v52, 0xfeffffff :: v_dual_lshlrev_b32 v3, 2, v0
	v_dual_lshlrev_b32 v40, 2, v0 :: v_dual_add_nc_u32 v14, s5, v10
	v_ashrrev_i32_e32 v11, 31, v10
	s_delay_alu instid0(VALU_DEP_3)
	v_mad_u32_u24 v1, 0x90, v1, v3
	v_lshlrev_b32_e32 v3, 10, v6
	v_lshlrev_b64_e32 v[38:39], 2, v[4:5]
	v_ashrrev_i32_e32 v15, 31, v14
	v_lshlrev_b64_e32 v[42:43], 2, v[8:9]
	v_dual_mov_b32 v26, 0 :: v_dual_add_nc_u32 v79, 0x9000, v1
	v_dual_mov_b32 v41, v37 :: v_dual_add_nc_u32 v80, 0xa200, v1
	;; [unrolled: 1-line block ×4, first 2 shown]
	v_lshl_add_u32 v1, v74, 2, v3
	v_dual_mov_b32 v28, 0 :: v_dual_add_nc_u32 v85, 0xd800, v3
	v_ashrrev_i32_e32 v3, 31, v2
	v_lshlrev_b64_e32 v[44:45], 2, v[10:11]
	v_lshlrev_b64_e32 v[46:47], 2, v[14:15]
	v_lshlrev_b64_e32 v[48:49], 2, v[12:13]
	v_dual_mov_b32 v25, 0 :: v_dual_add_nc_u32 v86, 0x9000, v1
	v_lshlrev_b64_e32 v[50:51], 2, v[2:3]
	v_dual_mov_b32 v30, 0 :: v_dual_add_nc_u32 v87, 0x9200, v1
	v_dual_mov_b32 v27, 0 :: v_dual_add_nc_u32 v88, 0xb000, v1
	v_dual_mov_b32 v98, 0 :: v_dual_add_nc_u32 v89, 0xb200, v1
	v_dual_mov_b32 v61, 0 :: v_dual_mov_b32 v115, 0
	v_dual_mov_b32 v111, 0 :: v_dual_mov_b32 v112, 0
	;; [unrolled: 1-line block ×7, first 2 shown]
	s_ashr_i32 s25, s24, 31
	s_add_nc_u64 s[8:9], s[8:9], s[36:37]
	s_ashr_i32 s27, s26, 31
	s_add_nc_u64 s[6:7], s[6:7], s[24:25]
	s_add_nc_u64 s[8:9], s[8:9], s[26:27]
	s_ashr_i32 s21, s20, 31
	s_ashr_i32 s15, s14, 31
	s_add_nc_u64 s[24:25], s[0:1], 0xd0
	s_mov_b32 s29, 0xbbbac73d
.LBB25_17:                              ; =>This Loop Header: Depth=1
                                        ;     Child Loop BB25_19 Depth 2
	s_ashr_i32 s5, s4, 31
	v_dual_mov_b32 v54, 0 :: v_dual_mov_b32 v71, 0
	s_mul_u64 s[26:27], s[4:5], s[20:21]
	v_dual_mov_b32 v65, 0 :: v_dual_mov_b32 v58, 0
	v_dual_mov_b32 v55, 0 :: v_dual_mov_b32 v116, 0
	;; [unrolled: 1-line block ×7, first 2 shown]
	s_lshl_b64 s[26:27], s[26:27], 2
	s_mov_b32 s33, 0
	s_add_nc_u64 s[26:27], s[6:7], s[26:27]
	s_branch .LBB25_19
.LBB25_18:                              ;   in Loop: Header=BB25_19 Depth=2
	s_and_not1_b32 vcc_lo, exec_lo, s10
	s_cbranch_vccz .LBB25_21
.LBB25_19:                              ;   Parent Loop BB25_17 Depth=1
                                        ; =>  This Inner Loop Header: Depth=2
	s_lshr_b32 s10, s33, 1
	s_add_co_i32 s38, s33, 64
	s_lshl_b64 s[36:37], s[10:11], 2
	s_lshr_b32 s10, s38, 1
	s_add_nc_u64 s[36:37], s[26:27], s[36:37]
	s_delay_alu instid0(SALU_CYCLE_1) | instskip(SKIP_4) | instid1(SALU_CYCLE_1)
	v_add_nc_u64_e32 v[0:1], s[36:37], v[38:39]
	v_add_nc_u64_e32 v[2:3], s[36:37], v[42:43]
	;; [unrolled: 1-line block ×4, first 2 shown]
	s_lshl_b64 s[36:37], s[10:11], 2
	s_add_nc_u64 s[36:37], s[26:27], s[36:37]
	s_delay_alu instid0(VALU_DEP_4) | instskip(NEXT) | instid1(VALU_DEP_4)
	v_add_nc_u64_e32 v[16:17], v[0:1], v[40:41]
	v_add_nc_u64_e32 v[18:19], v[2:3], v[40:41]
	s_delay_alu instid0(VALU_DEP_4) | instskip(NEXT) | instid1(VALU_DEP_4)
	v_add_nc_u64_e32 v[20:21], v[4:5], v[40:41]
	v_add_nc_u64_e32 v[22:23], v[6:7], v[40:41]
	;; [unrolled: 1-line block ×3, first 2 shown]
	s_clause 0x3
	global_load_b128 v[0:3], v[16:17], off
	global_load_b128 v[4:7], v[18:19], off
	;; [unrolled: 1-line block ×4, first 2 shown]
	s_wait_xcnt 0x1
	v_lshl_add_u32 v20, s33, 1, v76
	s_wait_xcnt 0x0
	v_add_nc_u64_e32 v[22:23], s[36:37], v[38:39]
	s_wait_loadcnt 0x3
	ds_store_b128 v79, v[0:3]
	s_wait_loadcnt 0x2
	ds_store_b128 v80, v[4:7]
	;; [unrolled: 2-line block ×4, first 2 shown]
	s_wait_dscnt 0x0
	s_barrier_signal -1
	s_barrier_wait -1
	ds_load_b128 v[0:3], v83
	ds_load_b128 v[4:7], v20
	ds_load_b128 v[8:11], v20 offset:1152
	ds_load_b128 v[12:15], v20 offset:2304
	;; [unrolled: 1-line block ×6, first 2 shown]
	v_add_nc_u64_e32 v[92:93], v[92:93], v[40:41]
	s_wait_dscnt 0x6
	;;#ASMSTART
	v_dot2_f32_f16 v54, v0, v4, v54
	;;#ASMEND
	;;#ASMSTART
	v_dot2_f32_f16 v54, v1, v5, v54
	;;#ASMEND
	;;#ASMSTART
	v_dot2_f32_f16 v54, v2, v6, v54
	;;#ASMEND
	;;#ASMSTART
	v_dot2_f32_f16 v54, v3, v7, v54
	;;#ASMEND
	s_wait_dscnt 0x5
	;;#ASMSTART
	v_dot2_f32_f16 v71, v0, v8, v71
	;;#ASMEND
	;;#ASMSTART
	v_dot2_f32_f16 v71, v1, v9, v71
	;;#ASMEND
	;;#ASMSTART
	v_dot2_f32_f16 v71, v2, v10, v71
	;;#ASMEND
	;;#ASMSTART
	v_dot2_f32_f16 v71, v3, v11, v71
	;;#ASMEND
	;; [unrolled: 13-line block ×5, first 2 shown]
	;;#ASMSTART
	v_dot2_f32_f16 v116, v118, v8, v116
	;;#ASMEND
	;;#ASMSTART
	v_dot2_f32_f16 v116, v119, v9, v116
	;;#ASMEND
	;; [unrolled: 3-line block ×12, first 2 shown]
	s_wait_dscnt 0x1
	;;#ASMSTART
	v_dot2_f32_f16 v56, v122, v4, v56
	;;#ASMEND
	;;#ASMSTART
	v_dot2_f32_f16 v56, v123, v5, v56
	;;#ASMEND
	;; [unrolled: 3-line block ×16, first 2 shown]
	s_wait_dscnt 0x0
	;;#ASMSTART
	v_dot2_f32_f16 v90, v126, v4, v90
	;;#ASMEND
	;;#ASMSTART
	v_dot2_f32_f16 v90, v127, v5, v90
	;;#ASMEND
	;; [unrolled: 3-line block ×16, first 2 shown]
	ds_load_b128 v[0:3], v83 offset:16
	ds_load_b128 v[4:7], v20 offset:16
	;; [unrolled: 1-line block ×8, first 2 shown]
	s_wait_dscnt 0x6
	;;#ASMSTART
	v_dot2_f32_f16 v54, v0, v4, v54
	;;#ASMEND
	;;#ASMSTART
	v_dot2_f32_f16 v54, v1, v5, v54
	;;#ASMEND
	;;#ASMSTART
	v_dot2_f32_f16 v54, v2, v6, v54
	;;#ASMEND
	;;#ASMSTART
	v_dot2_f32_f16 v54, v3, v7, v54
	;;#ASMEND
	s_wait_dscnt 0x5
	;;#ASMSTART
	v_dot2_f32_f16 v71, v0, v8, v71
	;;#ASMEND
	;;#ASMSTART
	v_dot2_f32_f16 v71, v1, v9, v71
	;;#ASMEND
	;;#ASMSTART
	v_dot2_f32_f16 v71, v2, v10, v71
	;;#ASMEND
	;;#ASMSTART
	v_dot2_f32_f16 v71, v3, v11, v71
	;;#ASMEND
	;; [unrolled: 13-line block ×5, first 2 shown]
	;;#ASMSTART
	v_dot2_f32_f16 v116, v118, v8, v116
	;;#ASMEND
	;;#ASMSTART
	v_dot2_f32_f16 v116, v119, v9, v116
	;;#ASMEND
	;;#ASMSTART
	v_dot2_f32_f16 v116, v120, v10, v116
	;;#ASMEND
	;;#ASMSTART
	v_dot2_f32_f16 v116, v121, v11, v116
	;;#ASMEND
	;;#ASMSTART
	v_dot2_f32_f16 v67, v118, v12, v67
	;;#ASMEND
	;;#ASMSTART
	v_dot2_f32_f16 v67, v119, v13, v67
	;;#ASMEND
	;;#ASMSTART
	v_dot2_f32_f16 v67, v120, v14, v67
	;;#ASMEND
	;;#ASMSTART
	v_dot2_f32_f16 v67, v121, v15, v67
	;;#ASMEND
	;;#ASMSTART
	v_dot2_f32_f16 v60, v118, v16, v60
	;;#ASMEND
	;;#ASMSTART
	v_dot2_f32_f16 v60, v119, v17, v60
	;;#ASMEND
	;;#ASMSTART
	v_dot2_f32_f16 v60, v120, v18, v60
	;;#ASMEND
	;;#ASMSTART
	v_dot2_f32_f16 v60, v121, v19, v60
	;;#ASMEND
	s_wait_dscnt 0x1
	;;#ASMSTART
	v_dot2_f32_f16 v56, v122, v4, v56
	;;#ASMEND
	;;#ASMSTART
	v_dot2_f32_f16 v56, v123, v5, v56
	;;#ASMEND
	;; [unrolled: 3-line block ×16, first 2 shown]
	s_wait_dscnt 0x0
	;;#ASMSTART
	v_dot2_f32_f16 v90, v126, v4, v90
	;;#ASMEND
	;;#ASMSTART
	v_dot2_f32_f16 v90, v127, v5, v90
	;;#ASMEND
	;; [unrolled: 3-line block ×16, first 2 shown]
	ds_load_b128 v[0:3], v83 offset:32
	ds_load_b128 v[4:7], v20 offset:32
	;; [unrolled: 1-line block ×8, first 2 shown]
	s_wait_dscnt 0x6
	;;#ASMSTART
	v_dot2_f32_f16 v54, v0, v4, v54
	;;#ASMEND
	;;#ASMSTART
	v_dot2_f32_f16 v54, v1, v5, v54
	;;#ASMEND
	;;#ASMSTART
	v_dot2_f32_f16 v54, v2, v6, v54
	;;#ASMEND
	;;#ASMSTART
	v_dot2_f32_f16 v54, v3, v7, v54
	;;#ASMEND
	s_wait_dscnt 0x5
	;;#ASMSTART
	v_dot2_f32_f16 v71, v0, v8, v71
	;;#ASMEND
	;;#ASMSTART
	v_dot2_f32_f16 v71, v1, v9, v71
	;;#ASMEND
	;;#ASMSTART
	v_dot2_f32_f16 v71, v2, v10, v71
	;;#ASMEND
	;;#ASMSTART
	v_dot2_f32_f16 v71, v3, v11, v71
	;;#ASMEND
	;; [unrolled: 13-line block ×5, first 2 shown]
	;;#ASMSTART
	v_dot2_f32_f16 v116, v118, v8, v116
	;;#ASMEND
	;;#ASMSTART
	v_dot2_f32_f16 v116, v119, v9, v116
	;;#ASMEND
	;; [unrolled: 3-line block ×12, first 2 shown]
	s_wait_dscnt 0x1
	;;#ASMSTART
	v_dot2_f32_f16 v56, v122, v4, v56
	;;#ASMEND
	;;#ASMSTART
	v_dot2_f32_f16 v56, v123, v5, v56
	;;#ASMEND
	;; [unrolled: 3-line block ×16, first 2 shown]
	s_wait_dscnt 0x0
	;;#ASMSTART
	v_dot2_f32_f16 v90, v126, v4, v90
	;;#ASMEND
	;;#ASMSTART
	v_dot2_f32_f16 v90, v127, v5, v90
	;;#ASMEND
	;; [unrolled: 3-line block ×16, first 2 shown]
	ds_load_b128 v[0:3], v83 offset:48
	ds_load_b128 v[4:7], v20 offset:48
	;; [unrolled: 1-line block ×8, first 2 shown]
	s_wait_dscnt 0x6
	;;#ASMSTART
	v_dot2_f32_f16 v54, v0, v4, v54
	;;#ASMEND
	;;#ASMSTART
	v_dot2_f32_f16 v54, v1, v5, v54
	;;#ASMEND
	;;#ASMSTART
	v_dot2_f32_f16 v54, v2, v6, v54
	;;#ASMEND
	;;#ASMSTART
	v_dot2_f32_f16 v54, v3, v7, v54
	;;#ASMEND
	s_wait_dscnt 0x5
	;;#ASMSTART
	v_dot2_f32_f16 v71, v0, v8, v71
	;;#ASMEND
	;;#ASMSTART
	v_dot2_f32_f16 v71, v1, v9, v71
	;;#ASMEND
	;;#ASMSTART
	v_dot2_f32_f16 v71, v2, v10, v71
	;;#ASMEND
	;;#ASMSTART
	v_dot2_f32_f16 v71, v3, v11, v71
	;;#ASMEND
	;; [unrolled: 13-line block ×5, first 2 shown]
	;;#ASMSTART
	v_dot2_f32_f16 v116, v118, v8, v116
	;;#ASMEND
	;;#ASMSTART
	v_dot2_f32_f16 v116, v119, v9, v116
	;;#ASMEND
	;; [unrolled: 3-line block ×12, first 2 shown]
	s_wait_dscnt 0x1
	;;#ASMSTART
	v_dot2_f32_f16 v56, v122, v4, v56
	;;#ASMEND
	;;#ASMSTART
	v_dot2_f32_f16 v56, v123, v5, v56
	;;#ASMEND
	;; [unrolled: 3-line block ×16, first 2 shown]
	s_wait_dscnt 0x0
	;;#ASMSTART
	v_dot2_f32_f16 v90, v126, v4, v90
	;;#ASMEND
	;;#ASMSTART
	v_dot2_f32_f16 v90, v127, v5, v90
	;;#ASMEND
	;; [unrolled: 3-line block ×16, first 2 shown]
	ds_load_b128 v[0:3], v83 offset:64
	ds_load_b128 v[4:7], v20 offset:64
	;; [unrolled: 1-line block ×8, first 2 shown]
	s_wait_dscnt 0x6
	;;#ASMSTART
	v_dot2_f32_f16 v54, v0, v4, v54
	;;#ASMEND
	;;#ASMSTART
	v_dot2_f32_f16 v54, v1, v5, v54
	;;#ASMEND
	;;#ASMSTART
	v_dot2_f32_f16 v54, v2, v6, v54
	;;#ASMEND
	;;#ASMSTART
	v_dot2_f32_f16 v54, v3, v7, v54
	;;#ASMEND
	s_wait_dscnt 0x5
	;;#ASMSTART
	v_dot2_f32_f16 v71, v0, v8, v71
	;;#ASMEND
	;;#ASMSTART
	v_dot2_f32_f16 v71, v1, v9, v71
	;;#ASMEND
	;;#ASMSTART
	v_dot2_f32_f16 v71, v2, v10, v71
	;;#ASMEND
	;;#ASMSTART
	v_dot2_f32_f16 v71, v3, v11, v71
	;;#ASMEND
	;; [unrolled: 13-line block ×5, first 2 shown]
	;;#ASMSTART
	v_dot2_f32_f16 v116, v118, v8, v116
	;;#ASMEND
	;;#ASMSTART
	v_dot2_f32_f16 v116, v119, v9, v116
	;;#ASMEND
	;; [unrolled: 3-line block ×12, first 2 shown]
	s_wait_dscnt 0x1
	;;#ASMSTART
	v_dot2_f32_f16 v56, v122, v4, v56
	;;#ASMEND
	;;#ASMSTART
	v_dot2_f32_f16 v56, v123, v5, v56
	;;#ASMEND
	;; [unrolled: 3-line block ×16, first 2 shown]
	s_wait_dscnt 0x0
	;;#ASMSTART
	v_dot2_f32_f16 v90, v126, v4, v90
	;;#ASMEND
	;;#ASMSTART
	v_dot2_f32_f16 v90, v127, v5, v90
	;;#ASMEND
	;; [unrolled: 3-line block ×16, first 2 shown]
	ds_load_b128 v[0:3], v83 offset:80
	ds_load_b128 v[4:7], v20 offset:80
	;; [unrolled: 1-line block ×8, first 2 shown]
	s_wait_dscnt 0x6
	;;#ASMSTART
	v_dot2_f32_f16 v54, v0, v4, v54
	;;#ASMEND
	;;#ASMSTART
	v_dot2_f32_f16 v54, v1, v5, v54
	;;#ASMEND
	;;#ASMSTART
	v_dot2_f32_f16 v54, v2, v6, v54
	;;#ASMEND
	;;#ASMSTART
	v_dot2_f32_f16 v54, v3, v7, v54
	;;#ASMEND
	s_wait_dscnt 0x5
	;;#ASMSTART
	v_dot2_f32_f16 v71, v0, v8, v71
	;;#ASMEND
	;;#ASMSTART
	v_dot2_f32_f16 v71, v1, v9, v71
	;;#ASMEND
	;;#ASMSTART
	v_dot2_f32_f16 v71, v2, v10, v71
	;;#ASMEND
	;;#ASMSTART
	v_dot2_f32_f16 v71, v3, v11, v71
	;;#ASMEND
	;; [unrolled: 13-line block ×5, first 2 shown]
	;;#ASMSTART
	v_dot2_f32_f16 v116, v118, v8, v116
	;;#ASMEND
	;;#ASMSTART
	v_dot2_f32_f16 v116, v119, v9, v116
	;;#ASMEND
	;; [unrolled: 3-line block ×12, first 2 shown]
	s_wait_dscnt 0x1
	;;#ASMSTART
	v_dot2_f32_f16 v56, v122, v4, v56
	;;#ASMEND
	;;#ASMSTART
	v_dot2_f32_f16 v56, v123, v5, v56
	;;#ASMEND
	;; [unrolled: 3-line block ×16, first 2 shown]
	s_wait_dscnt 0x0
	;;#ASMSTART
	v_dot2_f32_f16 v90, v126, v4, v90
	;;#ASMEND
	;;#ASMSTART
	v_dot2_f32_f16 v90, v127, v5, v90
	;;#ASMEND
	;; [unrolled: 3-line block ×16, first 2 shown]
	ds_load_b128 v[16:19], v83 offset:96
	ds_load_b128 v[0:3], v20 offset:96
	;; [unrolled: 1-line block ×8, first 2 shown]
	s_wait_dscnt 0x6
	;;#ASMSTART
	v_dot2_f32_f16 v54, v16, v0, v54
	;;#ASMEND
	;;#ASMSTART
	v_dot2_f32_f16 v54, v17, v1, v54
	;;#ASMEND
	;;#ASMSTART
	v_dot2_f32_f16 v54, v18, v2, v54
	;;#ASMEND
	;;#ASMSTART
	v_dot2_f32_f16 v54, v19, v3, v54
	;;#ASMEND
	s_wait_dscnt 0x5
	;;#ASMSTART
	v_dot2_f32_f16 v71, v16, v4, v71
	;;#ASMEND
	;;#ASMSTART
	v_dot2_f32_f16 v71, v17, v5, v71
	;;#ASMEND
	;;#ASMSTART
	v_dot2_f32_f16 v71, v18, v6, v71
	;;#ASMEND
	;;#ASMSTART
	v_dot2_f32_f16 v71, v19, v7, v71
	;;#ASMEND
	;; [unrolled: 13-line block ×5, first 2 shown]
	;;#ASMSTART
	v_dot2_f32_f16 v116, v118, v4, v116
	;;#ASMEND
	;;#ASMSTART
	v_dot2_f32_f16 v116, v119, v5, v116
	;;#ASMEND
	;; [unrolled: 3-line block ×12, first 2 shown]
	s_wait_dscnt 0x1
	;;#ASMSTART
	v_dot2_f32_f16 v56, v122, v0, v56
	;;#ASMEND
	;;#ASMSTART
	v_dot2_f32_f16 v56, v123, v1, v56
	;;#ASMEND
	;; [unrolled: 3-line block ×16, first 2 shown]
	s_wait_dscnt 0x0
	;;#ASMSTART
	v_dot2_f32_f16 v90, v126, v0, v90
	;;#ASMEND
	;;#ASMSTART
	v_dot2_f32_f16 v90, v127, v1, v90
	;;#ASMEND
	;; [unrolled: 3-line block ×16, first 2 shown]
	ds_load_b128 v[0:3], v83 offset:112
	ds_load_b128 v[4:7], v20 offset:112
	v_add_nc_u64_e32 v[118:119], s[36:37], v[44:45]
	v_add_nc_u64_e32 v[120:121], s[36:37], v[46:47]
	ds_load_b128 v[8:11], v20 offset:1264
	ds_load_b128 v[12:15], v20 offset:2416
	;; [unrolled: 1-line block ×3, first 2 shown]
	v_add_nc_u64_e32 v[126:127], v[22:23], v[40:41]
	ds_load_b128 v[20:23], v83 offset:4720
	v_add_nc_u64_e32 v[128:129], v[118:119], v[40:41]
	v_add_nc_u64_e32 v[130:131], v[120:121], v[40:41]
	ds_load_b128 v[118:121], v83 offset:9328
	ds_load_b128 v[122:125], v83 offset:13936
	s_wait_dscnt 0x6
	;;#ASMSTART
	v_dot2_f32_f16 v54, v0, v4, v54
	;;#ASMEND
	;;#ASMSTART
	v_dot2_f32_f16 v54, v1, v5, v54
	;;#ASMEND
	;;#ASMSTART
	v_dot2_f32_f16 v54, v2, v6, v54
	;;#ASMEND
	;;#ASMSTART
	v_dot2_f32_f16 v54, v3, v7, v54
	;;#ASMEND
	s_wait_dscnt 0x5
	;;#ASMSTART
	v_dot2_f32_f16 v71, v0, v8, v71
	;;#ASMEND
	;;#ASMSTART
	v_dot2_f32_f16 v71, v1, v9, v71
	;;#ASMEND
	;;#ASMSTART
	v_dot2_f32_f16 v71, v2, v10, v71
	;;#ASMEND
	;;#ASMSTART
	v_dot2_f32_f16 v71, v3, v11, v71
	;;#ASMEND
	;; [unrolled: 13-line block ×5, first 2 shown]
	;;#ASMSTART
	v_dot2_f32_f16 v116, v20, v8, v116
	;;#ASMEND
	;;#ASMSTART
	v_dot2_f32_f16 v116, v21, v9, v116
	;;#ASMEND
	;; [unrolled: 3-line block ×12, first 2 shown]
	s_wait_dscnt 0x1
	;;#ASMSTART
	v_dot2_f32_f16 v56, v118, v4, v56
	;;#ASMEND
	;;#ASMSTART
	v_dot2_f32_f16 v56, v119, v5, v56
	;;#ASMEND
	;; [unrolled: 3-line block ×16, first 2 shown]
	s_wait_dscnt 0x0
	;;#ASMSTART
	v_dot2_f32_f16 v90, v122, v4, v90
	;;#ASMEND
	;;#ASMSTART
	v_dot2_f32_f16 v90, v123, v5, v90
	;;#ASMEND
	;; [unrolled: 3-line block ×16, first 2 shown]
	s_barrier_signal -1
	s_barrier_wait -1
	s_clause 0x3
	global_load_b128 v[0:3], v[126:127], off
	global_load_b128 v[4:7], v[92:93], off
	;; [unrolled: 1-line block ×4, first 2 shown]
	v_lshl_add_u32 v20, s38, 1, v76
	s_add_co_i32 s38, s33, 0x80
	s_wait_loadcnt 0x3
	ds_store_b128 v79, v[0:3]
	s_wait_loadcnt 0x2
	ds_store_b128 v80, v[4:7]
	;; [unrolled: 2-line block ×4, first 2 shown]
	s_wait_dscnt 0x0
	s_barrier_signal -1
	s_barrier_wait -1
	ds_load_b128 v[0:3], v83
	ds_load_b128 v[4:7], v20
	ds_load_b128 v[8:11], v20 offset:1152
	ds_load_b128 v[12:15], v20 offset:2304
	;; [unrolled: 1-line block ×6, first 2 shown]
	s_wait_dscnt 0x6
	;;#ASMSTART
	v_dot2_f32_f16 v54, v0, v4, v54
	;;#ASMEND
	;;#ASMSTART
	v_dot2_f32_f16 v54, v1, v5, v54
	;;#ASMEND
	;;#ASMSTART
	v_dot2_f32_f16 v54, v2, v6, v54
	;;#ASMEND
	;;#ASMSTART
	v_dot2_f32_f16 v54, v3, v7, v54
	;;#ASMEND
	s_wait_dscnt 0x5
	;;#ASMSTART
	v_dot2_f32_f16 v71, v0, v8, v71
	;;#ASMEND
	;;#ASMSTART
	v_dot2_f32_f16 v71, v1, v9, v71
	;;#ASMEND
	;;#ASMSTART
	v_dot2_f32_f16 v71, v2, v10, v71
	;;#ASMEND
	;;#ASMSTART
	v_dot2_f32_f16 v71, v3, v11, v71
	;;#ASMEND
	;; [unrolled: 13-line block ×5, first 2 shown]
	;;#ASMSTART
	v_dot2_f32_f16 v116, v118, v8, v116
	;;#ASMEND
	;;#ASMSTART
	v_dot2_f32_f16 v116, v119, v9, v116
	;;#ASMEND
	;; [unrolled: 3-line block ×12, first 2 shown]
	s_wait_dscnt 0x1
	;;#ASMSTART
	v_dot2_f32_f16 v56, v122, v4, v56
	;;#ASMEND
	;;#ASMSTART
	v_dot2_f32_f16 v56, v123, v5, v56
	;;#ASMEND
	;; [unrolled: 3-line block ×16, first 2 shown]
	s_wait_dscnt 0x0
	;;#ASMSTART
	v_dot2_f32_f16 v90, v126, v4, v90
	;;#ASMEND
	;;#ASMSTART
	v_dot2_f32_f16 v90, v127, v5, v90
	;;#ASMEND
	;; [unrolled: 3-line block ×16, first 2 shown]
	ds_load_b128 v[0:3], v83 offset:16
	ds_load_b128 v[4:7], v20 offset:16
	;; [unrolled: 1-line block ×8, first 2 shown]
	s_wait_dscnt 0x6
	;;#ASMSTART
	v_dot2_f32_f16 v54, v0, v4, v54
	;;#ASMEND
	;;#ASMSTART
	v_dot2_f32_f16 v54, v1, v5, v54
	;;#ASMEND
	;;#ASMSTART
	v_dot2_f32_f16 v54, v2, v6, v54
	;;#ASMEND
	;;#ASMSTART
	v_dot2_f32_f16 v54, v3, v7, v54
	;;#ASMEND
	s_wait_dscnt 0x5
	;;#ASMSTART
	v_dot2_f32_f16 v71, v0, v8, v71
	;;#ASMEND
	;;#ASMSTART
	v_dot2_f32_f16 v71, v1, v9, v71
	;;#ASMEND
	;;#ASMSTART
	v_dot2_f32_f16 v71, v2, v10, v71
	;;#ASMEND
	;;#ASMSTART
	v_dot2_f32_f16 v71, v3, v11, v71
	;;#ASMEND
	;; [unrolled: 13-line block ×5, first 2 shown]
	;;#ASMSTART
	v_dot2_f32_f16 v116, v118, v8, v116
	;;#ASMEND
	;;#ASMSTART
	v_dot2_f32_f16 v116, v119, v9, v116
	;;#ASMEND
	;; [unrolled: 3-line block ×12, first 2 shown]
	s_wait_dscnt 0x1
	;;#ASMSTART
	v_dot2_f32_f16 v56, v122, v4, v56
	;;#ASMEND
	;;#ASMSTART
	v_dot2_f32_f16 v56, v123, v5, v56
	;;#ASMEND
	;; [unrolled: 3-line block ×16, first 2 shown]
	s_wait_dscnt 0x0
	;;#ASMSTART
	v_dot2_f32_f16 v90, v126, v4, v90
	;;#ASMEND
	;;#ASMSTART
	v_dot2_f32_f16 v90, v127, v5, v90
	;;#ASMEND
	;; [unrolled: 3-line block ×16, first 2 shown]
	ds_load_b128 v[0:3], v83 offset:32
	ds_load_b128 v[4:7], v20 offset:32
	;; [unrolled: 1-line block ×8, first 2 shown]
	s_wait_dscnt 0x6
	;;#ASMSTART
	v_dot2_f32_f16 v54, v0, v4, v54
	;;#ASMEND
	;;#ASMSTART
	v_dot2_f32_f16 v54, v1, v5, v54
	;;#ASMEND
	;;#ASMSTART
	v_dot2_f32_f16 v54, v2, v6, v54
	;;#ASMEND
	;;#ASMSTART
	v_dot2_f32_f16 v54, v3, v7, v54
	;;#ASMEND
	s_wait_dscnt 0x5
	;;#ASMSTART
	v_dot2_f32_f16 v71, v0, v8, v71
	;;#ASMEND
	;;#ASMSTART
	v_dot2_f32_f16 v71, v1, v9, v71
	;;#ASMEND
	;;#ASMSTART
	v_dot2_f32_f16 v71, v2, v10, v71
	;;#ASMEND
	;;#ASMSTART
	v_dot2_f32_f16 v71, v3, v11, v71
	;;#ASMEND
	;; [unrolled: 13-line block ×5, first 2 shown]
	;;#ASMSTART
	v_dot2_f32_f16 v116, v118, v8, v116
	;;#ASMEND
	;;#ASMSTART
	v_dot2_f32_f16 v116, v119, v9, v116
	;;#ASMEND
	;; [unrolled: 3-line block ×12, first 2 shown]
	s_wait_dscnt 0x1
	;;#ASMSTART
	v_dot2_f32_f16 v56, v122, v4, v56
	;;#ASMEND
	;;#ASMSTART
	v_dot2_f32_f16 v56, v123, v5, v56
	;;#ASMEND
	;;#ASMSTART
	v_dot2_f32_f16 v56, v124, v6, v56
	;;#ASMEND
	;;#ASMSTART
	v_dot2_f32_f16 v56, v125, v7, v56
	;;#ASMEND
	;;#ASMSTART
	v_dot2_f32_f16 v69, v122, v8, v69
	;;#ASMEND
	;;#ASMSTART
	v_dot2_f32_f16 v69, v123, v9, v69
	;;#ASMEND
	;;#ASMSTART
	v_dot2_f32_f16 v69, v124, v10, v69
	;;#ASMEND
	;;#ASMSTART
	v_dot2_f32_f16 v69, v125, v11, v69
	;;#ASMEND
	;;#ASMSTART
	v_dot2_f32_f16 v68, v122, v12, v68
	;;#ASMEND
	;;#ASMSTART
	v_dot2_f32_f16 v68, v123, v13, v68
	;;#ASMEND
	;;#ASMSTART
	v_dot2_f32_f16 v68, v124, v14, v68
	;;#ASMEND
	;;#ASMSTART
	v_dot2_f32_f16 v68, v125, v15, v68
	;;#ASMEND
	;;#ASMSTART
	v_dot2_f32_f16 v57, v122, v16, v57
	;;#ASMEND
	;;#ASMSTART
	v_dot2_f32_f16 v57, v123, v17, v57
	;;#ASMEND
	;;#ASMSTART
	v_dot2_f32_f16 v57, v124, v18, v57
	;;#ASMEND
	;;#ASMSTART
	v_dot2_f32_f16 v57, v125, v19, v57
	;;#ASMEND
	s_wait_dscnt 0x0
	;;#ASMSTART
	v_dot2_f32_f16 v90, v126, v4, v90
	;;#ASMEND
	;;#ASMSTART
	v_dot2_f32_f16 v90, v127, v5, v90
	;;#ASMEND
	;; [unrolled: 3-line block ×16, first 2 shown]
	ds_load_b128 v[0:3], v83 offset:48
	ds_load_b128 v[4:7], v20 offset:48
	ds_load_b128 v[8:11], v20 offset:1200
	ds_load_b128 v[12:15], v20 offset:2352
	ds_load_b128 v[16:19], v20 offset:3504
	ds_load_b128 v[118:121], v83 offset:4656
	ds_load_b128 v[122:125], v83 offset:9264
	ds_load_b128 v[126:129], v83 offset:13872
	s_wait_dscnt 0x6
	;;#ASMSTART
	v_dot2_f32_f16 v54, v0, v4, v54
	;;#ASMEND
	;;#ASMSTART
	v_dot2_f32_f16 v54, v1, v5, v54
	;;#ASMEND
	;;#ASMSTART
	v_dot2_f32_f16 v54, v2, v6, v54
	;;#ASMEND
	;;#ASMSTART
	v_dot2_f32_f16 v54, v3, v7, v54
	;;#ASMEND
	s_wait_dscnt 0x5
	;;#ASMSTART
	v_dot2_f32_f16 v71, v0, v8, v71
	;;#ASMEND
	;;#ASMSTART
	v_dot2_f32_f16 v71, v1, v9, v71
	;;#ASMEND
	;;#ASMSTART
	v_dot2_f32_f16 v71, v2, v10, v71
	;;#ASMEND
	;;#ASMSTART
	v_dot2_f32_f16 v71, v3, v11, v71
	;;#ASMEND
	;; [unrolled: 13-line block ×5, first 2 shown]
	;;#ASMSTART
	v_dot2_f32_f16 v116, v118, v8, v116
	;;#ASMEND
	;;#ASMSTART
	v_dot2_f32_f16 v116, v119, v9, v116
	;;#ASMEND
	;; [unrolled: 3-line block ×12, first 2 shown]
	s_wait_dscnt 0x1
	;;#ASMSTART
	v_dot2_f32_f16 v56, v122, v4, v56
	;;#ASMEND
	;;#ASMSTART
	v_dot2_f32_f16 v56, v123, v5, v56
	;;#ASMEND
	;; [unrolled: 3-line block ×16, first 2 shown]
	s_wait_dscnt 0x0
	;;#ASMSTART
	v_dot2_f32_f16 v90, v126, v4, v90
	;;#ASMEND
	;;#ASMSTART
	v_dot2_f32_f16 v90, v127, v5, v90
	;;#ASMEND
	;; [unrolled: 3-line block ×16, first 2 shown]
	ds_load_b128 v[0:3], v83 offset:64
	ds_load_b128 v[4:7], v20 offset:64
	;; [unrolled: 1-line block ×8, first 2 shown]
	s_wait_dscnt 0x6
	;;#ASMSTART
	v_dot2_f32_f16 v54, v0, v4, v54
	;;#ASMEND
	;;#ASMSTART
	v_dot2_f32_f16 v54, v1, v5, v54
	;;#ASMEND
	;;#ASMSTART
	v_dot2_f32_f16 v54, v2, v6, v54
	;;#ASMEND
	;;#ASMSTART
	v_dot2_f32_f16 v54, v3, v7, v54
	;;#ASMEND
	s_wait_dscnt 0x5
	;;#ASMSTART
	v_dot2_f32_f16 v71, v0, v8, v71
	;;#ASMEND
	;;#ASMSTART
	v_dot2_f32_f16 v71, v1, v9, v71
	;;#ASMEND
	;;#ASMSTART
	v_dot2_f32_f16 v71, v2, v10, v71
	;;#ASMEND
	;;#ASMSTART
	v_dot2_f32_f16 v71, v3, v11, v71
	;;#ASMEND
	;; [unrolled: 13-line block ×5, first 2 shown]
	;;#ASMSTART
	v_dot2_f32_f16 v116, v118, v8, v116
	;;#ASMEND
	;;#ASMSTART
	v_dot2_f32_f16 v116, v119, v9, v116
	;;#ASMEND
	;; [unrolled: 3-line block ×12, first 2 shown]
	s_wait_dscnt 0x1
	;;#ASMSTART
	v_dot2_f32_f16 v56, v122, v4, v56
	;;#ASMEND
	;;#ASMSTART
	v_dot2_f32_f16 v56, v123, v5, v56
	;;#ASMEND
	;; [unrolled: 3-line block ×16, first 2 shown]
	s_wait_dscnt 0x0
	;;#ASMSTART
	v_dot2_f32_f16 v90, v126, v4, v90
	;;#ASMEND
	;;#ASMSTART
	v_dot2_f32_f16 v90, v127, v5, v90
	;;#ASMEND
	;; [unrolled: 3-line block ×16, first 2 shown]
	ds_load_b128 v[0:3], v83 offset:80
	ds_load_b128 v[4:7], v20 offset:80
	;; [unrolled: 1-line block ×8, first 2 shown]
	s_wait_dscnt 0x6
	;;#ASMSTART
	v_dot2_f32_f16 v54, v0, v4, v54
	;;#ASMEND
	;;#ASMSTART
	v_dot2_f32_f16 v54, v1, v5, v54
	;;#ASMEND
	;;#ASMSTART
	v_dot2_f32_f16 v54, v2, v6, v54
	;;#ASMEND
	;;#ASMSTART
	v_dot2_f32_f16 v54, v3, v7, v54
	;;#ASMEND
	s_wait_dscnt 0x5
	;;#ASMSTART
	v_dot2_f32_f16 v71, v0, v8, v71
	;;#ASMEND
	;;#ASMSTART
	v_dot2_f32_f16 v71, v1, v9, v71
	;;#ASMEND
	;;#ASMSTART
	v_dot2_f32_f16 v71, v2, v10, v71
	;;#ASMEND
	;;#ASMSTART
	v_dot2_f32_f16 v71, v3, v11, v71
	;;#ASMEND
	;; [unrolled: 13-line block ×5, first 2 shown]
	;;#ASMSTART
	v_dot2_f32_f16 v116, v118, v8, v116
	;;#ASMEND
	;;#ASMSTART
	v_dot2_f32_f16 v116, v119, v9, v116
	;;#ASMEND
	;; [unrolled: 3-line block ×12, first 2 shown]
	s_wait_dscnt 0x1
	;;#ASMSTART
	v_dot2_f32_f16 v56, v122, v4, v56
	;;#ASMEND
	;;#ASMSTART
	v_dot2_f32_f16 v56, v123, v5, v56
	;;#ASMEND
	;; [unrolled: 3-line block ×16, first 2 shown]
	s_wait_dscnt 0x0
	;;#ASMSTART
	v_dot2_f32_f16 v90, v126, v4, v90
	;;#ASMEND
	;;#ASMSTART
	v_dot2_f32_f16 v90, v127, v5, v90
	;;#ASMEND
	;; [unrolled: 3-line block ×16, first 2 shown]
	ds_load_b128 v[16:19], v83 offset:96
	ds_load_b128 v[0:3], v20 offset:96
	;; [unrolled: 1-line block ×8, first 2 shown]
	s_wait_dscnt 0x6
	;;#ASMSTART
	v_dot2_f32_f16 v54, v16, v0, v54
	;;#ASMEND
	;;#ASMSTART
	v_dot2_f32_f16 v54, v17, v1, v54
	;;#ASMEND
	;;#ASMSTART
	v_dot2_f32_f16 v54, v18, v2, v54
	;;#ASMEND
	;;#ASMSTART
	v_dot2_f32_f16 v54, v19, v3, v54
	;;#ASMEND
	s_wait_dscnt 0x5
	;;#ASMSTART
	v_dot2_f32_f16 v71, v16, v4, v71
	;;#ASMEND
	;;#ASMSTART
	v_dot2_f32_f16 v71, v17, v5, v71
	;;#ASMEND
	;;#ASMSTART
	v_dot2_f32_f16 v71, v18, v6, v71
	;;#ASMEND
	;;#ASMSTART
	v_dot2_f32_f16 v71, v19, v7, v71
	;;#ASMEND
	;; [unrolled: 13-line block ×5, first 2 shown]
	;;#ASMSTART
	v_dot2_f32_f16 v116, v118, v4, v116
	;;#ASMEND
	;;#ASMSTART
	v_dot2_f32_f16 v116, v119, v5, v116
	;;#ASMEND
	;;#ASMSTART
	v_dot2_f32_f16 v116, v120, v6, v116
	;;#ASMEND
	;;#ASMSTART
	v_dot2_f32_f16 v116, v121, v7, v116
	;;#ASMEND
	;;#ASMSTART
	v_dot2_f32_f16 v67, v118, v8, v67
	;;#ASMEND
	;;#ASMSTART
	v_dot2_f32_f16 v67, v119, v9, v67
	;;#ASMEND
	;;#ASMSTART
	v_dot2_f32_f16 v67, v120, v10, v67
	;;#ASMEND
	;;#ASMSTART
	v_dot2_f32_f16 v67, v121, v11, v67
	;;#ASMEND
	;;#ASMSTART
	v_dot2_f32_f16 v60, v118, v12, v60
	;;#ASMEND
	;;#ASMSTART
	v_dot2_f32_f16 v60, v119, v13, v60
	;;#ASMEND
	;;#ASMSTART
	v_dot2_f32_f16 v60, v120, v14, v60
	;;#ASMEND
	;;#ASMSTART
	v_dot2_f32_f16 v60, v121, v15, v60
	;;#ASMEND
	s_wait_dscnt 0x1
	;;#ASMSTART
	v_dot2_f32_f16 v56, v122, v0, v56
	;;#ASMEND
	;;#ASMSTART
	v_dot2_f32_f16 v56, v123, v1, v56
	;;#ASMEND
	;; [unrolled: 3-line block ×16, first 2 shown]
	s_wait_dscnt 0x0
	;;#ASMSTART
	v_dot2_f32_f16 v90, v126, v0, v90
	;;#ASMEND
	;;#ASMSTART
	v_dot2_f32_f16 v90, v127, v1, v90
	;;#ASMEND
	;; [unrolled: 3-line block ×16, first 2 shown]
	ds_load_b128 v[0:3], v83 offset:112
	ds_load_b128 v[4:7], v20 offset:112
	s_lshr_b32 s10, s38, 1
	ds_load_b128 v[8:11], v20 offset:1264
	ds_load_b128 v[12:15], v20 offset:2416
	s_lshl_b64 s[36:37], s[10:11], 2
	ds_load_b128 v[16:19], v20 offset:3568
	s_add_nc_u64 s[36:37], s[26:27], s[36:37]
	s_cmp_gt_u32 s33, 0x17f
	v_add_nc_u64_e32 v[22:23], s[36:37], v[38:39]
	v_add_nc_u64_e32 v[118:119], s[36:37], v[44:45]
	;; [unrolled: 1-line block ×4, first 2 shown]
	s_mov_b32 s10, -1
	s_delay_alu instid0(VALU_DEP_4) | instskip(NEXT) | instid1(VALU_DEP_4)
	v_add_nc_u64_e32 v[126:127], v[22:23], v[40:41]
	v_add_nc_u64_e32 v[128:129], v[118:119], v[40:41]
	ds_load_b128 v[20:23], v83 offset:4720
	v_add_nc_u64_e32 v[130:131], v[120:121], v[40:41]
	ds_load_b128 v[118:121], v83 offset:9328
	ds_load_b128 v[122:125], v83 offset:13936
	s_wait_dscnt 0x6
	;;#ASMSTART
	v_dot2_f32_f16 v54, v0, v4, v54
	;;#ASMEND
	;;#ASMSTART
	v_dot2_f32_f16 v54, v1, v5, v54
	;;#ASMEND
	;;#ASMSTART
	v_dot2_f32_f16 v54, v2, v6, v54
	;;#ASMEND
	;;#ASMSTART
	v_dot2_f32_f16 v54, v3, v7, v54
	;;#ASMEND
	s_wait_dscnt 0x5
	;;#ASMSTART
	v_dot2_f32_f16 v71, v0, v8, v71
	;;#ASMEND
	;;#ASMSTART
	v_dot2_f32_f16 v71, v1, v9, v71
	;;#ASMEND
	;;#ASMSTART
	v_dot2_f32_f16 v71, v2, v10, v71
	;;#ASMEND
	;;#ASMSTART
	v_dot2_f32_f16 v71, v3, v11, v71
	;;#ASMEND
	;; [unrolled: 13-line block ×5, first 2 shown]
	;;#ASMSTART
	v_dot2_f32_f16 v116, v20, v8, v116
	;;#ASMEND
	;;#ASMSTART
	v_dot2_f32_f16 v116, v21, v9, v116
	;;#ASMEND
	;;#ASMSTART
	v_dot2_f32_f16 v116, v22, v10, v116
	;;#ASMEND
	;;#ASMSTART
	v_dot2_f32_f16 v116, v23, v11, v116
	;;#ASMEND
	;;#ASMSTART
	v_dot2_f32_f16 v67, v20, v12, v67
	;;#ASMEND
	;;#ASMSTART
	v_dot2_f32_f16 v67, v21, v13, v67
	;;#ASMEND
	;;#ASMSTART
	v_dot2_f32_f16 v67, v22, v14, v67
	;;#ASMEND
	;;#ASMSTART
	v_dot2_f32_f16 v67, v23, v15, v67
	;;#ASMEND
	;;#ASMSTART
	v_dot2_f32_f16 v60, v20, v16, v60
	;;#ASMEND
	;;#ASMSTART
	v_dot2_f32_f16 v60, v21, v17, v60
	;;#ASMEND
	;;#ASMSTART
	v_dot2_f32_f16 v60, v22, v18, v60
	;;#ASMEND
	;;#ASMSTART
	v_dot2_f32_f16 v60, v23, v19, v60
	;;#ASMEND
	s_wait_dscnt 0x1
	;;#ASMSTART
	v_dot2_f32_f16 v56, v118, v4, v56
	;;#ASMEND
	;;#ASMSTART
	v_dot2_f32_f16 v56, v119, v5, v56
	;;#ASMEND
	;; [unrolled: 3-line block ×16, first 2 shown]
	s_wait_dscnt 0x0
	;;#ASMSTART
	v_dot2_f32_f16 v90, v122, v4, v90
	;;#ASMEND
	;;#ASMSTART
	v_dot2_f32_f16 v90, v123, v5, v90
	;;#ASMEND
	;; [unrolled: 3-line block ×7, first 2 shown]
	v_add_nc_u64_e32 v[92:93], v[92:93], v[40:41]
	;;#ASMSTART
	v_dot2_f32_f16 v70, v125, v11, v70
	;;#ASMEND
	;;#ASMSTART
	v_dot2_f32_f16 v66, v122, v12, v66
	;;#ASMEND
	;; [unrolled: 3-line block ×9, first 2 shown]
	s_barrier_signal -1
	s_barrier_wait -1
	s_clause 0x3
	global_load_b128 v[0:3], v[126:127], off
	global_load_b128 v[4:7], v[92:93], off
	;; [unrolled: 1-line block ×4, first 2 shown]
	v_lshl_add_u32 v12, s38, 1, v76
	s_wait_loadcnt 0x3
	ds_store_b128 v79, v[0:3]
	s_wait_loadcnt 0x2
	ds_store_b128 v80, v[4:7]
	s_wait_loadcnt 0x1
	ds_store_b128 v81, v[8:11]
	s_wait_loadcnt 0x0
	ds_store_b128 v82, v[14:17]
	s_wait_dscnt 0x0
	s_barrier_signal -1
	s_barrier_wait -1
	ds_load_b128 v[0:3], v83
	ds_load_b128 v[4:7], v12
	ds_load_b128 v[8:11], v12 offset:1152
	ds_load_b128 v[14:17], v12 offset:2304
	;; [unrolled: 1-line block ×6, first 2 shown]
	s_wait_dscnt 0x6
	;;#ASMSTART
	v_dot2_f32_f16 v54, v0, v4, v54
	;;#ASMEND
	;;#ASMSTART
	v_dot2_f32_f16 v54, v1, v5, v54
	;;#ASMEND
	;;#ASMSTART
	v_dot2_f32_f16 v54, v2, v6, v54
	;;#ASMEND
	;;#ASMSTART
	v_dot2_f32_f16 v54, v3, v7, v54
	;;#ASMEND
	s_wait_dscnt 0x5
	;;#ASMSTART
	v_dot2_f32_f16 v71, v0, v8, v71
	;;#ASMEND
	;;#ASMSTART
	v_dot2_f32_f16 v71, v1, v9, v71
	;;#ASMEND
	;;#ASMSTART
	v_dot2_f32_f16 v71, v2, v10, v71
	;;#ASMEND
	;;#ASMSTART
	v_dot2_f32_f16 v71, v3, v11, v71
	;;#ASMEND
	;; [unrolled: 13-line block ×5, first 2 shown]
	;;#ASMSTART
	v_dot2_f32_f16 v116, v118, v8, v116
	;;#ASMEND
	;;#ASMSTART
	v_dot2_f32_f16 v116, v119, v9, v116
	;;#ASMEND
	;; [unrolled: 3-line block ×12, first 2 shown]
	s_wait_dscnt 0x1
	;;#ASMSTART
	v_dot2_f32_f16 v56, v122, v4, v56
	;;#ASMEND
	;;#ASMSTART
	v_dot2_f32_f16 v56, v123, v5, v56
	;;#ASMEND
	;; [unrolled: 3-line block ×16, first 2 shown]
	s_wait_dscnt 0x0
	;;#ASMSTART
	v_dot2_f32_f16 v90, v126, v4, v90
	;;#ASMEND
	;;#ASMSTART
	v_dot2_f32_f16 v90, v127, v5, v90
	;;#ASMEND
	;; [unrolled: 3-line block ×16, first 2 shown]
	ds_load_b128 v[0:3], v83 offset:16
	ds_load_b128 v[4:7], v12 offset:16
	;; [unrolled: 1-line block ×8, first 2 shown]
	s_wait_dscnt 0x6
	;;#ASMSTART
	v_dot2_f32_f16 v54, v0, v4, v54
	;;#ASMEND
	;;#ASMSTART
	v_dot2_f32_f16 v54, v1, v5, v54
	;;#ASMEND
	;;#ASMSTART
	v_dot2_f32_f16 v54, v2, v6, v54
	;;#ASMEND
	;;#ASMSTART
	v_dot2_f32_f16 v54, v3, v7, v54
	;;#ASMEND
	s_wait_dscnt 0x5
	;;#ASMSTART
	v_dot2_f32_f16 v71, v0, v8, v71
	;;#ASMEND
	;;#ASMSTART
	v_dot2_f32_f16 v71, v1, v9, v71
	;;#ASMEND
	;;#ASMSTART
	v_dot2_f32_f16 v71, v2, v10, v71
	;;#ASMEND
	;;#ASMSTART
	v_dot2_f32_f16 v71, v3, v11, v71
	;;#ASMEND
	;; [unrolled: 13-line block ×5, first 2 shown]
	;;#ASMSTART
	v_dot2_f32_f16 v116, v118, v8, v116
	;;#ASMEND
	;;#ASMSTART
	v_dot2_f32_f16 v116, v119, v9, v116
	;;#ASMEND
	;; [unrolled: 3-line block ×12, first 2 shown]
	s_wait_dscnt 0x1
	;;#ASMSTART
	v_dot2_f32_f16 v56, v122, v4, v56
	;;#ASMEND
	;;#ASMSTART
	v_dot2_f32_f16 v56, v123, v5, v56
	;;#ASMEND
	;; [unrolled: 3-line block ×16, first 2 shown]
	s_wait_dscnt 0x0
	;;#ASMSTART
	v_dot2_f32_f16 v90, v126, v4, v90
	;;#ASMEND
	;;#ASMSTART
	v_dot2_f32_f16 v90, v127, v5, v90
	;;#ASMEND
	;; [unrolled: 3-line block ×16, first 2 shown]
	ds_load_b128 v[0:3], v83 offset:32
	ds_load_b128 v[4:7], v12 offset:32
	;; [unrolled: 1-line block ×8, first 2 shown]
	s_wait_dscnt 0x6
	;;#ASMSTART
	v_dot2_f32_f16 v54, v0, v4, v54
	;;#ASMEND
	;;#ASMSTART
	v_dot2_f32_f16 v54, v1, v5, v54
	;;#ASMEND
	;;#ASMSTART
	v_dot2_f32_f16 v54, v2, v6, v54
	;;#ASMEND
	;;#ASMSTART
	v_dot2_f32_f16 v54, v3, v7, v54
	;;#ASMEND
	s_wait_dscnt 0x5
	;;#ASMSTART
	v_dot2_f32_f16 v71, v0, v8, v71
	;;#ASMEND
	;;#ASMSTART
	v_dot2_f32_f16 v71, v1, v9, v71
	;;#ASMEND
	;;#ASMSTART
	v_dot2_f32_f16 v71, v2, v10, v71
	;;#ASMEND
	;;#ASMSTART
	v_dot2_f32_f16 v71, v3, v11, v71
	;;#ASMEND
	;; [unrolled: 13-line block ×5, first 2 shown]
	;;#ASMSTART
	v_dot2_f32_f16 v116, v118, v8, v116
	;;#ASMEND
	;;#ASMSTART
	v_dot2_f32_f16 v116, v119, v9, v116
	;;#ASMEND
	;; [unrolled: 3-line block ×12, first 2 shown]
	s_wait_dscnt 0x1
	;;#ASMSTART
	v_dot2_f32_f16 v56, v122, v4, v56
	;;#ASMEND
	;;#ASMSTART
	v_dot2_f32_f16 v56, v123, v5, v56
	;;#ASMEND
	;; [unrolled: 3-line block ×16, first 2 shown]
	s_wait_dscnt 0x0
	;;#ASMSTART
	v_dot2_f32_f16 v90, v126, v4, v90
	;;#ASMEND
	;;#ASMSTART
	v_dot2_f32_f16 v90, v127, v5, v90
	;;#ASMEND
	;; [unrolled: 3-line block ×16, first 2 shown]
	ds_load_b128 v[0:3], v83 offset:48
	ds_load_b128 v[4:7], v12 offset:48
	;; [unrolled: 1-line block ×8, first 2 shown]
	s_wait_dscnt 0x6
	;;#ASMSTART
	v_dot2_f32_f16 v54, v0, v4, v54
	;;#ASMEND
	;;#ASMSTART
	v_dot2_f32_f16 v54, v1, v5, v54
	;;#ASMEND
	;;#ASMSTART
	v_dot2_f32_f16 v54, v2, v6, v54
	;;#ASMEND
	;;#ASMSTART
	v_dot2_f32_f16 v54, v3, v7, v54
	;;#ASMEND
	s_wait_dscnt 0x5
	;;#ASMSTART
	v_dot2_f32_f16 v71, v0, v8, v71
	;;#ASMEND
	;;#ASMSTART
	v_dot2_f32_f16 v71, v1, v9, v71
	;;#ASMEND
	;;#ASMSTART
	v_dot2_f32_f16 v71, v2, v10, v71
	;;#ASMEND
	;;#ASMSTART
	v_dot2_f32_f16 v71, v3, v11, v71
	;;#ASMEND
	;; [unrolled: 13-line block ×5, first 2 shown]
	;;#ASMSTART
	v_dot2_f32_f16 v116, v118, v8, v116
	;;#ASMEND
	;;#ASMSTART
	v_dot2_f32_f16 v116, v119, v9, v116
	;;#ASMEND
	;; [unrolled: 3-line block ×12, first 2 shown]
	s_wait_dscnt 0x1
	;;#ASMSTART
	v_dot2_f32_f16 v56, v122, v4, v56
	;;#ASMEND
	;;#ASMSTART
	v_dot2_f32_f16 v56, v123, v5, v56
	;;#ASMEND
	;; [unrolled: 3-line block ×16, first 2 shown]
	s_wait_dscnt 0x0
	;;#ASMSTART
	v_dot2_f32_f16 v90, v126, v4, v90
	;;#ASMEND
	;;#ASMSTART
	v_dot2_f32_f16 v90, v127, v5, v90
	;;#ASMEND
	;;#ASMSTART
	v_dot2_f32_f16 v90, v128, v6, v90
	;;#ASMEND
	;;#ASMSTART
	v_dot2_f32_f16 v90, v129, v7, v90
	;;#ASMEND
	;;#ASMSTART
	v_dot2_f32_f16 v70, v126, v8, v70
	;;#ASMEND
	;;#ASMSTART
	v_dot2_f32_f16 v70, v127, v9, v70
	;;#ASMEND
	;;#ASMSTART
	v_dot2_f32_f16 v70, v128, v10, v70
	;;#ASMEND
	;;#ASMSTART
	v_dot2_f32_f16 v70, v129, v11, v70
	;;#ASMEND
	;;#ASMSTART
	v_dot2_f32_f16 v66, v126, v14, v66
	;;#ASMEND
	;;#ASMSTART
	v_dot2_f32_f16 v66, v127, v15, v66
	;;#ASMEND
	;;#ASMSTART
	v_dot2_f32_f16 v66, v128, v16, v66
	;;#ASMEND
	;;#ASMSTART
	v_dot2_f32_f16 v66, v129, v17, v66
	;;#ASMEND
	;;#ASMSTART
	v_dot2_f32_f16 v36, v126, v18, v36
	;;#ASMEND
	;;#ASMSTART
	v_dot2_f32_f16 v36, v127, v19, v36
	;;#ASMEND
	;;#ASMSTART
	v_dot2_f32_f16 v36, v128, v20, v36
	;;#ASMEND
	;;#ASMSTART
	v_dot2_f32_f16 v36, v129, v21, v36
	;;#ASMEND
	ds_load_b128 v[0:3], v83 offset:64
	ds_load_b128 v[4:7], v12 offset:64
	;; [unrolled: 1-line block ×8, first 2 shown]
	s_wait_dscnt 0x6
	;;#ASMSTART
	v_dot2_f32_f16 v54, v0, v4, v54
	;;#ASMEND
	;;#ASMSTART
	v_dot2_f32_f16 v54, v1, v5, v54
	;;#ASMEND
	;;#ASMSTART
	v_dot2_f32_f16 v54, v2, v6, v54
	;;#ASMEND
	;;#ASMSTART
	v_dot2_f32_f16 v54, v3, v7, v54
	;;#ASMEND
	s_wait_dscnt 0x5
	;;#ASMSTART
	v_dot2_f32_f16 v71, v0, v8, v71
	;;#ASMEND
	;;#ASMSTART
	v_dot2_f32_f16 v71, v1, v9, v71
	;;#ASMEND
	;;#ASMSTART
	v_dot2_f32_f16 v71, v2, v10, v71
	;;#ASMEND
	;;#ASMSTART
	v_dot2_f32_f16 v71, v3, v11, v71
	;;#ASMEND
	;; [unrolled: 13-line block ×5, first 2 shown]
	;;#ASMSTART
	v_dot2_f32_f16 v116, v118, v8, v116
	;;#ASMEND
	;;#ASMSTART
	v_dot2_f32_f16 v116, v119, v9, v116
	;;#ASMEND
	;; [unrolled: 3-line block ×12, first 2 shown]
	s_wait_dscnt 0x1
	;;#ASMSTART
	v_dot2_f32_f16 v56, v122, v4, v56
	;;#ASMEND
	;;#ASMSTART
	v_dot2_f32_f16 v56, v123, v5, v56
	;;#ASMEND
	;; [unrolled: 3-line block ×16, first 2 shown]
	s_wait_dscnt 0x0
	;;#ASMSTART
	v_dot2_f32_f16 v90, v126, v4, v90
	;;#ASMEND
	;;#ASMSTART
	v_dot2_f32_f16 v90, v127, v5, v90
	;;#ASMEND
	;; [unrolled: 3-line block ×16, first 2 shown]
	ds_load_b128 v[0:3], v83 offset:80
	ds_load_b128 v[4:7], v12 offset:80
	;; [unrolled: 1-line block ×8, first 2 shown]
	s_wait_dscnt 0x6
	;;#ASMSTART
	v_dot2_f32_f16 v54, v0, v4, v54
	;;#ASMEND
	;;#ASMSTART
	v_dot2_f32_f16 v54, v1, v5, v54
	;;#ASMEND
	;;#ASMSTART
	v_dot2_f32_f16 v54, v2, v6, v54
	;;#ASMEND
	;;#ASMSTART
	v_dot2_f32_f16 v54, v3, v7, v54
	;;#ASMEND
	s_wait_dscnt 0x5
	;;#ASMSTART
	v_dot2_f32_f16 v71, v0, v8, v71
	;;#ASMEND
	;;#ASMSTART
	v_dot2_f32_f16 v71, v1, v9, v71
	;;#ASMEND
	;;#ASMSTART
	v_dot2_f32_f16 v71, v2, v10, v71
	;;#ASMEND
	;;#ASMSTART
	v_dot2_f32_f16 v71, v3, v11, v71
	;;#ASMEND
	;; [unrolled: 13-line block ×5, first 2 shown]
	;;#ASMSTART
	v_dot2_f32_f16 v116, v118, v8, v116
	;;#ASMEND
	;;#ASMSTART
	v_dot2_f32_f16 v116, v119, v9, v116
	;;#ASMEND
	;; [unrolled: 3-line block ×12, first 2 shown]
	s_wait_dscnt 0x1
	;;#ASMSTART
	v_dot2_f32_f16 v56, v122, v4, v56
	;;#ASMEND
	;;#ASMSTART
	v_dot2_f32_f16 v56, v123, v5, v56
	;;#ASMEND
	;; [unrolled: 3-line block ×16, first 2 shown]
	s_wait_dscnt 0x0
	;;#ASMSTART
	v_dot2_f32_f16 v90, v126, v4, v90
	;;#ASMEND
	;;#ASMSTART
	v_dot2_f32_f16 v90, v127, v5, v90
	;;#ASMEND
	;;#ASMSTART
	v_dot2_f32_f16 v90, v128, v6, v90
	;;#ASMEND
	;;#ASMSTART
	v_dot2_f32_f16 v90, v129, v7, v90
	;;#ASMEND
	;;#ASMSTART
	v_dot2_f32_f16 v70, v126, v8, v70
	;;#ASMEND
	;;#ASMSTART
	v_dot2_f32_f16 v70, v127, v9, v70
	;;#ASMEND
	;;#ASMSTART
	v_dot2_f32_f16 v70, v128, v10, v70
	;;#ASMEND
	;;#ASMSTART
	v_dot2_f32_f16 v70, v129, v11, v70
	;;#ASMEND
	;;#ASMSTART
	v_dot2_f32_f16 v66, v126, v14, v66
	;;#ASMEND
	;;#ASMSTART
	v_dot2_f32_f16 v66, v127, v15, v66
	;;#ASMEND
	;;#ASMSTART
	v_dot2_f32_f16 v66, v128, v16, v66
	;;#ASMEND
	;;#ASMSTART
	v_dot2_f32_f16 v66, v129, v17, v66
	;;#ASMEND
	;;#ASMSTART
	v_dot2_f32_f16 v36, v126, v18, v36
	;;#ASMEND
	;;#ASMSTART
	v_dot2_f32_f16 v36, v127, v19, v36
	;;#ASMEND
	;;#ASMSTART
	v_dot2_f32_f16 v36, v128, v20, v36
	;;#ASMEND
	;;#ASMSTART
	v_dot2_f32_f16 v36, v129, v21, v36
	;;#ASMEND
	ds_load_b128 v[0:3], v83 offset:96
	ds_load_b128 v[4:7], v12 offset:96
	;; [unrolled: 1-line block ×8, first 2 shown]
	s_wait_dscnt 0x6
	;;#ASMSTART
	v_dot2_f32_f16 v54, v0, v4, v54
	;;#ASMEND
	;;#ASMSTART
	v_dot2_f32_f16 v54, v1, v5, v54
	;;#ASMEND
	;;#ASMSTART
	v_dot2_f32_f16 v54, v2, v6, v54
	;;#ASMEND
	;;#ASMSTART
	v_dot2_f32_f16 v54, v3, v7, v54
	;;#ASMEND
	s_wait_dscnt 0x5
	;;#ASMSTART
	v_dot2_f32_f16 v71, v0, v8, v71
	;;#ASMEND
	;;#ASMSTART
	v_dot2_f32_f16 v71, v1, v9, v71
	;;#ASMEND
	;;#ASMSTART
	v_dot2_f32_f16 v71, v2, v10, v71
	;;#ASMEND
	;;#ASMSTART
	v_dot2_f32_f16 v71, v3, v11, v71
	;;#ASMEND
	;; [unrolled: 13-line block ×5, first 2 shown]
	;;#ASMSTART
	v_dot2_f32_f16 v116, v118, v8, v116
	;;#ASMEND
	;;#ASMSTART
	v_dot2_f32_f16 v116, v119, v9, v116
	;;#ASMEND
	;; [unrolled: 3-line block ×12, first 2 shown]
	s_wait_dscnt 0x1
	;;#ASMSTART
	v_dot2_f32_f16 v56, v122, v4, v56
	;;#ASMEND
	;;#ASMSTART
	v_dot2_f32_f16 v56, v123, v5, v56
	;;#ASMEND
	;; [unrolled: 3-line block ×16, first 2 shown]
	s_wait_dscnt 0x0
	;;#ASMSTART
	v_dot2_f32_f16 v90, v126, v4, v90
	;;#ASMEND
	;;#ASMSTART
	v_dot2_f32_f16 v90, v127, v5, v90
	;;#ASMEND
	;; [unrolled: 3-line block ×16, first 2 shown]
	ds_load_b128 v[16:19], v83 offset:112
	ds_load_b128 v[0:3], v12 offset:112
	;; [unrolled: 1-line block ×8, first 2 shown]
	s_wait_dscnt 0x6
	;;#ASMSTART
	v_dot2_f32_f16 v54, v16, v0, v54
	;;#ASMEND
	;;#ASMSTART
	v_dot2_f32_f16 v54, v17, v1, v54
	;;#ASMEND
	;;#ASMSTART
	v_dot2_f32_f16 v54, v18, v2, v54
	;;#ASMEND
	;;#ASMSTART
	v_dot2_f32_f16 v54, v19, v3, v54
	;;#ASMEND
	s_wait_dscnt 0x5
	;;#ASMSTART
	v_dot2_f32_f16 v71, v16, v4, v71
	;;#ASMEND
	;;#ASMSTART
	v_dot2_f32_f16 v71, v17, v5, v71
	;;#ASMEND
	;;#ASMSTART
	v_dot2_f32_f16 v71, v18, v6, v71
	;;#ASMEND
	;;#ASMSTART
	v_dot2_f32_f16 v71, v19, v7, v71
	;;#ASMEND
	;; [unrolled: 13-line block ×5, first 2 shown]
	;;#ASMSTART
	v_dot2_f32_f16 v116, v20, v4, v116
	;;#ASMEND
	;;#ASMSTART
	v_dot2_f32_f16 v116, v21, v5, v116
	;;#ASMEND
	;; [unrolled: 3-line block ×12, first 2 shown]
	s_wait_dscnt 0x1
	;;#ASMSTART
	v_dot2_f32_f16 v56, v118, v0, v56
	;;#ASMEND
	;;#ASMSTART
	v_dot2_f32_f16 v56, v119, v1, v56
	;;#ASMEND
	;; [unrolled: 3-line block ×16, first 2 shown]
	s_wait_dscnt 0x0
	;;#ASMSTART
	v_dot2_f32_f16 v90, v122, v0, v90
	;;#ASMEND
	;;#ASMSTART
	v_dot2_f32_f16 v90, v123, v1, v90
	;;#ASMEND
	;; [unrolled: 3-line block ×16, first 2 shown]
	s_cbranch_scc1 .LBB25_18
; %bb.20:                               ;   in Loop: Header=BB25_19 Depth=2
	s_barrier_signal -1
	s_barrier_wait -1
	s_addk_co_i32 s33, 0xc0
	s_mov_b32 s10, 0
	s_branch .LBB25_18
.LBB25_21:                              ;   in Loop: Header=BB25_17 Depth=1
	v_cmp_ngt_f32_e64 s10, 0x3f200000, |v54|
                                        ; implicit-def: $vgpr2
	s_and_saveexec_b32 s26, s10
	s_delay_alu instid0(SALU_CYCLE_1)
	s_xor_b32 s10, exec_lo, s26
	s_cbranch_execz .LBB25_23
; %bb.22:                               ;   in Loop: Header=BB25_17 Depth=1
	v_add_f32_e64 v0, |v54|, |v54|
	s_delay_alu instid0(VALU_DEP_1) | instskip(SKIP_1) | instid1(VALU_DEP_2)
	v_mul_f32_e32 v1, 0x3fb8aa3b, v0
	v_cmp_ngt_f32_e32 vcc_lo, 0xc2ce8ed0, v0
	v_rndne_f32_e32 v2, v1
	v_fma_f32 v3, 0x3fb8aa3b, v0, -v1
	s_delay_alu instid0(VALU_DEP_2) | instskip(NEXT) | instid1(VALU_DEP_2)
	v_sub_f32_e32 v1, v1, v2
	v_fmac_f32_e32 v3, 0x32a5705f, v0
	v_cvt_i32_f32_e32 v2, v2
	s_delay_alu instid0(VALU_DEP_2) | instskip(NEXT) | instid1(VALU_DEP_1)
	v_add_f32_e32 v1, v1, v3
	v_exp_f32_e32 v1, v1
	v_nop
	s_delay_alu instid0(TRANS32_DEP_1) | instskip(NEXT) | instid1(VALU_DEP_1)
	v_ldexp_f32 v1, v1, v2
	v_cndmask_b32_e32 v1, 0, v1, vcc_lo
	v_cmp_nlt_f32_e32 vcc_lo, 0x42b17218, v0
	s_delay_alu instid0(VALU_DEP_2) | instskip(NEXT) | instid1(VALU_DEP_1)
	v_cndmask_b32_e32 v0, 0x7f800000, v1, vcc_lo
	v_add_f32_e32 v0, 1.0, v0
	s_delay_alu instid0(VALU_DEP_1) | instskip(SKIP_1) | instid1(TRANS32_DEP_1)
	v_rcp_f32_e32 v0, v0
	v_nop
	v_fma_f32 v2, v0, -2.0, 1.0
.LBB25_23:                              ;   in Loop: Header=BB25_17 Depth=1
	s_and_not1_saveexec_b32 s10, s10
	s_cbranch_execz .LBB25_25
; %bb.24:                               ;   in Loop: Header=BB25_17 Depth=1
	v_mul_f32_e32 v0, v54, v54
	s_delay_alu instid0(VALU_DEP_1) | instskip(NEXT) | instid1(VALU_DEP_1)
	v_fmaak_f32 v1, s29, v0, 0x3ca908c9
	v_fmaak_f32 v1, v0, v1, 0xbd5c1c4e
	s_delay_alu instid0(VALU_DEP_1) | instskip(NEXT) | instid1(VALU_DEP_1)
	v_fmaak_f32 v1, v0, v1, 0x3e088382
	v_fmaak_f32 v1, v0, v1, 0xbeaaaa99
	s_delay_alu instid0(VALU_DEP_1) | instskip(NEXT) | instid1(VALU_DEP_1)
	v_mul_f32_e64 v1, |v54|, v1
	v_fma_f32 v2, v0, v1, |v54|
.LBB25_25:                              ;   in Loop: Header=BB25_17 Depth=1
	s_or_b32 exec_lo, exec_lo, s10
	v_add_nc_u32_e32 v0, s4, v84
	v_cmp_ngt_f32_e64 s10, 0x3f200000, |v55|
                                        ; implicit-def: $vgpr3
	global_load_u16 v8, v0, s[34:35] scale_offset
	s_wait_xcnt 0x0
	s_and_saveexec_b32 s26, s10
	s_delay_alu instid0(SALU_CYCLE_1)
	s_xor_b32 s10, exec_lo, s26
	s_cbranch_execz .LBB25_27
; %bb.26:                               ;   in Loop: Header=BB25_17 Depth=1
	v_add_f32_e64 v1, |v55|, |v55|
	s_delay_alu instid0(VALU_DEP_1) | instskip(SKIP_1) | instid1(VALU_DEP_2)
	v_mul_f32_e32 v3, 0x3fb8aa3b, v1
	v_cmp_ngt_f32_e32 vcc_lo, 0xc2ce8ed0, v1
	v_rndne_f32_e32 v4, v3
	v_fma_f32 v5, 0x3fb8aa3b, v1, -v3
	s_delay_alu instid0(VALU_DEP_2) | instskip(NEXT) | instid1(VALU_DEP_2)
	v_sub_f32_e32 v3, v3, v4
	v_fmac_f32_e32 v5, 0x32a5705f, v1
	v_cvt_i32_f32_e32 v4, v4
	s_delay_alu instid0(VALU_DEP_2) | instskip(NEXT) | instid1(VALU_DEP_1)
	v_add_f32_e32 v3, v3, v5
	v_exp_f32_e32 v3, v3
	v_nop
	s_delay_alu instid0(TRANS32_DEP_1) | instskip(NEXT) | instid1(VALU_DEP_1)
	v_ldexp_f32 v3, v3, v4
	v_cndmask_b32_e32 v3, 0, v3, vcc_lo
	v_cmp_nlt_f32_e32 vcc_lo, 0x42b17218, v1
	s_delay_alu instid0(VALU_DEP_2) | instskip(NEXT) | instid1(VALU_DEP_1)
	v_cndmask_b32_e32 v1, 0x7f800000, v3, vcc_lo
	v_add_f32_e32 v1, 1.0, v1
	s_delay_alu instid0(VALU_DEP_1) | instskip(SKIP_1) | instid1(TRANS32_DEP_1)
	v_rcp_f32_e32 v1, v1
	v_nop
	v_fma_f32 v3, v1, -2.0, 1.0
.LBB25_27:                              ;   in Loop: Header=BB25_17 Depth=1
	s_and_not1_saveexec_b32 s10, s10
	s_cbranch_execz .LBB25_29
; %bb.28:                               ;   in Loop: Header=BB25_17 Depth=1
	v_mul_f32_e32 v1, v55, v55
	s_delay_alu instid0(VALU_DEP_1) | instskip(NEXT) | instid1(VALU_DEP_1)
	v_fmaak_f32 v3, s29, v1, 0x3ca908c9
	v_fmaak_f32 v3, v1, v3, 0xbd5c1c4e
	s_delay_alu instid0(VALU_DEP_1) | instskip(NEXT) | instid1(VALU_DEP_1)
	v_fmaak_f32 v3, v1, v3, 0x3e088382
	v_fmaak_f32 v3, v1, v3, 0xbeaaaa99
	s_delay_alu instid0(VALU_DEP_1) | instskip(NEXT) | instid1(VALU_DEP_1)
	v_mul_f32_e64 v3, |v55|, v3
	v_fma_f32 v3, v1, v3, |v55|
.LBB25_29:                              ;   in Loop: Header=BB25_17 Depth=1
	s_or_b32 exec_lo, exec_lo, s10
	v_ashrrev_i32_e32 v1, 31, v0
	v_cmp_ngt_f32_e64 s10, 0x3f200000, |v56|
                                        ; implicit-def: $vgpr6
	s_delay_alu instid0(VALU_DEP_2) | instskip(SKIP_3) | instid1(SALU_CYCLE_1)
	v_lshl_add_u64 v[0:1], v[0:1], 1, s[34:35]
	global_load_u16 v9, v[0:1], off offset:64
	s_wait_xcnt 0x0
	s_and_saveexec_b32 s26, s10
	s_xor_b32 s10, exec_lo, s26
	s_cbranch_execz .LBB25_31
; %bb.30:                               ;   in Loop: Header=BB25_17 Depth=1
	v_add_f32_e64 v4, |v56|, |v56|
	s_delay_alu instid0(VALU_DEP_1) | instskip(SKIP_1) | instid1(VALU_DEP_2)
	v_mul_f32_e32 v5, 0x3fb8aa3b, v4
	v_cmp_ngt_f32_e32 vcc_lo, 0xc2ce8ed0, v4
	v_rndne_f32_e32 v6, v5
	v_fma_f32 v7, 0x3fb8aa3b, v4, -v5
	s_delay_alu instid0(VALU_DEP_2) | instskip(NEXT) | instid1(VALU_DEP_2)
	v_sub_f32_e32 v5, v5, v6
	v_fmac_f32_e32 v7, 0x32a5705f, v4
	v_cvt_i32_f32_e32 v6, v6
	s_delay_alu instid0(VALU_DEP_2) | instskip(NEXT) | instid1(VALU_DEP_1)
	v_add_f32_e32 v5, v5, v7
	v_exp_f32_e32 v5, v5
	v_nop
	s_delay_alu instid0(TRANS32_DEP_1) | instskip(NEXT) | instid1(VALU_DEP_1)
	v_ldexp_f32 v5, v5, v6
	v_cndmask_b32_e32 v5, 0, v5, vcc_lo
	v_cmp_nlt_f32_e32 vcc_lo, 0x42b17218, v4
	s_delay_alu instid0(VALU_DEP_2) | instskip(NEXT) | instid1(VALU_DEP_1)
	v_cndmask_b32_e32 v4, 0x7f800000, v5, vcc_lo
	v_add_f32_e32 v4, 1.0, v4
	s_delay_alu instid0(VALU_DEP_1) | instskip(SKIP_1) | instid1(TRANS32_DEP_1)
	v_rcp_f32_e32 v4, v4
	v_nop
	v_fma_f32 v6, v4, -2.0, 1.0
.LBB25_31:                              ;   in Loop: Header=BB25_17 Depth=1
	s_and_not1_saveexec_b32 s10, s10
	s_cbranch_execz .LBB25_33
; %bb.32:                               ;   in Loop: Header=BB25_17 Depth=1
	v_mul_f32_e32 v4, v56, v56
	s_delay_alu instid0(VALU_DEP_1) | instskip(NEXT) | instid1(VALU_DEP_1)
	v_fmaak_f32 v5, s29, v4, 0x3ca908c9
	v_fmaak_f32 v5, v4, v5, 0xbd5c1c4e
	s_delay_alu instid0(VALU_DEP_1) | instskip(NEXT) | instid1(VALU_DEP_1)
	v_fmaak_f32 v5, v4, v5, 0x3e088382
	v_fmaak_f32 v5, v4, v5, 0xbeaaaa99
	s_delay_alu instid0(VALU_DEP_1) | instskip(NEXT) | instid1(VALU_DEP_1)
	v_mul_f32_e64 v5, |v56|, v5
	v_fma_f32 v6, v4, v5, |v56|
.LBB25_33:                              ;   in Loop: Header=BB25_17 Depth=1
	s_or_b32 exec_lo, exec_lo, s10
	global_load_u16 v10, v[0:1], off offset:128
	v_cmp_ngt_f32_e64 s10, 0x3f200000, |v90|
                                        ; implicit-def: $vgpr7
	s_wait_xcnt 0x0
	s_and_saveexec_b32 s26, s10
	s_delay_alu instid0(SALU_CYCLE_1)
	s_xor_b32 s10, exec_lo, s26
	s_cbranch_execz .LBB25_35
; %bb.34:                               ;   in Loop: Header=BB25_17 Depth=1
	v_add_f32_e64 v4, |v90|, |v90|
	s_delay_alu instid0(VALU_DEP_1) | instskip(SKIP_1) | instid1(VALU_DEP_2)
	v_mul_f32_e32 v5, 0x3fb8aa3b, v4
	v_cmp_ngt_f32_e32 vcc_lo, 0xc2ce8ed0, v4
	v_rndne_f32_e32 v7, v5
	v_fma_f32 v11, 0x3fb8aa3b, v4, -v5
	s_delay_alu instid0(VALU_DEP_2) | instskip(NEXT) | instid1(VALU_DEP_2)
	v_sub_f32_e32 v5, v5, v7
	v_fmac_f32_e32 v11, 0x32a5705f, v4
	v_cvt_i32_f32_e32 v7, v7
	s_delay_alu instid0(VALU_DEP_2) | instskip(NEXT) | instid1(VALU_DEP_1)
	v_add_f32_e32 v5, v5, v11
	v_exp_f32_e32 v5, v5
	v_nop
	s_delay_alu instid0(TRANS32_DEP_1) | instskip(NEXT) | instid1(VALU_DEP_1)
	v_ldexp_f32 v5, v5, v7
	v_cndmask_b32_e32 v5, 0, v5, vcc_lo
	v_cmp_nlt_f32_e32 vcc_lo, 0x42b17218, v4
	s_delay_alu instid0(VALU_DEP_2) | instskip(NEXT) | instid1(VALU_DEP_1)
	v_cndmask_b32_e32 v4, 0x7f800000, v5, vcc_lo
	v_add_f32_e32 v4, 1.0, v4
	s_delay_alu instid0(VALU_DEP_1) | instskip(SKIP_1) | instid1(TRANS32_DEP_1)
	v_rcp_f32_e32 v4, v4
	v_nop
	v_fma_f32 v7, v4, -2.0, 1.0
.LBB25_35:                              ;   in Loop: Header=BB25_17 Depth=1
	s_and_not1_saveexec_b32 s10, s10
	s_cbranch_execz .LBB25_37
; %bb.36:                               ;   in Loop: Header=BB25_17 Depth=1
	v_mul_f32_e32 v4, v90, v90
	s_delay_alu instid0(VALU_DEP_1) | instskip(NEXT) | instid1(VALU_DEP_1)
	v_fmaak_f32 v5, s29, v4, 0x3ca908c9
	v_fmaak_f32 v5, v4, v5, 0xbd5c1c4e
	s_delay_alu instid0(VALU_DEP_1) | instskip(NEXT) | instid1(VALU_DEP_1)
	v_fmaak_f32 v5, v4, v5, 0x3e088382
	v_fmaak_f32 v5, v4, v5, 0xbeaaaa99
	s_delay_alu instid0(VALU_DEP_1) | instskip(NEXT) | instid1(VALU_DEP_1)
	v_mul_f32_e64 v5, |v90|, v5
	v_fma_f32 v7, v4, v5, |v90|
.LBB25_37:                              ;   in Loop: Header=BB25_17 Depth=1
	s_or_b32 exec_lo, exec_lo, s10
	global_load_u16 v11, v[0:1], off offset:192
	s_wait_xcnt 0x0
	v_bfi_b32 v0, 0x7fffffff, v2, v54
	v_bfi_b32 v1, 0x7fffffff, v3, v55
	v_bfi_b32 v2, 0x7fffffff, v7, v90
	v_xor_b32_e32 v94, 16, v78
	v_xor_b32_e32 v93, 8, v78
	s_wait_loadcnt 0x3
	s_wait_kmcnt 0x0
	v_fma_mix_f32 v4, s3, v0, v8 op_sel_hi:[0,0,1]
	s_wait_loadcnt 0x2
	v_fma_mix_f32 v5, s3, v1, v9 op_sel_hi:[0,0,1]
	v_bfi_b32 v0, 0x7fffffff, v6, v56
	v_cmp_gt_i32_e32 vcc_lo, 32, v94
	v_xor_b32_e32 v92, 4, v78
	v_xor_b32_e32 v91, 2, v78
	v_add_f32_e32 v3, 0x40051340, v5
	s_wait_loadcnt 0x1
	v_fma_mix_f32 v6, s3, v0, v10 op_sel_hi:[0,0,1]
	v_dual_add_f32 v1, 0x40051340, v4 :: v_dual_cndmask_b32 v0, v78, v94
	v_cmp_gt_i32_e32 vcc_lo, 32, v93
	v_xor_b32_e32 v90, 1, v78
	v_cmp_ngt_f32_e64 s10, 0x3f200000, |v71|
                                        ; implicit-def: $vgpr12
	s_delay_alu instid0(VALU_DEP_4) | instskip(SKIP_4) | instid1(VALU_DEP_3)
	v_lshlrev_b32_e32 v0, 2, v0
	s_wait_loadcnt 0x0
	v_fma_mix_f32 v7, s3, v2, v11 op_sel_hi:[0,0,1]
	v_add_f32_e32 v2, 0x40051340, v6
	v_max3_num_f32 v1, v52, v1, v3
	v_add_f32_e32 v3, 0x40051340, v7
	s_delay_alu instid0(VALU_DEP_1)
	v_max3_num_f32 v1, v1, v2, v3
	ds_bpermute_b32 v2, v0, v1
	s_wait_dscnt 0x0
	v_max_num_f32_e32 v2, v2, v2
	v_cndmask_b32_e32 v3, v78, v93, vcc_lo
	v_cmp_gt_i32_e32 vcc_lo, 32, v92
	s_delay_alu instid0(VALU_DEP_2)
	v_dual_max_num_f32 v1, v1, v2 :: v_dual_lshlrev_b32 v56, 2, v3
	ds_bpermute_b32 v2, v56, v1
	s_wait_dscnt 0x0
	v_max_num_f32_e32 v2, v2, v2
	v_cndmask_b32_e32 v3, v78, v92, vcc_lo
	v_cmp_gt_i32_e32 vcc_lo, 32, v91
	s_delay_alu instid0(VALU_DEP_2)
	v_dual_max_num_f32 v1, v1, v2 :: v_dual_lshlrev_b32 v55, 2, v3
	ds_bpermute_b32 v2, v55, v1
	s_wait_dscnt 0x0
	v_max_num_f32_e32 v2, v2, v2
	v_cndmask_b32_e32 v3, v78, v91, vcc_lo
	v_cmp_gt_i32_e32 vcc_lo, 32, v90
	s_delay_alu instid0(VALU_DEP_2) | instskip(SKIP_4) | instid1(VALU_DEP_1)
	v_dual_max_num_f32 v1, v1, v2 :: v_dual_lshlrev_b32 v54, 2, v3
	v_cndmask_b32_e32 v3, v78, v90, vcc_lo
	ds_bpermute_b32 v2, v54, v1
	s_wait_dscnt 0x0
	v_dual_max_num_f32 v2, v2, v2 :: v_dual_lshlrev_b32 v3, 2, v3
	v_max_num_f32_e32 v1, v1, v2
	ds_bpermute_b32 v2, v3, v1
	s_and_saveexec_b32 s26, s10
	s_delay_alu instid0(SALU_CYCLE_1)
	s_xor_b32 s10, exec_lo, s26
	s_cbranch_execz .LBB25_39
; %bb.38:                               ;   in Loop: Header=BB25_17 Depth=1
	v_add_f32_e64 v12, |v71|, |v71|
	s_delay_alu instid0(VALU_DEP_1) | instskip(SKIP_1) | instid1(VALU_DEP_2)
	v_mul_f32_e32 v13, 0x3fb8aa3b, v12
	v_cmp_ngt_f32_e32 vcc_lo, 0xc2ce8ed0, v12
	v_rndne_f32_e32 v14, v13
	v_fma_f32 v15, 0x3fb8aa3b, v12, -v13
	s_delay_alu instid0(VALU_DEP_2) | instskip(NEXT) | instid1(VALU_DEP_2)
	v_sub_f32_e32 v13, v13, v14
	v_fmac_f32_e32 v15, 0x32a5705f, v12
	v_cvt_i32_f32_e32 v14, v14
	s_delay_alu instid0(VALU_DEP_2) | instskip(NEXT) | instid1(VALU_DEP_1)
	v_add_f32_e32 v13, v13, v15
	v_exp_f32_e32 v13, v13
	v_nop
	s_delay_alu instid0(TRANS32_DEP_1) | instskip(NEXT) | instid1(VALU_DEP_1)
	v_ldexp_f32 v13, v13, v14
	v_cndmask_b32_e32 v13, 0, v13, vcc_lo
	v_cmp_nlt_f32_e32 vcc_lo, 0x42b17218, v12
	s_delay_alu instid0(VALU_DEP_2) | instskip(NEXT) | instid1(VALU_DEP_1)
	v_cndmask_b32_e32 v12, 0x7f800000, v13, vcc_lo
	v_add_f32_e32 v12, 1.0, v12
	s_delay_alu instid0(VALU_DEP_1) | instskip(SKIP_1) | instid1(TRANS32_DEP_1)
	v_rcp_f32_e32 v12, v12
	v_nop
	v_fma_f32 v12, v12, -2.0, 1.0
.LBB25_39:                              ;   in Loop: Header=BB25_17 Depth=1
	s_and_not1_saveexec_b32 s10, s10
	s_cbranch_execz .LBB25_41
; %bb.40:                               ;   in Loop: Header=BB25_17 Depth=1
	v_mul_f32_e32 v12, v71, v71
	s_delay_alu instid0(VALU_DEP_1) | instskip(NEXT) | instid1(VALU_DEP_1)
	v_fmaak_f32 v13, s29, v12, 0x3ca908c9
	v_fmaak_f32 v13, v12, v13, 0xbd5c1c4e
	s_delay_alu instid0(VALU_DEP_1) | instskip(NEXT) | instid1(VALU_DEP_1)
	v_fmaak_f32 v13, v12, v13, 0x3e088382
	v_fmaak_f32 v13, v12, v13, 0xbeaaaa99
	s_delay_alu instid0(VALU_DEP_1) | instskip(NEXT) | instid1(VALU_DEP_1)
	v_mul_f32_e64 v13, |v71|, v13
	v_fma_f32 v12, v12, v13, |v71|
.LBB25_41:                              ;   in Loop: Header=BB25_17 Depth=1
	s_or_b32 exec_lo, exec_lo, s10
	v_cmp_ngt_f32_e64 s10, 0x3f200000, |v116|
                                        ; implicit-def: $vgpr13
	s_and_saveexec_b32 s26, s10
	s_delay_alu instid0(SALU_CYCLE_1)
	s_xor_b32 s10, exec_lo, s26
	s_cbranch_execz .LBB25_43
; %bb.42:                               ;   in Loop: Header=BB25_17 Depth=1
	v_add_f32_e64 v13, |v116|, |v116|
	s_delay_alu instid0(VALU_DEP_1) | instskip(SKIP_1) | instid1(VALU_DEP_2)
	v_mul_f32_e32 v14, 0x3fb8aa3b, v13
	v_cmp_ngt_f32_e32 vcc_lo, 0xc2ce8ed0, v13
	v_rndne_f32_e32 v15, v14
	v_fma_f32 v16, 0x3fb8aa3b, v13, -v14
	s_delay_alu instid0(VALU_DEP_2) | instskip(NEXT) | instid1(VALU_DEP_2)
	v_sub_f32_e32 v14, v14, v15
	v_fmac_f32_e32 v16, 0x32a5705f, v13
	v_cvt_i32_f32_e32 v15, v15
	s_delay_alu instid0(VALU_DEP_2) | instskip(NEXT) | instid1(VALU_DEP_1)
	v_add_f32_e32 v14, v14, v16
	v_exp_f32_e32 v14, v14
	v_nop
	s_delay_alu instid0(TRANS32_DEP_1) | instskip(NEXT) | instid1(VALU_DEP_1)
	v_ldexp_f32 v14, v14, v15
	v_cndmask_b32_e32 v14, 0, v14, vcc_lo
	v_cmp_nlt_f32_e32 vcc_lo, 0x42b17218, v13
	s_delay_alu instid0(VALU_DEP_2) | instskip(NEXT) | instid1(VALU_DEP_1)
	v_cndmask_b32_e32 v13, 0x7f800000, v14, vcc_lo
	v_add_f32_e32 v13, 1.0, v13
	s_delay_alu instid0(VALU_DEP_1) | instskip(SKIP_1) | instid1(TRANS32_DEP_1)
	v_rcp_f32_e32 v13, v13
	v_nop
	v_fma_f32 v13, v13, -2.0, 1.0
.LBB25_43:                              ;   in Loop: Header=BB25_17 Depth=1
	s_and_not1_saveexec_b32 s10, s10
	s_cbranch_execz .LBB25_45
; %bb.44:                               ;   in Loop: Header=BB25_17 Depth=1
	v_mul_f32_e32 v13, v116, v116
	s_delay_alu instid0(VALU_DEP_1) | instskip(NEXT) | instid1(VALU_DEP_1)
	v_fmaak_f32 v14, s29, v13, 0x3ca908c9
	v_fmaak_f32 v14, v13, v14, 0xbd5c1c4e
	s_delay_alu instid0(VALU_DEP_1) | instskip(NEXT) | instid1(VALU_DEP_1)
	v_fmaak_f32 v14, v13, v14, 0x3e088382
	v_fmaak_f32 v14, v13, v14, 0xbeaaaa99
	s_delay_alu instid0(VALU_DEP_1) | instskip(NEXT) | instid1(VALU_DEP_1)
	v_mul_f32_e64 v14, |v116|, v14
	v_fma_f32 v13, v13, v14, |v116|
.LBB25_45:                              ;   in Loop: Header=BB25_17 Depth=1
	s_or_b32 exec_lo, exec_lo, s10
	v_cmp_ngt_f32_e64 s10, 0x3f200000, |v69|
                                        ; implicit-def: $vgpr14
	s_and_saveexec_b32 s26, s10
	s_delay_alu instid0(SALU_CYCLE_1)
	s_xor_b32 s10, exec_lo, s26
	s_cbranch_execz .LBB25_47
; %bb.46:                               ;   in Loop: Header=BB25_17 Depth=1
	v_add_f32_e64 v14, |v69|, |v69|
	s_delay_alu instid0(VALU_DEP_1) | instskip(SKIP_1) | instid1(VALU_DEP_2)
	v_mul_f32_e32 v15, 0x3fb8aa3b, v14
	v_cmp_ngt_f32_e32 vcc_lo, 0xc2ce8ed0, v14
	v_rndne_f32_e32 v16, v15
	v_fma_f32 v17, 0x3fb8aa3b, v14, -v15
	s_delay_alu instid0(VALU_DEP_2) | instskip(NEXT) | instid1(VALU_DEP_2)
	v_sub_f32_e32 v15, v15, v16
	v_fmac_f32_e32 v17, 0x32a5705f, v14
	v_cvt_i32_f32_e32 v16, v16
	s_delay_alu instid0(VALU_DEP_2) | instskip(NEXT) | instid1(VALU_DEP_1)
	v_add_f32_e32 v15, v15, v17
	v_exp_f32_e32 v15, v15
	v_nop
	s_delay_alu instid0(TRANS32_DEP_1) | instskip(NEXT) | instid1(VALU_DEP_1)
	v_ldexp_f32 v15, v15, v16
	v_cndmask_b32_e32 v15, 0, v15, vcc_lo
	v_cmp_nlt_f32_e32 vcc_lo, 0x42b17218, v14
	s_delay_alu instid0(VALU_DEP_2) | instskip(NEXT) | instid1(VALU_DEP_1)
	v_cndmask_b32_e32 v14, 0x7f800000, v15, vcc_lo
	v_add_f32_e32 v14, 1.0, v14
	s_delay_alu instid0(VALU_DEP_1) | instskip(SKIP_1) | instid1(TRANS32_DEP_1)
	v_rcp_f32_e32 v14, v14
	v_nop
	v_fma_f32 v14, v14, -2.0, 1.0
.LBB25_47:                              ;   in Loop: Header=BB25_17 Depth=1
	s_and_not1_saveexec_b32 s10, s10
	s_cbranch_execz .LBB25_49
; %bb.48:                               ;   in Loop: Header=BB25_17 Depth=1
	v_mul_f32_e32 v14, v69, v69
	s_delay_alu instid0(VALU_DEP_1) | instskip(NEXT) | instid1(VALU_DEP_1)
	v_fmaak_f32 v15, s29, v14, 0x3ca908c9
	v_fmaak_f32 v15, v14, v15, 0xbd5c1c4e
	s_delay_alu instid0(VALU_DEP_1) | instskip(NEXT) | instid1(VALU_DEP_1)
	v_fmaak_f32 v15, v14, v15, 0x3e088382
	v_fmaak_f32 v15, v14, v15, 0xbeaaaa99
	s_delay_alu instid0(VALU_DEP_1) | instskip(NEXT) | instid1(VALU_DEP_1)
	v_mul_f32_e64 v15, |v69|, v15
	v_fma_f32 v14, v14, v15, |v69|
.LBB25_49:                              ;   in Loop: Header=BB25_17 Depth=1
	s_or_b32 exec_lo, exec_lo, s10
	v_cmp_ngt_f32_e64 s10, 0x3f200000, |v70|
                                        ; implicit-def: $vgpr15
	s_and_saveexec_b32 s26, s10
	s_delay_alu instid0(SALU_CYCLE_1)
	s_xor_b32 s10, exec_lo, s26
	s_cbranch_execz .LBB25_51
; %bb.50:                               ;   in Loop: Header=BB25_17 Depth=1
	v_add_f32_e64 v15, |v70|, |v70|
	s_delay_alu instid0(VALU_DEP_1) | instskip(SKIP_1) | instid1(VALU_DEP_2)
	v_mul_f32_e32 v16, 0x3fb8aa3b, v15
	v_cmp_ngt_f32_e32 vcc_lo, 0xc2ce8ed0, v15
	v_rndne_f32_e32 v17, v16
	v_fma_f32 v18, 0x3fb8aa3b, v15, -v16
	s_delay_alu instid0(VALU_DEP_2) | instskip(NEXT) | instid1(VALU_DEP_2)
	v_sub_f32_e32 v16, v16, v17
	v_fmac_f32_e32 v18, 0x32a5705f, v15
	v_cvt_i32_f32_e32 v17, v17
	s_delay_alu instid0(VALU_DEP_2) | instskip(NEXT) | instid1(VALU_DEP_1)
	v_add_f32_e32 v16, v16, v18
	v_exp_f32_e32 v16, v16
	v_nop
	s_delay_alu instid0(TRANS32_DEP_1) | instskip(NEXT) | instid1(VALU_DEP_1)
	v_ldexp_f32 v16, v16, v17
	v_cndmask_b32_e32 v16, 0, v16, vcc_lo
	v_cmp_nlt_f32_e32 vcc_lo, 0x42b17218, v15
	s_delay_alu instid0(VALU_DEP_2) | instskip(NEXT) | instid1(VALU_DEP_1)
	v_cndmask_b32_e32 v15, 0x7f800000, v16, vcc_lo
	v_add_f32_e32 v15, 1.0, v15
	s_delay_alu instid0(VALU_DEP_1) | instskip(SKIP_1) | instid1(TRANS32_DEP_1)
	v_rcp_f32_e32 v15, v15
	v_nop
	v_fma_f32 v15, v15, -2.0, 1.0
.LBB25_51:                              ;   in Loop: Header=BB25_17 Depth=1
	s_and_not1_saveexec_b32 s10, s10
	s_cbranch_execz .LBB25_53
; %bb.52:                               ;   in Loop: Header=BB25_17 Depth=1
	v_mul_f32_e32 v15, v70, v70
	s_delay_alu instid0(VALU_DEP_1) | instskip(NEXT) | instid1(VALU_DEP_1)
	v_fmaak_f32 v16, s29, v15, 0x3ca908c9
	v_fmaak_f32 v16, v15, v16, 0xbd5c1c4e
	s_delay_alu instid0(VALU_DEP_1) | instskip(NEXT) | instid1(VALU_DEP_1)
	v_fmaak_f32 v16, v15, v16, 0x3e088382
	v_fmaak_f32 v16, v15, v16, 0xbeaaaa99
	s_delay_alu instid0(VALU_DEP_1) | instskip(NEXT) | instid1(VALU_DEP_1)
	v_mul_f32_e64 v16, |v70|, v16
	v_fma_f32 v15, v15, v16, |v70|
.LBB25_53:                              ;   in Loop: Header=BB25_17 Depth=1
	s_or_b32 exec_lo, exec_lo, s10
	v_cvt_f32_f16_e32 v23, v8
	v_bfi_b32 v8, 0x7fffffff, v12, v71
	v_cvt_f32_f16_e32 v22, v9
	v_bfi_b32 v12, 0x7fffffff, v13, v116
	v_cvt_f32_f16_e32 v21, v10
	v_cvt_f32_f16_e32 v20, v11
	v_fma_f32 v9, s3, v8, v23
	v_bfi_b32 v8, 0x7fffffff, v14, v69
	v_bfi_b32 v10, 0x7fffffff, v15, v70
	v_fma_f32 v11, s3, v12, v22
	v_cmp_ngt_f32_e64 s10, 0x3f200000, |v65|
	s_delay_alu instid0(VALU_DEP_3) | instskip(NEXT) | instid1(VALU_DEP_3)
	v_dual_fma_f32 v8, s3, v8, v21 :: v_dual_fma_f32 v10, s3, v10, v20
	v_dual_add_f32 v12, 0x40051340, v9 :: v_dual_add_f32 v13, 0x40051340, v11
	s_delay_alu instid0(VALU_DEP_2) | instskip(NEXT) | instid1(VALU_DEP_2)
	v_add_f32_e32 v14, 0x40051340, v8
	v_max3_num_f32 v12, v53, v12, v13
	s_delay_alu instid0(VALU_DEP_4) | instskip(NEXT) | instid1(VALU_DEP_1)
	v_add_f32_e32 v13, 0x40051340, v10
	v_max3_num_f32 v12, v12, v14, v13
                                        ; implicit-def: $vgpr14
	ds_bpermute_b32 v13, v0, v12
	s_wait_dscnt 0x0
	v_max_num_f32_e32 v13, v13, v13
	s_delay_alu instid0(VALU_DEP_1) | instskip(SKIP_3) | instid1(VALU_DEP_1)
	v_max_num_f32_e32 v12, v12, v13
	ds_bpermute_b32 v13, v56, v12
	s_wait_dscnt 0x0
	v_max_num_f32_e32 v13, v13, v13
	v_max_num_f32_e32 v12, v12, v13
	ds_bpermute_b32 v13, v55, v12
	s_wait_dscnt 0x0
	v_max_num_f32_e32 v13, v13, v13
	s_delay_alu instid0(VALU_DEP_1) | instskip(SKIP_3) | instid1(VALU_DEP_1)
	v_max_num_f32_e32 v12, v12, v13
	ds_bpermute_b32 v13, v54, v12
	s_wait_dscnt 0x0
	v_max_num_f32_e32 v13, v13, v13
	v_max_num_f32_e32 v12, v12, v13
	ds_bpermute_b32 v13, v3, v12
	s_and_saveexec_b32 s26, s10
	s_delay_alu instid0(SALU_CYCLE_1)
	s_xor_b32 s10, exec_lo, s26
	s_cbranch_execz .LBB25_55
; %bb.54:                               ;   in Loop: Header=BB25_17 Depth=1
	v_add_f32_e64 v14, |v65|, |v65|
	s_delay_alu instid0(VALU_DEP_1) | instskip(SKIP_1) | instid1(VALU_DEP_2)
	v_mul_f32_e32 v15, 0x3fb8aa3b, v14
	v_cmp_ngt_f32_e32 vcc_lo, 0xc2ce8ed0, v14
	v_rndne_f32_e32 v16, v15
	v_fma_f32 v17, 0x3fb8aa3b, v14, -v15
	s_delay_alu instid0(VALU_DEP_2) | instskip(NEXT) | instid1(VALU_DEP_2)
	v_sub_f32_e32 v15, v15, v16
	v_fmac_f32_e32 v17, 0x32a5705f, v14
	v_cvt_i32_f32_e32 v16, v16
	s_delay_alu instid0(VALU_DEP_2) | instskip(NEXT) | instid1(VALU_DEP_1)
	v_add_f32_e32 v15, v15, v17
	v_exp_f32_e32 v15, v15
	v_nop
	s_delay_alu instid0(TRANS32_DEP_1) | instskip(NEXT) | instid1(VALU_DEP_1)
	v_ldexp_f32 v15, v15, v16
	v_cndmask_b32_e32 v15, 0, v15, vcc_lo
	v_cmp_nlt_f32_e32 vcc_lo, 0x42b17218, v14
	s_delay_alu instid0(VALU_DEP_2) | instskip(NEXT) | instid1(VALU_DEP_1)
	v_cndmask_b32_e32 v14, 0x7f800000, v15, vcc_lo
	v_add_f32_e32 v14, 1.0, v14
	s_delay_alu instid0(VALU_DEP_1) | instskip(SKIP_1) | instid1(TRANS32_DEP_1)
	v_rcp_f32_e32 v14, v14
	v_nop
	v_fma_f32 v14, v14, -2.0, 1.0
.LBB25_55:                              ;   in Loop: Header=BB25_17 Depth=1
	s_and_not1_saveexec_b32 s10, s10
	s_cbranch_execz .LBB25_57
; %bb.56:                               ;   in Loop: Header=BB25_17 Depth=1
	v_mul_f32_e32 v14, v65, v65
	s_delay_alu instid0(VALU_DEP_1) | instskip(NEXT) | instid1(VALU_DEP_1)
	v_fmaak_f32 v15, s29, v14, 0x3ca908c9
	v_fmaak_f32 v15, v14, v15, 0xbd5c1c4e
	s_delay_alu instid0(VALU_DEP_1) | instskip(NEXT) | instid1(VALU_DEP_1)
	v_fmaak_f32 v15, v14, v15, 0x3e088382
	v_fmaak_f32 v15, v14, v15, 0xbeaaaa99
	s_delay_alu instid0(VALU_DEP_1) | instskip(NEXT) | instid1(VALU_DEP_1)
	v_mul_f32_e64 v15, |v65|, v15
	v_fma_f32 v14, v14, v15, |v65|
.LBB25_57:                              ;   in Loop: Header=BB25_17 Depth=1
	s_or_b32 exec_lo, exec_lo, s10
	v_cmp_ngt_f32_e64 s10, 0x3f200000, |v67|
                                        ; implicit-def: $vgpr15
	s_and_saveexec_b32 s26, s10
	s_delay_alu instid0(SALU_CYCLE_1)
	s_xor_b32 s10, exec_lo, s26
	s_cbranch_execz .LBB25_59
; %bb.58:                               ;   in Loop: Header=BB25_17 Depth=1
	v_add_f32_e64 v15, |v67|, |v67|
	s_delay_alu instid0(VALU_DEP_1) | instskip(SKIP_1) | instid1(VALU_DEP_2)
	v_mul_f32_e32 v16, 0x3fb8aa3b, v15
	v_cmp_ngt_f32_e32 vcc_lo, 0xc2ce8ed0, v15
	v_rndne_f32_e32 v17, v16
	v_fma_f32 v18, 0x3fb8aa3b, v15, -v16
	s_delay_alu instid0(VALU_DEP_2) | instskip(NEXT) | instid1(VALU_DEP_2)
	v_sub_f32_e32 v16, v16, v17
	v_fmac_f32_e32 v18, 0x32a5705f, v15
	v_cvt_i32_f32_e32 v17, v17
	s_delay_alu instid0(VALU_DEP_2) | instskip(NEXT) | instid1(VALU_DEP_1)
	v_add_f32_e32 v16, v16, v18
	v_exp_f32_e32 v16, v16
	v_nop
	s_delay_alu instid0(TRANS32_DEP_1) | instskip(NEXT) | instid1(VALU_DEP_1)
	v_ldexp_f32 v16, v16, v17
	v_cndmask_b32_e32 v16, 0, v16, vcc_lo
	v_cmp_nlt_f32_e32 vcc_lo, 0x42b17218, v15
	s_delay_alu instid0(VALU_DEP_2) | instskip(NEXT) | instid1(VALU_DEP_1)
	v_cndmask_b32_e32 v15, 0x7f800000, v16, vcc_lo
	v_add_f32_e32 v15, 1.0, v15
	s_delay_alu instid0(VALU_DEP_1) | instskip(SKIP_1) | instid1(TRANS32_DEP_1)
	v_rcp_f32_e32 v15, v15
	v_nop
	v_fma_f32 v15, v15, -2.0, 1.0
.LBB25_59:                              ;   in Loop: Header=BB25_17 Depth=1
	s_and_not1_saveexec_b32 s10, s10
	s_cbranch_execz .LBB25_61
; %bb.60:                               ;   in Loop: Header=BB25_17 Depth=1
	v_mul_f32_e32 v15, v67, v67
	s_delay_alu instid0(VALU_DEP_1) | instskip(NEXT) | instid1(VALU_DEP_1)
	v_fmaak_f32 v16, s29, v15, 0x3ca908c9
	v_fmaak_f32 v16, v15, v16, 0xbd5c1c4e
	s_delay_alu instid0(VALU_DEP_1) | instskip(NEXT) | instid1(VALU_DEP_1)
	v_fmaak_f32 v16, v15, v16, 0x3e088382
	v_fmaak_f32 v16, v15, v16, 0xbeaaaa99
	s_delay_alu instid0(VALU_DEP_1) | instskip(NEXT) | instid1(VALU_DEP_1)
	v_mul_f32_e64 v16, |v67|, v16
	v_fma_f32 v15, v15, v16, |v67|
.LBB25_61:                              ;   in Loop: Header=BB25_17 Depth=1
	s_or_b32 exec_lo, exec_lo, s10
	v_cmp_ngt_f32_e64 s10, 0x3f200000, |v68|
                                        ; implicit-def: $vgpr16
	s_and_saveexec_b32 s26, s10
	s_delay_alu instid0(SALU_CYCLE_1)
	s_xor_b32 s10, exec_lo, s26
	s_cbranch_execz .LBB25_63
; %bb.62:                               ;   in Loop: Header=BB25_17 Depth=1
	v_add_f32_e64 v16, |v68|, |v68|
	s_delay_alu instid0(VALU_DEP_1) | instskip(SKIP_1) | instid1(VALU_DEP_2)
	v_mul_f32_e32 v17, 0x3fb8aa3b, v16
	v_cmp_ngt_f32_e32 vcc_lo, 0xc2ce8ed0, v16
	v_rndne_f32_e32 v18, v17
	v_fma_f32 v19, 0x3fb8aa3b, v16, -v17
	s_delay_alu instid0(VALU_DEP_2) | instskip(NEXT) | instid1(VALU_DEP_2)
	v_sub_f32_e32 v17, v17, v18
	v_fmac_f32_e32 v19, 0x32a5705f, v16
	v_cvt_i32_f32_e32 v18, v18
	s_delay_alu instid0(VALU_DEP_2) | instskip(NEXT) | instid1(VALU_DEP_1)
	v_add_f32_e32 v17, v17, v19
	v_exp_f32_e32 v17, v17
	v_nop
	s_delay_alu instid0(TRANS32_DEP_1) | instskip(NEXT) | instid1(VALU_DEP_1)
	v_ldexp_f32 v17, v17, v18
	v_cndmask_b32_e32 v17, 0, v17, vcc_lo
	v_cmp_nlt_f32_e32 vcc_lo, 0x42b17218, v16
	s_delay_alu instid0(VALU_DEP_2) | instskip(NEXT) | instid1(VALU_DEP_1)
	v_cndmask_b32_e32 v16, 0x7f800000, v17, vcc_lo
	v_add_f32_e32 v16, 1.0, v16
	s_delay_alu instid0(VALU_DEP_1) | instskip(SKIP_1) | instid1(TRANS32_DEP_1)
	v_rcp_f32_e32 v16, v16
	v_nop
	v_fma_f32 v16, v16, -2.0, 1.0
.LBB25_63:                              ;   in Loop: Header=BB25_17 Depth=1
	s_and_not1_saveexec_b32 s10, s10
	s_cbranch_execz .LBB25_65
; %bb.64:                               ;   in Loop: Header=BB25_17 Depth=1
	v_mul_f32_e32 v16, v68, v68
	s_delay_alu instid0(VALU_DEP_1) | instskip(NEXT) | instid1(VALU_DEP_1)
	v_fmaak_f32 v17, s29, v16, 0x3ca908c9
	v_fmaak_f32 v17, v16, v17, 0xbd5c1c4e
	s_delay_alu instid0(VALU_DEP_1) | instskip(NEXT) | instid1(VALU_DEP_1)
	v_fmaak_f32 v17, v16, v17, 0x3e088382
	v_fmaak_f32 v17, v16, v17, 0xbeaaaa99
	s_delay_alu instid0(VALU_DEP_1) | instskip(NEXT) | instid1(VALU_DEP_1)
	v_mul_f32_e64 v17, |v68|, v17
	v_fma_f32 v16, v16, v17, |v68|
.LBB25_65:                              ;   in Loop: Header=BB25_17 Depth=1
	s_or_b32 exec_lo, exec_lo, s10
	v_cmp_ngt_f32_e64 s10, 0x3f200000, |v66|
                                        ; implicit-def: $vgpr17
	s_and_saveexec_b32 s26, s10
	s_delay_alu instid0(SALU_CYCLE_1)
	s_xor_b32 s10, exec_lo, s26
	s_cbranch_execz .LBB25_67
; %bb.66:                               ;   in Loop: Header=BB25_17 Depth=1
	v_add_f32_e64 v17, |v66|, |v66|
	s_delay_alu instid0(VALU_DEP_1) | instskip(SKIP_1) | instid1(VALU_DEP_2)
	v_mul_f32_e32 v18, 0x3fb8aa3b, v17
	v_cmp_ngt_f32_e32 vcc_lo, 0xc2ce8ed0, v17
	v_rndne_f32_e32 v19, v18
	v_fma_f32 v69, 0x3fb8aa3b, v17, -v18
	s_delay_alu instid0(VALU_DEP_1) | instskip(SKIP_1) | instid1(VALU_DEP_2)
	v_dual_sub_f32 v18, v18, v19 :: v_dual_fmac_f32 v69, 0x32a5705f, v17
	v_cvt_i32_f32_e32 v19, v19
	v_add_f32_e32 v18, v18, v69
	s_delay_alu instid0(VALU_DEP_1) | instskip(SKIP_1) | instid1(TRANS32_DEP_1)
	v_exp_f32_e32 v18, v18
	v_nop
	v_ldexp_f32 v18, v18, v19
	s_delay_alu instid0(VALU_DEP_1) | instskip(SKIP_1) | instid1(VALU_DEP_2)
	v_cndmask_b32_e32 v18, 0, v18, vcc_lo
	v_cmp_nlt_f32_e32 vcc_lo, 0x42b17218, v17
	v_cndmask_b32_e32 v17, 0x7f800000, v18, vcc_lo
	s_delay_alu instid0(VALU_DEP_1) | instskip(NEXT) | instid1(VALU_DEP_1)
	v_add_f32_e32 v17, 1.0, v17
	v_rcp_f32_e32 v17, v17
	v_nop
	s_delay_alu instid0(TRANS32_DEP_1)
	v_fma_f32 v17, v17, -2.0, 1.0
.LBB25_67:                              ;   in Loop: Header=BB25_17 Depth=1
	s_and_not1_saveexec_b32 s10, s10
	s_cbranch_execz .LBB25_69
; %bb.68:                               ;   in Loop: Header=BB25_17 Depth=1
	v_mul_f32_e32 v17, v66, v66
	s_delay_alu instid0(VALU_DEP_1) | instskip(NEXT) | instid1(VALU_DEP_1)
	v_fmaak_f32 v18, s29, v17, 0x3ca908c9
	v_fmaak_f32 v18, v17, v18, 0xbd5c1c4e
	s_delay_alu instid0(VALU_DEP_1) | instskip(NEXT) | instid1(VALU_DEP_1)
	v_fmaak_f32 v18, v17, v18, 0x3e088382
	v_fmaak_f32 v18, v17, v18, 0xbeaaaa99
	s_delay_alu instid0(VALU_DEP_1) | instskip(NEXT) | instid1(VALU_DEP_1)
	v_mul_f32_e64 v18, |v66|, v18
	v_fma_f32 v17, v17, v18, |v66|
.LBB25_69:                              ;   in Loop: Header=BB25_17 Depth=1
	s_or_b32 exec_lo, exec_lo, s10
	v_bfi_b32 v14, 0x7fffffff, v14, v65
	v_bfi_b32 v15, 0x7fffffff, v15, v67
	;; [unrolled: 1-line block ×3, first 2 shown]
	v_cmp_ngt_f32_e64 s10, 0x3f200000, |v58|
	s_delay_alu instid0(VALU_DEP_3) | instskip(SKIP_1) | instid1(VALU_DEP_4)
	v_dual_fma_f32 v68, s3, v14, v23 :: v_dual_fma_f32 v67, s3, v15, v22
	v_bfi_b32 v14, 0x7fffffff, v17, v66
	v_fma_f32 v66, s3, v16, v21
	s_delay_alu instid0(VALU_DEP_3) | instskip(NEXT) | instid1(VALU_DEP_3)
	v_dual_add_f32 v15, 0x40051340, v68 :: v_dual_add_f32 v16, 0x40051340, v67
	v_fma_f32 v65, s3, v14, v20
	s_delay_alu instid0(VALU_DEP_3) | instskip(NEXT) | instid1(VALU_DEP_3)
	v_add_f32_e32 v14, 0x40051340, v66
	v_max3_num_f32 v15, v64, v15, v16
	s_delay_alu instid0(VALU_DEP_3) | instskip(NEXT) | instid1(VALU_DEP_1)
	v_add_f32_e32 v16, 0x40051340, v65
	v_max3_num_f32 v14, v15, v14, v16
                                        ; implicit-def: $vgpr16
	ds_bpermute_b32 v15, v0, v14
	s_wait_dscnt 0x0
	v_max_num_f32_e32 v15, v15, v15
	s_delay_alu instid0(VALU_DEP_1) | instskip(SKIP_3) | instid1(VALU_DEP_1)
	v_max_num_f32_e32 v14, v14, v15
	ds_bpermute_b32 v15, v56, v14
	s_wait_dscnt 0x0
	v_max_num_f32_e32 v15, v15, v15
	v_max_num_f32_e32 v14, v14, v15
	ds_bpermute_b32 v15, v55, v14
	s_wait_dscnt 0x0
	v_max_num_f32_e32 v15, v15, v15
	s_delay_alu instid0(VALU_DEP_1) | instskip(SKIP_3) | instid1(VALU_DEP_1)
	v_max_num_f32_e32 v14, v14, v15
	ds_bpermute_b32 v15, v54, v14
	s_wait_dscnt 0x0
	v_max_num_f32_e32 v15, v15, v15
	v_max_num_f32_e32 v14, v14, v15
	ds_bpermute_b32 v15, v3, v14
	s_and_saveexec_b32 s26, s10
	s_delay_alu instid0(SALU_CYCLE_1)
	s_xor_b32 s10, exec_lo, s26
	s_cbranch_execz .LBB25_71
; %bb.70:                               ;   in Loop: Header=BB25_17 Depth=1
	v_add_f32_e64 v16, |v58|, |v58|
	s_delay_alu instid0(VALU_DEP_1) | instskip(SKIP_1) | instid1(VALU_DEP_2)
	v_mul_f32_e32 v17, 0x3fb8aa3b, v16
	v_cmp_ngt_f32_e32 vcc_lo, 0xc2ce8ed0, v16
	v_rndne_f32_e32 v18, v17
	v_fma_f32 v19, 0x3fb8aa3b, v16, -v17
	s_delay_alu instid0(VALU_DEP_2) | instskip(NEXT) | instid1(VALU_DEP_2)
	v_sub_f32_e32 v17, v17, v18
	v_fmac_f32_e32 v19, 0x32a5705f, v16
	v_cvt_i32_f32_e32 v18, v18
	s_delay_alu instid0(VALU_DEP_2) | instskip(NEXT) | instid1(VALU_DEP_1)
	v_add_f32_e32 v17, v17, v19
	v_exp_f32_e32 v17, v17
	v_nop
	s_delay_alu instid0(TRANS32_DEP_1) | instskip(NEXT) | instid1(VALU_DEP_1)
	v_ldexp_f32 v17, v17, v18
	v_cndmask_b32_e32 v17, 0, v17, vcc_lo
	v_cmp_nlt_f32_e32 vcc_lo, 0x42b17218, v16
	s_delay_alu instid0(VALU_DEP_2) | instskip(NEXT) | instid1(VALU_DEP_1)
	v_cndmask_b32_e32 v16, 0x7f800000, v17, vcc_lo
	v_add_f32_e32 v16, 1.0, v16
	s_delay_alu instid0(VALU_DEP_1) | instskip(SKIP_1) | instid1(TRANS32_DEP_1)
	v_rcp_f32_e32 v16, v16
	v_nop
	v_fma_f32 v16, v16, -2.0, 1.0
.LBB25_71:                              ;   in Loop: Header=BB25_17 Depth=1
	s_and_not1_saveexec_b32 s10, s10
	s_cbranch_execz .LBB25_73
; %bb.72:                               ;   in Loop: Header=BB25_17 Depth=1
	v_mul_f32_e32 v16, v58, v58
	s_delay_alu instid0(VALU_DEP_1) | instskip(NEXT) | instid1(VALU_DEP_1)
	v_fmaak_f32 v17, s29, v16, 0x3ca908c9
	v_fmaak_f32 v17, v16, v17, 0xbd5c1c4e
	s_delay_alu instid0(VALU_DEP_1) | instskip(NEXT) | instid1(VALU_DEP_1)
	v_fmaak_f32 v17, v16, v17, 0x3e088382
	v_fmaak_f32 v17, v16, v17, 0xbeaaaa99
	s_delay_alu instid0(VALU_DEP_1) | instskip(NEXT) | instid1(VALU_DEP_1)
	v_mul_f32_e64 v17, |v58|, v17
	v_fma_f32 v16, v16, v17, |v58|
.LBB25_73:                              ;   in Loop: Header=BB25_17 Depth=1
	s_or_b32 exec_lo, exec_lo, s10
	v_cmp_ngt_f32_e64 s10, 0x3f200000, |v60|
                                        ; implicit-def: $vgpr17
	s_and_saveexec_b32 s26, s10
	s_delay_alu instid0(SALU_CYCLE_1)
	s_xor_b32 s10, exec_lo, s26
	s_cbranch_execz .LBB25_75
; %bb.74:                               ;   in Loop: Header=BB25_17 Depth=1
	v_add_f32_e64 v17, |v60|, |v60|
	s_delay_alu instid0(VALU_DEP_1) | instskip(SKIP_1) | instid1(VALU_DEP_2)
	v_mul_f32_e32 v18, 0x3fb8aa3b, v17
	v_cmp_ngt_f32_e32 vcc_lo, 0xc2ce8ed0, v17
	v_rndne_f32_e32 v19, v18
	v_fma_f32 v69, 0x3fb8aa3b, v17, -v18
	s_delay_alu instid0(VALU_DEP_1) | instskip(SKIP_1) | instid1(VALU_DEP_2)
	v_dual_sub_f32 v18, v18, v19 :: v_dual_fmac_f32 v69, 0x32a5705f, v17
	v_cvt_i32_f32_e32 v19, v19
	v_add_f32_e32 v18, v18, v69
	s_delay_alu instid0(VALU_DEP_1) | instskip(SKIP_1) | instid1(TRANS32_DEP_1)
	v_exp_f32_e32 v18, v18
	v_nop
	v_ldexp_f32 v18, v18, v19
	s_delay_alu instid0(VALU_DEP_1) | instskip(SKIP_1) | instid1(VALU_DEP_2)
	v_cndmask_b32_e32 v18, 0, v18, vcc_lo
	v_cmp_nlt_f32_e32 vcc_lo, 0x42b17218, v17
	v_cndmask_b32_e32 v17, 0x7f800000, v18, vcc_lo
	s_delay_alu instid0(VALU_DEP_1) | instskip(NEXT) | instid1(VALU_DEP_1)
	v_add_f32_e32 v17, 1.0, v17
	v_rcp_f32_e32 v17, v17
	v_nop
	s_delay_alu instid0(TRANS32_DEP_1)
	v_fma_f32 v17, v17, -2.0, 1.0
.LBB25_75:                              ;   in Loop: Header=BB25_17 Depth=1
	s_and_not1_saveexec_b32 s10, s10
	s_cbranch_execz .LBB25_77
; %bb.76:                               ;   in Loop: Header=BB25_17 Depth=1
	v_mul_f32_e32 v17, v60, v60
	s_delay_alu instid0(VALU_DEP_1) | instskip(NEXT) | instid1(VALU_DEP_1)
	v_fmaak_f32 v18, s29, v17, 0x3ca908c9
	v_fmaak_f32 v18, v17, v18, 0xbd5c1c4e
	s_delay_alu instid0(VALU_DEP_1) | instskip(NEXT) | instid1(VALU_DEP_1)
	v_fmaak_f32 v18, v17, v18, 0x3e088382
	v_fmaak_f32 v18, v17, v18, 0xbeaaaa99
	s_delay_alu instid0(VALU_DEP_1) | instskip(NEXT) | instid1(VALU_DEP_1)
	v_mul_f32_e64 v18, |v60|, v18
	v_fma_f32 v17, v17, v18, |v60|
.LBB25_77:                              ;   in Loop: Header=BB25_17 Depth=1
	s_or_b32 exec_lo, exec_lo, s10
	v_cmp_ngt_f32_e64 s10, 0x3f200000, |v57|
                                        ; implicit-def: $vgpr18
	s_and_saveexec_b32 s26, s10
	s_delay_alu instid0(SALU_CYCLE_1)
	s_xor_b32 s10, exec_lo, s26
	s_cbranch_execz .LBB25_79
; %bb.78:                               ;   in Loop: Header=BB25_17 Depth=1
	v_add_f32_e64 v18, |v57|, |v57|
	s_delay_alu instid0(VALU_DEP_1) | instskip(SKIP_1) | instid1(VALU_DEP_2)
	v_mul_f32_e32 v19, 0x3fb8aa3b, v18
	v_cmp_ngt_f32_e32 vcc_lo, 0xc2ce8ed0, v18
	v_rndne_f32_e32 v69, v19
	v_fma_f32 v70, 0x3fb8aa3b, v18, -v19
	s_delay_alu instid0(VALU_DEP_1) | instskip(SKIP_1) | instid1(VALU_DEP_2)
	v_dual_sub_f32 v19, v19, v69 :: v_dual_fmac_f32 v70, 0x32a5705f, v18
	v_cvt_i32_f32_e32 v69, v69
	v_add_f32_e32 v19, v19, v70
	s_delay_alu instid0(VALU_DEP_1) | instskip(SKIP_1) | instid1(TRANS32_DEP_1)
	v_exp_f32_e32 v19, v19
	v_nop
	v_ldexp_f32 v19, v19, v69
	s_delay_alu instid0(VALU_DEP_1) | instskip(SKIP_1) | instid1(VALU_DEP_2)
	v_cndmask_b32_e32 v19, 0, v19, vcc_lo
	v_cmp_nlt_f32_e32 vcc_lo, 0x42b17218, v18
	v_cndmask_b32_e32 v18, 0x7f800000, v19, vcc_lo
	s_delay_alu instid0(VALU_DEP_1) | instskip(NEXT) | instid1(VALU_DEP_1)
	v_add_f32_e32 v18, 1.0, v18
	v_rcp_f32_e32 v18, v18
	v_nop
	s_delay_alu instid0(TRANS32_DEP_1)
	v_fma_f32 v18, v18, -2.0, 1.0
.LBB25_79:                              ;   in Loop: Header=BB25_17 Depth=1
	s_and_not1_saveexec_b32 s10, s10
	s_cbranch_execz .LBB25_81
; %bb.80:                               ;   in Loop: Header=BB25_17 Depth=1
	v_mul_f32_e32 v18, v57, v57
	s_delay_alu instid0(VALU_DEP_1) | instskip(NEXT) | instid1(VALU_DEP_1)
	v_fmaak_f32 v19, s29, v18, 0x3ca908c9
	v_fmaak_f32 v19, v18, v19, 0xbd5c1c4e
	s_delay_alu instid0(VALU_DEP_1) | instskip(NEXT) | instid1(VALU_DEP_1)
	v_fmaak_f32 v19, v18, v19, 0x3e088382
	v_fmaak_f32 v19, v18, v19, 0xbeaaaa99
	s_delay_alu instid0(VALU_DEP_1) | instskip(NEXT) | instid1(VALU_DEP_1)
	v_mul_f32_e64 v19, |v57|, v19
	v_fma_f32 v18, v18, v19, |v57|
.LBB25_81:                              ;   in Loop: Header=BB25_17 Depth=1
	s_or_b32 exec_lo, exec_lo, s10
	v_cmp_ngt_f32_e64 s10, 0x3f200000, |v36|
                                        ; implicit-def: $vgpr19
	s_and_saveexec_b32 s26, s10
	s_delay_alu instid0(SALU_CYCLE_1)
	s_xor_b32 s10, exec_lo, s26
	s_cbranch_execz .LBB25_83
; %bb.82:                               ;   in Loop: Header=BB25_17 Depth=1
	v_add_f32_e64 v19, |v36|, |v36|
	s_delay_alu instid0(VALU_DEP_1) | instskip(SKIP_1) | instid1(VALU_DEP_2)
	v_mul_f32_e32 v69, 0x3fb8aa3b, v19
	v_cmp_ngt_f32_e32 vcc_lo, 0xc2ce8ed0, v19
	v_rndne_f32_e32 v70, v69
	v_fma_f32 v71, 0x3fb8aa3b, v19, -v69
	s_delay_alu instid0(VALU_DEP_2) | instskip(NEXT) | instid1(VALU_DEP_2)
	v_sub_f32_e32 v69, v69, v70
	v_fmac_f32_e32 v71, 0x32a5705f, v19
	v_cvt_i32_f32_e32 v70, v70
	s_delay_alu instid0(VALU_DEP_2) | instskip(NEXT) | instid1(VALU_DEP_1)
	v_add_f32_e32 v69, v69, v71
	v_exp_f32_e32 v69, v69
	v_nop
	s_delay_alu instid0(TRANS32_DEP_1) | instskip(NEXT) | instid1(VALU_DEP_1)
	v_ldexp_f32 v69, v69, v70
	v_cndmask_b32_e32 v69, 0, v69, vcc_lo
	v_cmp_nlt_f32_e32 vcc_lo, 0x42b17218, v19
	s_delay_alu instid0(VALU_DEP_2) | instskip(NEXT) | instid1(VALU_DEP_1)
	v_cndmask_b32_e32 v19, 0x7f800000, v69, vcc_lo
	v_add_f32_e32 v19, 1.0, v19
	s_delay_alu instid0(VALU_DEP_1) | instskip(SKIP_1) | instid1(TRANS32_DEP_1)
	v_rcp_f32_e32 v19, v19
	v_nop
	v_fma_f32 v19, v19, -2.0, 1.0
.LBB25_83:                              ;   in Loop: Header=BB25_17 Depth=1
	s_and_not1_saveexec_b32 s10, s10
	s_cbranch_execz .LBB25_85
; %bb.84:                               ;   in Loop: Header=BB25_17 Depth=1
	v_mul_f32_e32 v19, v36, v36
	s_delay_alu instid0(VALU_DEP_1) | instskip(NEXT) | instid1(VALU_DEP_1)
	v_fmaak_f32 v69, s29, v19, 0x3ca908c9
	v_fmaak_f32 v69, v19, v69, 0xbd5c1c4e
	s_delay_alu instid0(VALU_DEP_1) | instskip(NEXT) | instid1(VALU_DEP_1)
	v_fmaak_f32 v69, v19, v69, 0x3e088382
	v_fmaak_f32 v69, v19, v69, 0xbeaaaa99
	s_delay_alu instid0(VALU_DEP_1) | instskip(NEXT) | instid1(VALU_DEP_1)
	v_mul_f32_e64 v69, |v36|, v69
	v_fma_f32 v19, v19, v69, |v36|
.LBB25_85:                              ;   in Loop: Header=BB25_17 Depth=1
	s_or_b32 exec_lo, exec_lo, s10
	v_bfi_b32 v16, 0x7fffffff, v16, v58
	v_bfi_b32 v17, 0x7fffffff, v17, v60
	;; [unrolled: 1-line block ×4, first 2 shown]
	v_dual_max_num_f32 v13, v13, v13 :: v_dual_max_num_f32 v12, v12, v12
	s_delay_alu instid0(VALU_DEP_4) | instskip(NEXT) | instid1(VALU_DEP_3)
	v_dual_fmac_f32 v23, s3, v16 :: v_dual_fmac_f32 v22, s3, v17
	v_dual_fmac_f32 v21, s3, v18 :: v_dual_fmac_f32 v20, s3, v19
	s_wait_dscnt 0x0
	v_max_num_f32_e32 v15, v15, v15
	s_delay_alu instid0(VALU_DEP_3) | instskip(NEXT) | instid1(VALU_DEP_3)
	v_dual_add_f32 v16, 0x40051340, v23 :: v_dual_add_f32 v17, 0x40051340, v22
	v_dual_add_f32 v18, 0x40051340, v21 :: v_dual_add_f32 v19, 0x40051340, v20
	v_max_num_f32_e32 v14, v14, v14
	v_dual_max_num_f32 v2, v2, v2 :: v_dual_max_num_f32 v1, v1, v1
	s_delay_alu instid0(VALU_DEP_4) | instskip(SKIP_3) | instid1(VALU_DEP_2)
	v_max3_num_f32 v16, v63, v16, v17
	s_mul_u64 s[26:27], s[4:5], s[14:15]
	v_lshlrev_b32_e32 v36, 2, v74
	s_lshl_b64 s[26:27], s[26:27], 2
	v_max3_num_f32 v16, v16, v18, v19
	s_add_nc_u64 s[26:27], s[8:9], s[26:27]
	s_barrier_signal -1
	s_barrier_wait -1
	ds_bpermute_b32 v17, v0, v16
	v_dual_max_num_f32 v0, v1, v2 :: v_dual_max_num_f32 v1, v12, v13
	v_add_nc_u64_e32 v[12:13], s[26:27], v[48:49]
	v_max_num_f32_e32 v2, v14, v15
	v_add_nc_u64_e32 v[14:15], s[26:27], v[50:51]
	s_delay_alu instid0(VALU_DEP_4)
	v_dual_sub_f32 v58, v4, v0 :: v_dual_sub_f32 v69, v6, v0
	v_dual_sub_f32 v118, v9, v1 :: v_dual_sub_f32 v119, v11, v1
	;; [unrolled: 1-line block ×4, first 2 shown]
	v_add_nc_u64_e32 v[52:53], v[12:13], v[36:37]
	v_add_nc_u64_e32 v[70:71], v[14:15], v[36:37]
	v_dual_sub_f32 v120, v8, v1 :: v_dual_sub_f32 v121, v10, v1
	v_mul_f32_e32 v125, 0x3fb8aa3b, v119
	v_cmp_ngt_f32_e32 vcc_lo, 0xc2ce8ed0, v57
	s_wait_dscnt 0x0
	v_max_num_f32_e32 v4, v17, v17
	v_dual_mul_f32 v122, 0x3fb8aa3b, v58 :: v_dual_mul_f32 v127, 0x3fb8aa3b, v121
	v_rndne_f32_e32 v142, v125
	s_delay_alu instid0(VALU_DEP_3)
	v_dual_mul_f32 v128, 0x3fb8aa3b, v117 :: v_dual_max_num_f32 v123, v16, v4
	s_clause 0x3
	global_load_b128 v[4:7], v[52:53], off
	global_load_b128 v[8:11], v[52:53], off offset:512
	global_load_b128 v[12:15], v[70:71], off
	global_load_b128 v[16:19], v[70:71], off offset:512
	s_wait_xcnt 0x0
	v_dual_mul_f32 v52, 0x3fb8aa3b, v60 :: v_dual_mul_f32 v71, 0x3fb8aa3b, v57
	v_mul_f32_e32 v70, 0x3fb8aa3b, v116
	ds_bpermute_b32 v53, v56, v123
	v_mul_f32_e32 v124, 0x3fb8aa3b, v118
	v_fma_f32 v129, 0x3fb8aa3b, v58, -v122
	v_rndne_f32_e32 v138, v71
	v_mul_f32_e32 v56, 0x3fb8aa3b, v69
	v_rndne_f32_e32 v136, v70
	v_fma_f32 v137, 0x3fb8aa3b, v57, -v71
	v_rndne_f32_e32 v130, v122
	v_sub_f32_e32 v71, v71, v138
	v_fma_f32 v133, 0x3fb8aa3b, v69, -v56
	v_rndne_f32_e32 v134, v56
	v_fma_f32 v135, 0x3fb8aa3b, v116, -v70
	v_dual_sub_f32 v70, v70, v136 :: v_dual_fmac_f32 v137, 0x32a5705f, v57
	s_delay_alu instid0(VALU_DEP_3)
	v_dual_fmac_f32 v133, 0x32a5705f, v69 :: v_dual_sub_f32 v56, v56, v134
	v_fma_f32 v131, 0x3fb8aa3b, v60, -v52
	v_rndne_f32_e32 v132, v52
	v_fmac_f32_e32 v129, 0x32a5705f, v58
	s_wait_dscnt 0x0
	v_dual_sub_f32 v122, v122, v130 :: v_dual_max_num_f32 v53, v53, v53
	v_mul_f32_e32 v126, 0x3fb8aa3b, v120
	v_fmac_f32_e32 v131, 0x32a5705f, v60
	v_sub_f32_e32 v52, v52, v132
	v_fma_f32 v139, 0x3fb8aa3b, v118, -v124
	v_max_num_f32_e32 v53, v123, v53
	v_rndne_f32_e32 v140, v124
	v_fma_f32 v141, 0x3fb8aa3b, v119, -v125
	v_cvt_i32_f32_e32 v138, v138
	v_sub_f32_e32 v125, v125, v142
	ds_bpermute_b32 v55, v55, v53
	v_fma_f32 v144, 0x3fb8aa3b, v117, -v128
	v_rndne_f32_e32 v145, v128
	v_cvt_i32_f32_e32 v130, v130
	v_fmac_f32_e32 v135, 0x32a5705f, v116
	v_dual_fmac_f32 v139, 0x32a5705f, v118 :: v_dual_sub_f32 v124, v124, v140
	s_delay_alu instid0(VALU_DEP_4)
	v_dual_fmac_f32 v141, 0x32a5705f, v119 :: v_dual_sub_f32 v128, v128, v145
	v_fmac_f32_e32 v144, 0x32a5705f, v117
	v_cvt_i32_f32_e32 v132, v132
	v_add_f32_e32 v70, v70, v135
	v_cvt_i32_f32_e32 v134, v134
	v_cvt_i32_f32_e32 v136, v136
	;; [unrolled: 1-line block ×3, first 2 shown]
	v_fma_f32 v143, 0x3fb8aa3b, v120, -v126
	v_rndne_f32_e32 v123, v126
	v_add_f32_e32 v56, v56, v133
	v_cvt_i32_f32_e32 v142, v142
	v_sub_f32_e32 v67, v67, v2
	s_wait_dscnt 0x0
	v_max_num_f32_e32 v55, v55, v55
	v_dual_add_f32 v71, v71, v137 :: v_dual_add_f32 v52, v52, v131
	v_exp_f32_e32 v56, v56
	v_fmac_f32_e32 v143, 0x32a5705f, v120
	s_delay_alu instid0(VALU_DEP_3) | instskip(NEXT) | instid1(VALU_DEP_3)
	v_dual_max_num_f32 v53, v53, v55 :: v_dual_add_f32 v55, v122, v129
	v_exp_f32_e32 v71, v71
	v_exp_f32_e32 v52, v52
	v_sub_f32_e32 v65, v65, v2
	ds_bpermute_b32 v54, v54, v53
	v_exp_f32_e32 v55, v55
	v_dual_add_f32 v122, v124, v139 :: v_dual_add_f32 v124, v125, v141
	v_ldexp_f32 v71, v71, v138
	v_add_f32_e32 v125, v128, v144
	v_ldexp_f32 v52, v52, v132
	v_exp_f32_e32 v70, v70
	s_delay_alu instid0(TRANS32_DEP_2)
	v_ldexp_f32 v55, v55, v130
	v_cndmask_b32_e32 v71, 0, v71, vcc_lo
	v_cmp_ngt_f32_e32 vcc_lo, 0xc2ce8ed0, v58
	v_ldexp_f32 v56, v56, v134
	v_exp_f32_e32 v124, v124
	s_or_b32 s26, s4, 16
	v_ldexp_f32 v70, v70, v136
	v_cndmask_b32_e32 v55, 0, v55, vcc_lo
	v_cmp_ngt_f32_e32 vcc_lo, 0xc2ce8ed0, v60
	s_ashr_i32 s27, s26, 31
	v_sub_f32_e32 v68, v68, v2
	v_ldexp_f32 v124, v124, v142
	s_wait_dscnt 0x0
	v_dual_max_num_f32 v54, v54, v54 :: v_dual_cndmask_b32 v128, 0, v52, vcc_lo
	v_cmp_nlt_f32_e32 vcc_lo, 0x42b17218, v57
	v_exp_f32_e32 v122, v122
	s_mul_u64 s[26:27], s[26:27], s[14:15]
	s_delay_alu instid0(VALU_DEP_2)
	v_max_num_f32_e32 v53, v53, v54
	s_lshl_b64 s[26:27], s[26:27], 2
	v_cndmask_b32_e32 v52, 0x7f800000, v71, vcc_lo
	v_cmp_ngt_f32_e32 vcc_lo, 0xc2ce8ed0, v69
	s_add_nc_u64 s[26:27], s[8:9], s[26:27]
	v_ldexp_f32 v122, v122, v140
	ds_bpermute_b32 v3, v3, v53
	v_add_nc_u64_e32 v[156:157], s[26:27], v[48:49]
	v_cndmask_b32_e32 v54, 0, v56, vcc_lo
	v_cmp_ngt_f32_e32 vcc_lo, 0xc2ce8ed0, v116
	v_add_nc_u64_e32 v[160:161], s[26:27], v[50:51]
	s_or_b32 s26, s4, 32
	v_sub_f32_e32 v66, v66, v2
	s_ashr_i32 s27, s26, 31
	v_cndmask_b32_e32 v57, 0, v70, vcc_lo
	v_cmp_ngt_f32_e32 vcc_lo, 0xc2ce8ed0, v118
	v_cvt_f16_f32_e32 v70, v52
	v_add_nc_u64_e32 v[176:177], v[156:157], v[36:37]
	v_add_nc_u64_e32 v[178:179], v[160:161], v[36:37]
	s_mul_u64 s[26:27], s[26:27], s[14:15]
	v_cndmask_b32_e32 v71, 0, v122, vcc_lo
	v_cmp_nlt_f32_e32 vcc_lo, 0x42b17218, v58
	s_lshl_b64 s[26:27], s[26:27], 2
	s_delay_alu instid0(SALU_CYCLE_1)
	s_add_nc_u64 s[26:27], s[8:9], s[26:27]
	v_cndmask_b32_e32 v56, 0x7f800000, v55, vcc_lo
	v_cmp_nlt_f32_e32 vcc_lo, 0x42b17218, v60
	v_and_b32_e32 v55, 0xffff, v70
	v_sub_f32_e32 v70, v126, v123
	s_wait_dscnt 0x0
	v_dual_max_num_f32 v3, v3, v3 :: v_dual_cndmask_b32 v60, 0x7f800000, v128
	v_cmp_nlt_f32_e32 vcc_lo, 0x42b17218, v69
	v_mul_u32_u24_e32 v122, 0x10001, v55
	v_exp_f32_e32 v55, v125
	v_cvt_i32_f32_e32 v69, v145
	v_dual_max_num_f32 v3, v53, v3 :: v_dual_cndmask_b32 v58, 0x7f800000, v54
	v_cmp_nlt_f32_e32 vcc_lo, 0x42b17218, v116
	v_rndne_f32_e32 v116, v127
	v_pk_mul_f16 v125, v59, v122
	s_delay_alu instid0(TRANS32_DEP_1)
	v_ldexp_f32 v55, v55, v69
	v_pk_mul_f16 v114, v114, v122
	v_cndmask_b32_e32 v54, 0x7f800000, v57, vcc_lo
	v_cmp_nlt_f32_e32 vcc_lo, 0x42b17218, v118
	v_pk_mul_f16 v118, v61, v122
	v_dual_add_f32 v61, v70, v143 :: v_dual_sub_f32 v69, v127, v116
	v_pk_mul_f16 v113, v113, v122
	v_cndmask_b32_e32 v57, 0x7f800000, v71, vcc_lo
	v_fma_f32 v71, 0x3fb8aa3b, v121, -v127
	s_delay_alu instid0(VALU_DEP_4)
	v_exp_f32_e32 v59, v61
	v_cmp_ngt_f32_e32 vcc_lo, 0xc2ce8ed0, v117
	v_pk_mul_f16 v112, v112, v122
	v_pk_mul_f16 v111, v111, v122
	v_fmac_f32_e32 v71, 0x32a5705f, v121
	v_pk_mul_f16 v115, v115, v122
	v_dual_sub_f32 v23, v23, v3 :: v_dual_sub_f32 v20, v20, v3
	v_sub_f32_e32 v21, v21, v3
	s_delay_alu instid0(VALU_DEP_4) | instskip(SKIP_2) | instid1(VALU_DEP_3)
	v_add_f32_e32 v61, v69, v71
	v_cvt_i32_f32_e32 v69, v123
	v_mul_f32_e32 v71, 0x3fb8aa3b, v68
	v_exp_f32_e32 v61, v61
	s_delay_alu instid0(VALU_DEP_2)
	v_ldexp_f32 v59, v59, v69
	v_cvt_i32_f32_e32 v69, v116
	s_delay_alu instid0(TRANS32_DEP_1) | instid1(VALU_DEP_1)
	v_ldexp_f32 v69, v61, v69
	v_cndmask_b32_e32 v55, 0, v55, vcc_lo
	v_cmp_nlt_f32_e32 vcc_lo, 0x42b17218, v117
	s_delay_alu instid0(VALU_DEP_2) | instskip(SKIP_1) | instid1(VALU_DEP_2)
	v_cndmask_b32_e32 v53, 0x7f800000, v55, vcc_lo
	v_cmp_ngt_f32_e32 vcc_lo, 0xc2ce8ed0, v119
	v_cvt_f16_f32_e32 v70, v53
	v_cndmask_b32_e32 v55, 0, v124, vcc_lo
	v_cmp_ngt_f32_e32 vcc_lo, 0xc2ce8ed0, v120
	v_cndmask_b32_e32 v59, 0, v59, vcc_lo
	v_cmp_nlt_f32_e32 vcc_lo, 0x42b17218, v119
	s_delay_alu instid0(VALU_DEP_4) | instskip(SKIP_2) | instid1(VALU_DEP_2)
	v_cndmask_b32_e32 v61, 0x7f800000, v55, vcc_lo
	v_and_b32_e32 v55, 0xffff, v70
	v_cmp_nlt_f32_e32 vcc_lo, 0x42b17218, v120
	v_mul_u32_u24_e32 v117, 0x10001, v55
	v_cndmask_b32_e32 v59, 0x7f800000, v59, vcc_lo
	v_cmp_ngt_f32_e32 vcc_lo, 0xc2ce8ed0, v121
	s_delay_alu instid0(VALU_DEP_3)
	v_pk_mul_f16 v119, v108, v117
	v_pk_mul_f16 v123, v107, v117
	v_cndmask_b32_e32 v69, 0, v69, vcc_lo
	v_cmp_nlt_f32_e32 vcc_lo, 0x42b17218, v121
	v_pk_mul_f16 v121, v106, v117
	v_mul_f32_e32 v106, 0x3fb8aa3b, v66
	v_fma_f32 v70, 0x3fb8aa3b, v68, -v71
	v_rndne_f32_e32 v116, v71
	v_cndmask_b32_e32 v55, 0x7f800000, v69, vcc_lo
	v_cmp_ngt_f32_e32 vcc_lo, 0xc2ce8ed0, v68
	v_pk_mul_f16 v120, v109, v117
	v_fmac_f32_e32 v70, 0x32a5705f, v68
	v_sub_f32_e32 v69, v71, v116
	v_mul_f32_e32 v71, 0x3fb8aa3b, v67
	v_cvt_i32_f32_e32 v107, v116
	v_pk_mul_f16 v116, v62, v117
	v_pk_mul_f16 v110, v110, v117
	;; [unrolled: 1-line block ×3, first 2 shown]
	v_rndne_f32_e32 v108, v71
	v_add_f32_e32 v69, v69, v70
	v_fma_f32 v70, 0x3fb8aa3b, v67, -v71
	s_delay_alu instid0(VALU_DEP_3) | instskip(NEXT) | instid1(VALU_DEP_3)
	v_sub_f32_e32 v71, v71, v108
	v_exp_f32_e32 v69, v69
	s_delay_alu instid0(VALU_DEP_2) | instskip(NEXT) | instid1(VALU_DEP_1)
	v_fmac_f32_e32 v70, 0x32a5705f, v67
	v_add_f32_e32 v62, v71, v70
	v_sub_f32_e32 v71, v64, v2
	v_fma_f32 v64, 0x3fb8aa3b, v66, -v106
	s_delay_alu instid0(TRANS32_DEP_1) | instskip(SKIP_3) | instid1(VALU_DEP_3)
	v_ldexp_f32 v69, v69, v107
	v_cvt_i32_f32_e32 v107, v108
	v_exp_f32_e32 v62, v62
	v_rndne_f32_e32 v70, v106
	v_dual_fmac_f32 v64, 0x32a5705f, v66 :: v_dual_cndmask_b32 v69, 0, v69
	v_cmp_ngt_f32_e32 vcc_lo, 0xc2ce8ed0, v67
	s_delay_alu instid0(VALU_DEP_3) | instskip(NEXT) | instid1(TRANS32_DEP_1)
	v_sub_f32_e32 v106, v106, v70
	v_ldexp_f32 v62, v62, v107
	v_mul_f32_e32 v107, 0x3fb8aa3b, v71
	v_cvt_i32_f32_e32 v70, v70
	s_delay_alu instid0(VALU_DEP_3) | instskip(NEXT) | instid1(VALU_DEP_3)
	v_dual_add_f32 v64, v106, v64 :: v_dual_cndmask_b32 v108, 0, v62, vcc_lo
	v_fma_f32 v124, 0x3fb8aa3b, v71, -v107
	v_rndne_f32_e32 v126, v107
	v_cmp_nlt_f32_e32 vcc_lo, 0x42b17218, v68
	s_delay_alu instid0(VALU_DEP_4) | instskip(NEXT) | instid1(VALU_DEP_3)
	v_exp_f32_e32 v64, v64
	v_fmac_f32_e32 v124, 0x32a5705f, v71
	s_delay_alu instid0(VALU_DEP_3) | instskip(SKIP_2) | instid1(TRANS32_DEP_1)
	v_dual_mul_f32 v106, 0x3fb8aa3b, v65 :: v_dual_sub_f32 v107, v107, v126
	v_cndmask_b32_e32 v62, 0x7f800000, v69, vcc_lo
	v_cmp_nlt_f32_e32 vcc_lo, 0x42b17218, v67
	v_ldexp_f32 v68, v64, v70
	s_delay_alu instid0(VALU_DEP_4) | instskip(SKIP_3) | instid1(VALU_DEP_3)
	v_fma_f32 v109, 0x3fb8aa3b, v65, -v106
	v_rndne_f32_e32 v127, v106
	v_cndmask_b32_e32 v64, 0x7f800000, v108, vcc_lo
	v_cmp_ngt_f32_e32 vcc_lo, 0xc2ce8ed0, v66
	v_dual_fmac_f32 v109, 0x32a5705f, v65 :: v_dual_sub_f32 v106, v106, v127
	v_add_f32_e32 v69, v107, v124
	v_dual_mul_f32 v107, 0x3fb8aa3b, v23 :: v_dual_cndmask_b32 v68, 0, v68
	v_cmp_ngt_f32_e32 vcc_lo, 0xc2ce8ed0, v71
	s_delay_alu instid0(VALU_DEP_4) | instskip(NEXT) | instid1(VALU_DEP_4)
	v_add_f32_e32 v70, v106, v109
	v_exp_f32_e32 v67, v69
	v_cvt_i32_f32_e32 v106, v127
	v_rndne_f32_e32 v108, v107
	s_delay_alu instid0(VALU_DEP_3)
	v_exp_f32_e32 v69, v70
	v_nop
	v_cvt_i32_f32_e32 v70, v126
	s_delay_alu instid0(TRANS32_DEP_2) | instid1(VALU_DEP_1)
	v_ldexp_f32 v67, v67, v70
	s_delay_alu instid0(TRANS32_DEP_1) | instskip(SKIP_1) | instid1(VALU_DEP_3)
	v_ldexp_f32 v69, v69, v106
	v_fma_f32 v106, 0x3fb8aa3b, v23, -v107
	v_dual_sub_f32 v107, v107, v108 :: v_dual_cndmask_b32 v67, 0, v67, vcc_lo
	v_cmp_ngt_f32_e32 vcc_lo, 0xc2ce8ed0, v65
	s_delay_alu instid0(VALU_DEP_4) | instskip(SKIP_1) | instid1(VALU_DEP_2)
	v_dual_sub_f32 v22, v22, v3 :: v_dual_cndmask_b32 v69, 0, v69
	v_cmp_nlt_f32_e32 vcc_lo, 0x42b17218, v66
	v_mul_f32_e32 v109, 0x3fb8aa3b, v22
	v_cndmask_b32_e32 v70, 0x7f800000, v68, vcc_lo
	v_cmp_nlt_f32_e32 vcc_lo, 0x42b17218, v71
	v_cndmask_b32_e32 v66, 0x7f800000, v67, vcc_lo
	v_cmp_nlt_f32_e32 vcc_lo, 0x42b17218, v65
	v_fma_f32 v65, 0x3fb8aa3b, v22, -v109
	v_fmac_f32_e32 v106, 0x32a5705f, v23
	v_rndne_f32_e32 v67, v109
	v_cndmask_b32_e32 v68, 0x7f800000, v69, vcc_lo
	s_delay_alu instid0(VALU_DEP_4) | instskip(NEXT) | instid1(VALU_DEP_4)
	v_fmac_f32_e32 v65, 0x32a5705f, v22
	v_dual_add_f32 v106, v107, v106 :: v_dual_mul_f32 v107, 0x3fb8aa3b, v21
	v_cmp_ngt_f32_e32 vcc_lo, 0xc2ce8ed0, v23
	s_delay_alu instid0(VALU_DEP_2)
	v_exp_f32_e32 v69, v106
	v_nop
	v_cvt_i32_f32_e32 v106, v108
	v_sub_f32_e32 v108, v109, v67
	v_sub_f32_e32 v109, v63, v3
	v_fma_f32 v63, 0x3fb8aa3b, v21, -v107
	v_rndne_f32_e32 v126, v107
	v_cvt_i32_f32_e32 v67, v67
	v_add_f32_e32 v65, v108, v65
	v_cvt_f16_f32_e32 v71, v66
	s_delay_alu instid0(VALU_DEP_4) | instskip(SKIP_1) | instid1(VALU_DEP_4)
	v_dual_mul_f32 v108, 0x3fb8aa3b, v109 :: v_dual_sub_f32 v107, v107, v126
	v_ldexp_f32 v69, v69, v106
	v_exp_f32_e32 v65, v65
	s_delay_alu instid0(VALU_DEP_3)
	v_and_b32_e32 v124, 0xffff, v71
	v_mul_f32_e32 v71, 0x3fb8aa3b, v20
	v_rndne_f32_e32 v130, v108
	v_fmac_f32_e32 v63, 0x32a5705f, v21
	v_fma_f32 v129, 0x3fb8aa3b, v109, -v108
	v_cndmask_b32_e32 v69, 0, v69, vcc_lo
	v_rndne_f32_e32 v128, v71
	v_fma_f32 v127, 0x3fb8aa3b, v20, -v71
	v_sub_f32_e32 v108, v108, v130
	v_ldexp_f32 v65, v65, v67
	v_cmp_ngt_f32_e32 vcc_lo, 0xc2ce8ed0, v22
	v_sub_f32_e32 v71, v71, v128
	v_add_f32_e32 v63, v107, v63
	v_cvt_i32_f32_e32 v107, v126
	v_cvt_i32_f32_e32 v126, v130
	v_cndmask_b32_e32 v65, 0, v65, vcc_lo
	v_cmp_ngt_f32_e32 vcc_lo, 0xc2ce8ed0, v21
	v_exp_f32_e32 v63, v63
	v_mul_u32_u24_e32 v124, 0x10001, v124
	s_delay_alu instid0(VALU_DEP_1) | instskip(NEXT) | instid1(TRANS32_DEP_1)
	v_pk_mul_f16 v102, v102, v124
	v_ldexp_f32 v63, v63, v107
	v_fmac_f32_e32 v129, 0x32a5705f, v109
	v_fmac_f32_e32 v127, 0x32a5705f, v20
	v_pk_mul_f16 v101, v101, v124
	v_pk_mul_f16 v96, v96, v124
	;; [unrolled: 1-line block ×3, first 2 shown]
	s_delay_alu instid0(VALU_DEP_4) | instskip(SKIP_3) | instid1(VALU_DEP_4)
	v_dual_add_f32 v106, v108, v129 :: v_dual_add_f32 v71, v71, v127
	v_cvt_i32_f32_e32 v108, v128
	v_pk_mul_f16 v98, v98, v124
	v_pk_mul_f16 v99, v99, v124
	v_exp_f32_e32 v106, v106
	v_exp_f32_e32 v71, v71
	v_nop
	s_delay_alu instid0(TRANS32_DEP_1) | instskip(NEXT) | instid1(TRANS32_DEP_2)
	v_ldexp_f32 v67, v71, v108
	v_ldexp_f32 v71, v106, v126
	v_cndmask_b32_e32 v106, 0, v63, vcc_lo
	v_cmp_ngt_f32_e32 vcc_lo, 0xc2ce8ed0, v20
	v_add_nc_u32_e32 v126, v85, v75
	v_cvt_pk_f16_f32 v108, v54, v55
	v_cndmask_b32_e32 v67, 0, v67, vcc_lo
	v_cmp_ngt_f32_e32 vcc_lo, 0xc2ce8ed0, v109
	v_cndmask_b32_e32 v107, 0, v71, vcc_lo
	v_cmp_nlt_f32_e32 vcc_lo, 0x42b17218, v23
	v_cndmask_b32_e32 v63, 0x7f800000, v69, vcc_lo
	v_cmp_nlt_f32_e32 vcc_lo, 0x42b17218, v22
	v_cvt_pk_f16_f32 v22, v60, v61
	v_cndmask_b32_e32 v65, 0x7f800000, v65, vcc_lo
	v_cmp_nlt_f32_e32 vcc_lo, 0x42b17218, v21
	v_cvt_pk_f16_f32 v21, v62, v63
	s_delay_alu instid0(VALU_DEP_3)
	v_cvt_pk_f16_f32 v23, v64, v65
	v_cndmask_b32_e32 v71, 0x7f800000, v106, vcc_lo
	v_cmp_nlt_f32_e32 vcc_lo, 0x42b17218, v20
	v_cvt_pk_f16_f32 v20, v56, v57
	v_cvt_pk_f16_f32 v106, v58, v59
	v_cndmask_b32_e32 v69, 0x7f800000, v67, vcc_lo
	v_cmp_nlt_f32_e32 vcc_lo, 0x42b17218, v109
	s_delay_alu instid0(VALU_DEP_2)
	v_cvt_pk_f16_f32 v109, v68, v69
	v_cndmask_b32_e32 v67, 0x7f800000, v107, vcc_lo
	v_cvt_pk_f16_f32 v107, v70, v71
	ds_store_2addr_b64 v126, v[20:21], v[22:23] offset1:32
	ds_store_2addr_b64 v126, v[106:107], v[108:109] offset0:64 offset1:96
	s_wait_loadcnt 0x3
	ds_store_b128 v86, v[4:7]
	s_wait_loadcnt 0x2
	ds_store_b128 v87, v[8:11]
	;; [unrolled: 2-line block ×4, first 2 shown]
	s_wait_dscnt 0x0
	s_barrier_signal -1
	s_barrier_wait -1
	ds_load_b128 v[4:7], v85
	ds_load_b128 v[12:15], v85 offset:16
	v_cvt_f16_f32_e32 v127, v67
	v_pk_mul_f16 v106, v100, v124
	v_add_nc_u32_e32 v100, 0x9000, v75
	s_delay_alu instid0(VALU_DEP_3) | instskip(NEXT) | instid1(VALU_DEP_1)
	v_and_b32_e32 v8, 0xffff, v127
	v_mul_u32_u24_e32 v16, 0x10001, v8
	ds_load_2addr_b64 v[8:11], v100 offset1:32
	v_pk_mul_f16 v30, v30, v16
	v_pk_mul_f16 v31, v31, v16
	;; [unrolled: 1-line block ×3, first 2 shown]
	s_wait_dscnt 0x2
	v_and_b32_e32 v17, 0xffff, v4
	v_and_b32_e32 v18, 0xffff, v5
	v_pk_mul_f16 v29, v29, v16
	v_pk_mul_f16 v107, v24, v16
	;; [unrolled: 1-line block ×5, first 2 shown]
	v_mul_u32_u24_e32 v127, 0x10001, v17
	v_mul_u32_u24_e32 v128, 0x10001, v18
	ds_load_2addr_b64 v[16:19], v100 offset0:64 offset1:96
	v_dual_lshrrev_b32 v4, 16, v4 :: v_dual_lshrrev_b32 v5, 16, v5
	ds_load_b128 v[20:23], v85 offset:32
	ds_load_b128 v[24:27], v85 offset:48
	s_wait_dscnt 0x3
	v_pk_mul_f16 v131, v8, v128
	v_pk_fma_f16 v114, v9, v127, v114
	v_mul_u32_u24_e32 v4, 0x10001, v4
	v_mul_u32_u24_e32 v129, 0x10001, v5
	v_pk_mul_f16 v5, v8, v127
	v_pk_fma_f16 v102, v9, v128, v102
	v_pk_fma_f16 v113, v10, v127, v113
	v_pk_mul_f16 v130, v8, v4
	v_pk_fma_f16 v30, v8, v129, v30
	v_pk_fma_f16 v105, v105, v122, v5
	;; [unrolled: 1-line block ×12, first 2 shown]
	s_wait_dscnt 0x2
	v_pk_fma_f16 v111, v16, v127, v111
	v_pk_fma_f16 v120, v16, v4, v121
	;; [unrolled: 1-line block ×6, first 2 shown]
	ds_load_2addr_b64 v[8:11], v100 offset0:128 offset1:160
	v_pk_fma_f16 v121, v17, v128, v97
	v_pk_fma_f16 v17, v17, v129, v108
	;; [unrolled: 1-line block ×5, first 2 shown]
	v_and_b32_e32 v97, 0xffff, v6
	v_lshrrev_b32_e32 v118, 16, v6
	v_and_b32_e32 v122, 0xffff, v7
	v_lshrrev_b32_e32 v123, 16, v7
	ds_load_2addr_b64 v[4:7], v100 offset0:192 offset1:224
	v_pk_fma_f16 v95, v95, v124, v131
	v_pk_fma_f16 v98, v18, v128, v98
	;; [unrolled: 1-line block ×3, first 2 shown]
	v_mul_u32_u24_e32 v124, 0x10001, v97
	v_mul_u32_u24_e32 v118, 0x10001, v118
	;; [unrolled: 1-line block ×4, first 2 shown]
	v_add_nc_u32_e32 v97, 0x9800, v75
	v_pk_fma_f16 v109, v19, v127, v125
	v_pk_fma_f16 v99, v19, v128, v99
	;; [unrolled: 1-line block ×3, first 2 shown]
	s_wait_dscnt 0x1
	v_pk_fma_f16 v105, v8, v124, v105
	v_pk_fma_f16 v103, v8, v118, v103
	;; [unrolled: 1-line block ×16, first 2 shown]
	s_wait_dscnt 0x0
	v_pk_fma_f16 v111, v4, v124, v111
	v_pk_fma_f16 v120, v4, v118, v120
	;; [unrolled: 1-line block ×4, first 2 shown]
	ds_load_2addr_b64 v[8:11], v97 offset1:32
	v_pk_fma_f16 v126, v5, v123, v17
	v_pk_fma_f16 v127, v6, v123, v18
	ds_load_2addr_b64 v[16:19], v97 offset0:64 offset1:96
	v_pk_fma_f16 v107, v5, v124, v107
	v_pk_fma_f16 v115, v5, v118, v115
	;; [unrolled: 1-line block ×6, first 2 shown]
	v_and_b32_e32 v5, 0xffff, v12
	v_lshrrev_b32_e32 v6, 16, v12
	v_and_b32_e32 v12, 0xffff, v13
	v_lshrrev_b32_e32 v13, 16, v13
	v_pk_fma_f16 v104, v7, v118, v104
	v_pk_fma_f16 v99, v7, v122, v99
	v_mul_u32_u24_e32 v118, 0x10001, v5
	v_mul_u32_u24_e32 v122, 0x10001, v6
	;; [unrolled: 1-line block ×4, first 2 shown]
	v_pk_fma_f16 v109, v7, v124, v109
	v_pk_fma_f16 v123, v7, v123, v125
	s_wait_dscnt 0x1
	v_pk_fma_f16 v105, v8, v118, v105
	v_pk_fma_f16 v103, v8, v122, v103
	;; [unrolled: 1-line block ×16, first 2 shown]
	s_wait_dscnt 0x0
	v_pk_fma_f16 v111, v16, v118, v111
	v_pk_fma_f16 v120, v16, v122, v120
	;; [unrolled: 1-line block ×4, first 2 shown]
	ds_load_2addr_b64 v[4:7], v97 offset0:128 offset1:160
	ds_load_2addr_b64 v[8:11], v97 offset0:192 offset1:224
	v_pk_fma_f16 v121, v17, v12, v121
	v_pk_fma_f16 v124, v18, v12, v98
	;; [unrolled: 1-line block ×3, first 2 shown]
	v_and_b32_e32 v98, 0xffff, v14
	v_lshrrev_b32_e32 v14, 16, v14
	v_and_b32_e32 v99, 0xffff, v15
	v_lshrrev_b32_e32 v15, 16, v15
	v_pk_fma_f16 v107, v17, v118, v107
	v_pk_fma_f16 v115, v17, v122, v115
	;; [unrolled: 1-line block ×7, first 2 shown]
	v_mul_u32_u24_e32 v118, 0x10001, v98
	v_mul_u32_u24_e32 v14, 0x10001, v14
	;; [unrolled: 1-line block ×4, first 2 shown]
	v_add_nc_u32_e32 v98, 0xa000, v75
	v_pk_fma_f16 v18, v18, v13, v127
	v_pk_fma_f16 v19, v19, v13, v123
	s_wait_dscnt 0x1
	v_pk_fma_f16 v105, v4, v118, v105
	v_pk_fma_f16 v103, v4, v14, v103
	;; [unrolled: 1-line block ×16, first 2 shown]
	s_wait_dscnt 0x0
	v_pk_fma_f16 v111, v8, v118, v111
	v_pk_fma_f16 v120, v8, v14, v120
	;; [unrolled: 1-line block ×6, first 2 shown]
	ds_load_2addr_b64 v[4:7], v98 offset1:32
	v_pk_fma_f16 v115, v9, v99, v121
	v_pk_fma_f16 v9, v9, v122, v17
	;; [unrolled: 1-line block ×7, first 2 shown]
	ds_load_2addr_b64 v[12:15], v98 offset0:64 offset1:96
	v_pk_fma_f16 v10, v10, v122, v18
	v_pk_fma_f16 v18, v11, v118, v109
	v_and_b32_e32 v109, 0xffff, v20
	v_lshrrev_b32_e32 v20, 16, v20
	v_and_b32_e32 v118, 0xffff, v21
	v_lshrrev_b32_e32 v21, 16, v21
	v_pk_fma_f16 v19, v11, v122, v19
	v_mul_u32_u24_e32 v109, 0x10001, v109
	v_mul_u32_u24_e32 v20, 0x10001, v20
	;; [unrolled: 1-line block ×4, first 2 shown]
	s_wait_dscnt 0x1
	v_pk_fma_f16 v105, v4, v109, v105
	v_pk_fma_f16 v103, v4, v20, v103
	;; [unrolled: 1-line block ×16, first 2 shown]
	s_wait_dscnt 0x0
	v_pk_fma_f16 v111, v12, v109, v111
	v_pk_fma_f16 v120, v12, v20, v120
	;; [unrolled: 1-line block ×6, first 2 shown]
	ds_load_2addr_b64 v[4:7], v98 offset0:128 offset1:160
	v_pk_fma_f16 v115, v13, v118, v115
	v_pk_fma_f16 v13, v13, v21, v9
	v_pk_fma_f16 v17, v14, v109, v17
	v_pk_fma_f16 v108, v14, v20, v108
	v_pk_fma_f16 v116, v14, v118, v116
	v_pk_fma_f16 v14, v14, v21, v10
	ds_load_2addr_b64 v[8:11], v98 offset0:192 offset1:224
	v_pk_fma_f16 v18, v15, v109, v18
	v_pk_fma_f16 v20, v15, v20, v104
	;; [unrolled: 1-line block ×3, first 2 shown]
	v_and_b32_e32 v99, 0xffff, v22
	v_lshrrev_b32_e32 v22, 16, v22
	v_and_b32_e32 v109, 0xffff, v23
	v_lshrrev_b32_e32 v23, 16, v23
	v_pk_fma_f16 v19, v15, v21, v19
	v_mul_u32_u24_e32 v118, 0x10001, v99
	v_mul_u32_u24_e32 v22, 0x10001, v22
	;; [unrolled: 1-line block ×4, first 2 shown]
	v_add_nc_u32_e32 v99, 0xa800, v75
	s_wait_dscnt 0x1
	v_pk_fma_f16 v21, v4, v118, v105
	v_pk_fma_f16 v103, v4, v22, v103
	;; [unrolled: 1-line block ×16, first 2 shown]
	s_wait_dscnt 0x0
	v_pk_fma_f16 v111, v8, v118, v111
	v_pk_fma_f16 v119, v8, v22, v120
	;; [unrolled: 1-line block ×4, first 2 shown]
	ds_load_2addr_b64 v[4:7], v99 offset1:32
	v_pk_fma_f16 v120, v9, v23, v13
	v_pk_fma_f16 v121, v10, v23, v14
	ds_load_2addr_b64 v[12:15], v99 offset0:64 offset1:96
	v_pk_fma_f16 v16, v9, v118, v16
	v_pk_fma_f16 v107, v9, v22, v107
	;; [unrolled: 1-line block ×6, first 2 shown]
	v_and_b32_e32 v9, 0xffff, v24
	v_lshrrev_b32_e32 v10, 16, v24
	v_and_b32_e32 v24, 0xffff, v25
	v_lshrrev_b32_e32 v25, 16, v25
	v_pk_fma_f16 v20, v11, v22, v20
	v_pk_fma_f16 v22, v11, v109, v104
	v_mul_u32_u24_e32 v104, 0x10001, v9
	v_mul_u32_u24_e32 v109, 0x10001, v10
	;; [unrolled: 1-line block ×4, first 2 shown]
	v_pk_fma_f16 v18, v11, v118, v18
	v_pk_fma_f16 v19, v11, v23, v19
	s_wait_dscnt 0x1
	v_pk_fma_f16 v21, v4, v104, v21
	v_pk_fma_f16 v23, v4, v109, v103
	;; [unrolled: 1-line block ×16, first 2 shown]
	s_wait_dscnt 0x0
	v_pk_fma_f16 v180, v12, v25, v8
	ds_load_2addr_b64 v[8:11], v99 offset0:128 offset1:160
	ds_load_2addr_b64 v[4:7], v99 offset0:192 offset1:224
	v_pk_fma_f16 v185, v14, v104, v17
	v_pk_fma_f16 v186, v14, v109, v108
	;; [unrolled: 1-line block ×4, first 2 shown]
	v_and_b32_e32 v14, 0xffff, v27
	v_pk_fma_f16 v111, v12, v104, v111
	v_pk_fma_f16 v117, v12, v109, v119
	;; [unrolled: 1-line block ×7, first 2 shown]
	v_and_b32_e32 v12, 0xffff, v26
	v_dual_lshrrev_b32 v13, 16, v26 :: v_dual_lshrrev_b32 v16, 16, v27
	v_mul_u32_u24_e32 v194, 0x10001, v14
	v_pk_fma_f16 v189, v15, v104, v18
	s_delay_alu instid0(VALU_DEP_4) | instskip(NEXT) | instid1(VALU_DEP_4)
	v_mul_u32_u24_e32 v192, 0x10001, v12
	v_mul_u32_u24_e32 v193, 0x10001, v13
	;; [unrolled: 1-line block ×3, first 2 shown]
	s_wait_dscnt 0x1
	v_pk_fma_f16 v199, v8, v194, v95
	v_pk_fma_f16 v202, v9, v194, v102
	;; [unrolled: 1-line block ×3, first 2 shown]
	v_add_nc_u32_e32 v95, 0xb000, v75
	s_wait_dscnt 0x0
	v_pk_fma_f16 v214, v4, v194, v96
	v_add_nc_u32_e32 v101, 0xb800, v75
	v_add_nc_u32_e32 v96, 0xc000, v75
	;; [unrolled: 1-line block ×3, first 2 shown]
	v_pk_fma_f16 v190, v15, v109, v20
	v_pk_fma_f16 v191, v15, v24, v22
	;; [unrolled: 1-line block ×18, first 2 shown]
	ds_load_2addr_b64 v[8:11], v95 offset1:32
	ds_load_b128 v[24:27], v85 offset:64
	ds_load_b128 v[12:15], v85 offset:80
	ds_load_2addr_b64 v[28:31], v95 offset0:64 offset1:96
	ds_load_2addr_b64 v[104:107], v95 offset0:128 offset1:160
	;; [unrolled: 1-line block ×3, first 2 shown]
	ds_load_2addr_b64 v[20:23], v101 offset1:32
	ds_load_2addr_b64 v[16:19], v101 offset0:64 offset1:96
	ds_load_2addr_b64 v[112:115], v101 offset0:128 offset1:160
	;; [unrolled: 1-line block ×3, first 2 shown]
	ds_load_2addr_b64 v[120:123], v96 offset1:32
	ds_load_b128 v[124:127], v85 offset:96
	ds_load_b128 v[128:131], v85 offset:112
	ds_load_2addr_b64 v[132:135], v96 offset0:64 offset1:96
	ds_load_2addr_b64 v[136:139], v96 offset0:128 offset1:160
	;; [unrolled: 1-line block ×3, first 2 shown]
	ds_load_2addr_b64 v[144:147], v102 offset1:32
	ds_load_2addr_b64 v[148:151], v102 offset0:64 offset1:96
	ds_load_2addr_b64 v[152:155], v102 offset0:128 offset1:160
	;; [unrolled: 1-line block ×3, first 2 shown]
	s_wait_dscnt 0x0
	s_barrier_signal -1
	s_barrier_wait -1
	s_clause 0x3
	global_load_b128 v[160:163], v[176:177], off
	global_load_b128 v[164:167], v[176:177], off offset:512
	global_load_b128 v[168:171], v[178:179], off
	global_load_b128 v[172:175], v[178:179], off offset:512
	s_wait_xcnt 0x2
	v_pk_fma_f16 v176, v5, v192, v181
	v_pk_fma_f16 v177, v5, v193, v182
	s_wait_xcnt 0x0
	v_pk_fma_f16 v178, v5, v194, v183
	v_pk_fma_f16 v5, v5, v195, v184
	;; [unrolled: 1-line block ×3, first 2 shown]
	v_and_b32_e32 v184, 0xffff, v24
	v_lshrrev_b32_e32 v24, 16, v24
	v_and_b32_e32 v185, 0xffff, v25
	v_lshrrev_b32_e32 v25, 16, v25
	v_pk_fma_f16 v4, v4, v195, v180
	v_pk_fma_f16 v180, v6, v193, v186
	;; [unrolled: 1-line block ×3, first 2 shown]
	v_mul_u32_u24_e32 v184, 0x10001, v184
	v_mul_u32_u24_e32 v24, 0x10001, v24
	;; [unrolled: 1-line block ×4, first 2 shown]
	v_pk_fma_f16 v6, v6, v195, v188
	v_pk_fma_f16 v182, v7, v192, v189
	;; [unrolled: 1-line block ×18, first 2 shown]
	v_and_b32_e32 v180, 0xffff, v26
	v_lshrrev_b32_e32 v26, 16, v26
	v_and_b32_e32 v181, 0xffff, v27
	v_lshrrev_b32_e32 v27, 16, v27
	v_pk_fma_f16 v186, v7, v194, v191
	v_pk_fma_f16 v7, v7, v195, v196
	;; [unrolled: 1-line block ×16, first 2 shown]
	v_mul_u32_u24_e32 v180, 0x10001, v180
	v_mul_u32_u24_e32 v26, 0x10001, v26
	;; [unrolled: 1-line block ×4, first 2 shown]
	v_pk_fma_f16 v30, v31, v184, v182
	v_pk_fma_f16 v182, v31, v185, v186
	;; [unrolled: 1-line block ×32, first 2 shown]
	v_and_b32_e32 v26, 0xffff, v12
	v_lshrrev_b32_e32 v12, 16, v12
	v_and_b32_e32 v110, 0xffff, v13
	v_lshrrev_b32_e32 v13, 16, v13
	v_pk_fma_f16 v30, v111, v180, v30
	v_mul_u32_u24_e32 v26, 0x10001, v26
	v_mul_u32_u24_e32 v12, 0x10001, v12
	;; [unrolled: 1-line block ×4, first 2 shown]
	v_pk_fma_f16 v178, v111, v181, v182
	v_pk_fma_f16 v7, v111, v27, v7
	;; [unrolled: 1-line block ×32, first 2 shown]
	v_and_b32_e32 v24, 0xffff, v14
	v_and_b32_e32 v26, 0xffff, v15
	v_dual_lshrrev_b32 v14, 16, v14 :: v_dual_lshrrev_b32 v15, 16, v15
	v_pk_fma_f16 v30, v19, v110, v178
	s_delay_alu instid0(VALU_DEP_4) | instskip(NEXT) | instid1(VALU_DEP_4)
	v_mul_u32_u24_e32 v24, 0x10001, v24
	v_mul_u32_u24_e32 v26, 0x10001, v26
	s_delay_alu instid0(VALU_DEP_4)
	v_mul_u32_u24_e32 v14, 0x10001, v14
	v_pk_fma_f16 v7, v19, v13, v7
	s_wait_loadcnt 0x3
	ds_store_b128 v86, v[160:163]
	s_wait_loadcnt 0x2
	ds_store_b128 v87, v[164:167]
	s_wait_loadcnt 0x1
	ds_store_b128 v88, v[168:171]
	s_wait_loadcnt 0x0
	ds_store_b128 v89, v[172:175]
	v_pk_fma_f16 v13, v112, v24, v25
	v_pk_fma_f16 v25, v112, v26, v31
	;; [unrolled: 1-line block ×11, first 2 shown]
	v_lshrrev_b32_e32 v24, 16, v124
	v_and_b32_e32 v111, 0xffff, v125
	v_mul_u32_u24_e32 v15, 0x10001, v15
	v_pk_fma_f16 v19, v112, v14, v27
	v_pk_fma_f16 v27, v113, v14, v103
	;; [unrolled: 1-line block ×13, first 2 shown]
	v_mul_u32_u24_e32 v24, 0x10001, v24
	v_mul_u32_u24_e32 v30, 0x10001, v111
	v_pk_fma_f16 v8, v112, v15, v8
	v_pk_fma_f16 v9, v113, v15, v9
	;; [unrolled: 1-line block ×7, first 2 shown]
	v_lshrrev_b32_e32 v112, 16, v125
	v_pk_fma_f16 v7, v119, v15, v7
	v_pk_fma_f16 v15, v120, v24, v19
	;; [unrolled: 1-line block ×13, first 2 shown]
	v_lshrrev_b32_e32 v24, 16, v126
	v_and_b32_e32 v14, 0xffff, v124
	v_mul_u32_u24_e32 v111, 0x10001, v112
	v_pk_fma_f16 v107, v132, v30, v110
	v_and_b32_e32 v110, 0xffff, v127
	v_lshrrev_b32_e32 v112, 16, v127
	v_mul_u32_u24_e32 v24, 0x10001, v24
	v_mul_u32_u24_e32 v14, 0x10001, v14
	v_pk_fma_f16 v8, v120, v111, v8
	v_pk_fma_f16 v9, v121, v111, v9
	;; [unrolled: 1-line block ×10, first 2 shown]
	v_mul_u32_u24_e32 v30, 0x10001, v110
	v_pk_fma_f16 v7, v135, v111, v7
	v_pk_fma_f16 v15, v136, v24, v15
	v_pk_fma_f16 v25, v137, v24, v25
	v_pk_fma_f16 v31, v138, v24, v31
	v_pk_fma_f16 v104, v139, v24, v104
	v_pk_fma_f16 v106, v140, v24, v106
	v_pk_fma_f16 v28, v141, v24, v28
	v_pk_fma_f16 v29, v142, v24, v29
	v_pk_fma_f16 v12, v143, v24, v12
	v_lshrrev_b32_e32 v24, 16, v128
	v_mul_u32_u24_e32 v110, 0x10001, v112
	v_and_b32_e32 v111, 0xffff, v129
	v_lshrrev_b32_e32 v112, 16, v129
	v_pk_fma_f16 v13, v120, v14, v13
	v_pk_fma_f16 v20, v121, v14, v20
	;; [unrolled: 1-line block ×8, first 2 shown]
	v_and_b32_e32 v18, 0xffff, v126
	v_pk_fma_f16 v19, v136, v30, v19
	v_pk_fma_f16 v27, v137, v30, v27
	;; [unrolled: 1-line block ×11, first 2 shown]
	v_mul_u32_u24_e32 v30, 0x10001, v111
	v_mul_u32_u24_e32 v111, 0x10001, v112
	;; [unrolled: 1-line block ×3, first 2 shown]
	v_pk_fma_f16 v8, v136, v110, v8
	v_pk_fma_f16 v9, v137, v110, v9
	;; [unrolled: 1-line block ×4, first 2 shown]
	v_mul_u32_u24_e32 v24, 0x10001, v24
	v_pk_fma_f16 v7, v143, v110, v7
	v_pk_fma_f16 v110, v148, v111, v4
	;; [unrolled: 1-line block ×4, first 2 shown]
	v_and_b32_e32 v4, 0xffff, v130
	v_lshrrev_b32_e32 v5, 16, v130
	v_and_b32_e32 v6, 0xffff, v131
	v_pk_fma_f16 v13, v136, v18, v13
	v_pk_fma_f16 v20, v137, v18, v20
	;; [unrolled: 1-line block ×8, first 2 shown]
	v_and_b32_e32 v18, 0xffff, v128
	v_pk_fma_f16 v15, v144, v24, v15
	v_pk_fma_f16 v19, v144, v30, v19
	;; [unrolled: 1-line block ×20, first 2 shown]
	v_mul_u32_u24_e32 v26, 0x10001, v4
	v_mul_u32_u24_e32 v30, 0x10001, v5
	v_mul_u32_u24_e32 v114, 0x10001, v6
	v_pk_fma_f16 v111, v151, v111, v7
	s_wait_dscnt 0x0
	s_barrier_signal -1
	s_barrier_wait -1
	ds_load_b128 v[4:7], v85 offset:128
	v_mul_u32_u24_e32 v18, 0x10001, v18
	v_pk_fma_f16 v116, v152, v30, v15
	v_pk_fma_f16 v120, v153, v30, v25
	;; [unrolled: 1-line block ×18, first 2 shown]
	ds_load_b128 v[12:15], v85 offset:144
	v_lshrrev_b32_e32 v18, 16, v131
	v_pk_fma_f16 v119, v153, v26, v20
	s_wait_dscnt 0x1
	v_and_b32_e32 v20, 0xffff, v4
	v_lshrrev_b32_e32 v4, 16, v4
	v_pk_fma_f16 v117, v152, v114, v19
	v_mul_u32_u24_e32 v18, 0x10001, v18
	v_pk_fma_f16 v128, v157, v26, v16
	v_pk_fma_f16 v129, v158, v26, v17
	;; [unrolled: 1-line block ×3, first 2 shown]
	v_and_b32_e32 v21, 0xffff, v5
	v_pk_fma_f16 v118, v152, v18, v8
	v_pk_fma_f16 v122, v153, v18, v9
	;; [unrolled: 1-line block ×6, first 2 shown]
	ds_load_2addr_b64 v[8:11], v100 offset1:32
	v_pk_fma_f16 v113, v158, v18, v113
	v_pk_fma_f16 v111, v159, v18, v111
	ds_load_2addr_b64 v[16:19], v100 offset0:64 offset1:96
	v_lshrrev_b32_e32 v5, 16, v5
	v_pk_fma_f16 v121, v153, v114, v27
	v_pk_fma_f16 v103, v154, v114, v103
	;; [unrolled: 1-line block ×8, first 2 shown]
	v_mul_u32_u24_e32 v131, 0x10001, v20
	v_mul_u32_u24_e32 v4, 0x10001, v4
	v_mul_u32_u24_e32 v132, 0x10001, v21
	v_mul_u32_u24_e32 v133, 0x10001, v5
	v_pk_fma_f16 v114, v159, v114, v24
	ds_load_b128 v[20:23], v85 offset:160
	ds_load_b128 v[24:27], v85 offset:176
	v_add_nc_u64_e32 v[156:157], s[26:27], v[48:49]
	s_wait_dscnt 0x3
	v_pk_fma_f16 v115, v8, v131, v115
	v_pk_fma_f16 v116, v8, v4, v116
	;; [unrolled: 1-line block ×16, first 2 shown]
	s_wait_dscnt 0x2
	v_pk_fma_f16 v127, v16, v131, v127
	v_pk_fma_f16 v106, v16, v4, v106
	v_pk_fma_f16 v107, v16, v132, v107
	v_pk_fma_f16 v16, v16, v133, v110
	v_pk_fma_f16 v110, v17, v131, v128
	v_pk_fma_f16 v28, v17, v4, v28
	ds_load_2addr_b64 v[8:11], v100 offset0:128 offset1:160
	v_pk_fma_f16 v108, v17, v132, v108
	v_pk_fma_f16 v17, v17, v133, v112
	;; [unrolled: 1-line block ×8, first 2 shown]
	v_and_b32_e32 v128, 0xffff, v6
	v_lshrrev_b32_e32 v129, 16, v6
	v_and_b32_e32 v130, 0xffff, v7
	v_lshrrev_b32_e32 v131, 16, v7
	ds_load_2addr_b64 v[4:7], v100 offset0:192 offset1:224
	v_mul_u32_u24_e32 v128, 0x10001, v128
	v_mul_u32_u24_e32 v129, 0x10001, v129
	;; [unrolled: 1-line block ×4, first 2 shown]
	v_pk_fma_f16 v114, v19, v132, v114
	v_pk_fma_f16 v111, v19, v133, v111
	s_wait_dscnt 0x1
	v_pk_fma_f16 v115, v8, v128, v115
	v_pk_fma_f16 v116, v8, v129, v116
	;; [unrolled: 1-line block ×16, first 2 shown]
	s_wait_dscnt 0x0
	v_pk_fma_f16 v127, v4, v128, v127
	v_pk_fma_f16 v106, v4, v129, v106
	;; [unrolled: 1-line block ×4, first 2 shown]
	ds_load_2addr_b64 v[8:11], v97 offset1:32
	v_pk_fma_f16 v132, v5, v131, v17
	v_pk_fma_f16 v133, v6, v131, v18
	ds_load_2addr_b64 v[16:19], v97 offset0:64 offset1:96
	v_pk_fma_f16 v110, v5, v128, v110
	v_pk_fma_f16 v28, v5, v129, v28
	;; [unrolled: 1-line block ×6, first 2 shown]
	v_and_b32_e32 v5, 0xffff, v12
	v_lshrrev_b32_e32 v6, 16, v12
	v_and_b32_e32 v12, 0xffff, v13
	v_pk_fma_f16 v114, v7, v130, v114
	v_lshrrev_b32_e32 v13, 16, v13
	v_pk_fma_f16 v113, v7, v128, v113
	v_pk_fma_f16 v30, v7, v129, v30
	v_mul_u32_u24_e32 v12, 0x10001, v12
	v_mul_u32_u24_e32 v128, 0x10001, v5
	;; [unrolled: 1-line block ×3, first 2 shown]
	v_pk_fma_f16 v111, v7, v131, v111
	v_add_nc_u64_e32 v[160:161], s[26:27], v[50:51]
	s_wait_dscnt 0x1
	v_pk_fma_f16 v117, v8, v12, v117
	v_pk_fma_f16 v121, v9, v12, v121
	;; [unrolled: 1-line block ×4, first 2 shown]
	s_wait_dscnt 0x0
	v_pk_fma_f16 v107, v16, v12, v107
	v_pk_fma_f16 v108, v17, v12, v108
	v_pk_fma_f16 v109, v18, v12, v109
	v_pk_fma_f16 v12, v19, v12, v114
	v_and_b32_e32 v114, 0xffff, v14
	v_lshrrev_b32_e32 v14, 16, v14
	v_mul_u32_u24_e32 v13, 0x10001, v13
	v_pk_fma_f16 v115, v8, v128, v115
	v_pk_fma_f16 v116, v8, v129, v116
	;; [unrolled: 1-line block ×15, first 2 shown]
	ds_load_2addr_b64 v[4:7], v97 offset0:128 offset1:160
	ds_load_2addr_b64 v[8:11], v97 offset0:192 offset1:224
	v_pk_fma_f16 v110, v17, v128, v110
	v_pk_fma_f16 v112, v18, v128, v112
	;; [unrolled: 1-line block ×3, first 2 shown]
	v_and_b32_e32 v128, 0xffff, v15
	v_lshrrev_b32_e32 v15, 16, v15
	v_pk_fma_f16 v28, v17, v129, v28
	v_pk_fma_f16 v29, v18, v129, v29
	;; [unrolled: 1-line block ×3, first 2 shown]
	v_mul_u32_u24_e32 v114, 0x10001, v114
	v_mul_u32_u24_e32 v14, 0x10001, v14
	;; [unrolled: 1-line block ×4, first 2 shown]
	v_pk_fma_f16 v17, v17, v13, v132
	v_pk_fma_f16 v18, v18, v13, v133
	;; [unrolled: 1-line block ×3, first 2 shown]
	v_add_nc_u64_e32 v[176:177], v[156:157], v[36:37]
	v_add_nc_u64_e32 v[178:179], v[160:161], v[36:37]
	s_or_b32 s26, s4, 48
	s_wait_dscnt 0x1
	v_pk_fma_f16 v111, v4, v114, v115
	v_pk_fma_f16 v115, v4, v14, v116
	;; [unrolled: 1-line block ×16, first 2 shown]
	s_wait_dscnt 0x0
	v_pk_fma_f16 v126, v8, v114, v127
	v_pk_fma_f16 v106, v8, v14, v106
	;; [unrolled: 1-line block ×6, first 2 shown]
	ds_load_2addr_b64 v[4:7], v98 offset1:32
	v_pk_fma_f16 v29, v10, v14, v29
	v_pk_fma_f16 v30, v11, v14, v30
	v_pk_fma_f16 v110, v11, v128, v12
	ds_load_2addr_b64 v[12:15], v98 offset0:64 offset1:96
	v_pk_fma_f16 v108, v9, v128, v108
	v_pk_fma_f16 v9, v9, v129, v17
	;; [unrolled: 1-line block ×6, first 2 shown]
	v_and_b32_e32 v112, 0xffff, v20
	v_lshrrev_b32_e32 v20, 16, v20
	v_and_b32_e32 v113, 0xffff, v21
	v_lshrrev_b32_e32 v21, 16, v21
	v_pk_fma_f16 v19, v11, v129, v19
	v_mul_u32_u24_e32 v112, 0x10001, v112
	v_mul_u32_u24_e32 v20, 0x10001, v20
	;; [unrolled: 1-line block ×4, first 2 shown]
	s_ashr_i32 s27, s26, 31
	s_wait_dscnt 0x1
	v_pk_fma_f16 v111, v4, v112, v111
	v_pk_fma_f16 v114, v4, v20, v115
	;; [unrolled: 1-line block ×16, first 2 shown]
	s_wait_dscnt 0x0
	v_pk_fma_f16 v125, v12, v112, v126
	v_pk_fma_f16 v106, v12, v20, v106
	;; [unrolled: 1-line block ×6, first 2 shown]
	ds_load_2addr_b64 v[4:7], v98 offset0:128 offset1:160
	v_pk_fma_f16 v108, v13, v113, v108
	v_pk_fma_f16 v13, v13, v21, v9
	;; [unrolled: 1-line block ×6, first 2 shown]
	ds_load_2addr_b64 v[8:11], v98 offset0:192 offset1:224
	v_pk_fma_f16 v18, v15, v112, v18
	v_pk_fma_f16 v20, v15, v20, v30
	;; [unrolled: 1-line block ×3, first 2 shown]
	v_and_b32_e32 v110, 0xffff, v22
	v_lshrrev_b32_e32 v22, 16, v22
	v_and_b32_e32 v112, 0xffff, v23
	v_lshrrev_b32_e32 v23, 16, v23
	v_pk_fma_f16 v19, v15, v21, v19
	v_mul_u32_u24_e32 v110, 0x10001, v110
	v_mul_u32_u24_e32 v22, 0x10001, v22
	;; [unrolled: 1-line block ×4, first 2 shown]
	s_mul_u64 s[26:27], s[26:27], s[14:15]
	s_wait_dscnt 0x1
	v_pk_fma_f16 v21, v4, v110, v111
	v_pk_fma_f16 v111, v4, v22, v114
	;; [unrolled: 1-line block ×16, first 2 shown]
	s_wait_dscnt 0x0
	v_pk_fma_f16 v123, v8, v110, v125
	v_pk_fma_f16 v106, v8, v22, v106
	;; [unrolled: 1-line block ×4, first 2 shown]
	ds_load_2addr_b64 v[4:7], v99 offset1:32
	v_pk_fma_f16 v124, v9, v23, v13
	v_pk_fma_f16 v125, v10, v23, v14
	ds_load_2addr_b64 v[12:15], v99 offset0:64 offset1:96
	v_pk_fma_f16 v16, v9, v110, v16
	v_pk_fma_f16 v28, v9, v22, v28
	v_pk_fma_f16 v108, v9, v112, v108
	v_pk_fma_f16 v17, v10, v110, v17
	v_pk_fma_f16 v29, v10, v22, v29
	v_pk_fma_f16 v109, v10, v112, v109
	v_and_b32_e32 v9, 0xffff, v24
	v_lshrrev_b32_e32 v10, 16, v24
	v_and_b32_e32 v24, 0xffff, v25
	v_lshrrev_b32_e32 v25, 16, v25
	v_pk_fma_f16 v18, v11, v110, v18
	v_pk_fma_f16 v20, v11, v22, v20
	;; [unrolled: 1-line block ×3, first 2 shown]
	v_mul_u32_u24_e32 v30, 0x10001, v9
	v_mul_u32_u24_e32 v110, 0x10001, v10
	;; [unrolled: 1-line block ×4, first 2 shown]
	v_pk_fma_f16 v19, v11, v23, v19
	s_wait_dscnt 0x1
	v_pk_fma_f16 v21, v4, v30, v21
	v_pk_fma_f16 v23, v4, v110, v111
	;; [unrolled: 1-line block ×16, first 2 shown]
	s_wait_dscnt 0x0
	v_pk_fma_f16 v180, v12, v25, v8
	ds_load_2addr_b64 v[8:11], v99 offset0:128 offset1:160
	ds_load_2addr_b64 v[4:7], v99 offset0:192 offset1:224
	v_pk_fma_f16 v121, v12, v30, v123
	v_pk_fma_f16 v106, v12, v110, v106
	;; [unrolled: 1-line block ×11, first 2 shown]
	v_and_b32_e32 v12, 0xffff, v26
	v_lshrrev_b32_e32 v13, 16, v26
	v_and_b32_e32 v14, 0xffff, v27
	v_lshrrev_b32_e32 v16, 16, v27
	v_pk_fma_f16 v189, v15, v30, v18
	v_mul_u32_u24_e32 v192, 0x10001, v12
	v_mul_u32_u24_e32 v193, 0x10001, v13
	;; [unrolled: 1-line block ×4, first 2 shown]
	v_pk_fma_f16 v190, v15, v110, v20
	v_pk_fma_f16 v191, v15, v24, v22
	;; [unrolled: 1-line block ×3, first 2 shown]
	s_wait_dscnt 0x1
	v_pk_fma_f16 v197, v8, v192, v21
	v_pk_fma_f16 v198, v8, v193, v23
	v_pk_fma_f16 v199, v8, v194, v111
	v_pk_fma_f16 v200, v8, v195, v112
	v_pk_fma_f16 v201, v9, v192, v113
	v_pk_fma_f16 v202, v9, v193, v114
	v_pk_fma_f16 v203, v9, v194, v115
	v_pk_fma_f16 v204, v9, v195, v116
	v_pk_fma_f16 v205, v10, v192, v117
	v_pk_fma_f16 v206, v10, v193, v31
	v_pk_fma_f16 v103, v10, v194, v103
	v_pk_fma_f16 v207, v10, v195, v118
	v_pk_fma_f16 v208, v11, v192, v119
	v_pk_fma_f16 v209, v11, v193, v104
	v_pk_fma_f16 v210, v11, v194, v105
	v_pk_fma_f16 v211, v11, v195, v120
	s_wait_dscnt 0x0
	v_pk_fma_f16 v212, v4, v192, v121
	v_pk_fma_f16 v213, v4, v193, v106
	;; [unrolled: 1-line block ×3, first 2 shown]
	ds_load_2addr_b64 v[12:15], v95 offset1:32
	ds_load_b128 v[8:11], v85 offset:192
	ds_load_b128 v[16:19], v85 offset:208
	ds_load_2addr_b64 v[20:23], v95 offset0:64 offset1:96
	ds_load_2addr_b64 v[104:107], v95 offset0:128 offset1:160
	;; [unrolled: 1-line block ×3, first 2 shown]
	ds_load_2addr_b64 v[108:111], v101 offset1:32
	ds_load_2addr_b64 v[28:31], v101 offset0:64 offset1:96
	ds_load_2addr_b64 v[112:115], v101 offset0:128 offset1:160
	;; [unrolled: 1-line block ×3, first 2 shown]
	ds_load_2addr_b64 v[120:123], v96 offset1:32
	ds_load_b128 v[124:127], v85 offset:224
	ds_load_b128 v[128:131], v85 offset:240
	ds_load_2addr_b64 v[132:135], v96 offset0:64 offset1:96
	ds_load_2addr_b64 v[136:139], v96 offset0:128 offset1:160
	;; [unrolled: 1-line block ×3, first 2 shown]
	ds_load_2addr_b64 v[144:147], v102 offset1:32
	ds_load_2addr_b64 v[148:151], v102 offset0:64 offset1:96
	ds_load_2addr_b64 v[152:155], v102 offset0:128 offset1:160
	;; [unrolled: 1-line block ×3, first 2 shown]
	s_wait_dscnt 0x0
	s_barrier_signal -1
	s_barrier_wait -1
	s_clause 0x3
	global_load_b128 v[160:163], v[176:177], off
	global_load_b128 v[164:167], v[176:177], off offset:512
	global_load_b128 v[168:171], v[178:179], off
	global_load_b128 v[172:175], v[178:179], off offset:512
	s_wait_xcnt 0x2
	v_pk_fma_f16 v176, v5, v192, v181
	v_pk_fma_f16 v177, v5, v193, v182
	s_wait_xcnt 0x0
	v_pk_fma_f16 v178, v5, v194, v183
	v_pk_fma_f16 v5, v5, v195, v184
	;; [unrolled: 1-line block ×3, first 2 shown]
	v_and_b32_e32 v184, 0xffff, v8
	v_lshrrev_b32_e32 v8, 16, v8
	v_and_b32_e32 v185, 0xffff, v9
	v_lshrrev_b32_e32 v9, 16, v9
	v_pk_fma_f16 v4, v4, v195, v180
	v_pk_fma_f16 v180, v6, v193, v186
	;; [unrolled: 1-line block ×3, first 2 shown]
	v_mul_u32_u24_e32 v184, 0x10001, v184
	v_mul_u32_u24_e32 v8, 0x10001, v8
	;; [unrolled: 1-line block ×4, first 2 shown]
	v_pk_fma_f16 v6, v6, v195, v188
	v_pk_fma_f16 v182, v7, v192, v189
	;; [unrolled: 1-line block ×18, first 2 shown]
	v_and_b32_e32 v180, 0xffff, v10
	v_lshrrev_b32_e32 v10, 16, v10
	v_and_b32_e32 v181, 0xffff, v11
	v_lshrrev_b32_e32 v11, 16, v11
	v_pk_fma_f16 v186, v7, v194, v191
	v_pk_fma_f16 v7, v7, v195, v196
	;; [unrolled: 1-line block ×16, first 2 shown]
	v_mul_u32_u24_e32 v180, 0x10001, v180
	v_mul_u32_u24_e32 v10, 0x10001, v10
	;; [unrolled: 1-line block ×4, first 2 shown]
	v_pk_fma_f16 v22, v23, v184, v182
	v_pk_fma_f16 v182, v23, v185, v186
	;; [unrolled: 1-line block ×32, first 2 shown]
	v_and_b32_e32 v10, 0xffff, v16
	v_lshrrev_b32_e32 v16, 16, v16
	v_and_b32_e32 v26, 0xffff, v17
	v_lshrrev_b32_e32 v17, 16, v17
	v_pk_fma_f16 v22, v27, v180, v22
	v_mul_u32_u24_e32 v10, 0x10001, v10
	v_mul_u32_u24_e32 v16, 0x10001, v16
	;; [unrolled: 1-line block ×4, first 2 shown]
	v_pk_fma_f16 v178, v27, v181, v182
	v_pk_fma_f16 v7, v27, v11, v7
	;; [unrolled: 1-line block ×26, first 2 shown]
	v_and_b32_e32 v16, 0xffff, v18
	v_lshrrev_b32_e32 v18, 16, v18
	v_and_b32_e32 v22, 0xffff, v19
	v_pk_fma_f16 v180, v28, v26, v190
	v_pk_fma_f16 v4, v28, v17, v4
	v_mul_u32_u24_e32 v16, 0x10001, v16
	v_mul_u32_u24_e32 v18, 0x10001, v18
	;; [unrolled: 1-line block ×3, first 2 shown]
	v_pk_fma_f16 v28, v29, v26, v176
	v_pk_fma_f16 v5, v29, v17, v5
	;; [unrolled: 1-line block ×4, first 2 shown]
	v_lshrrev_b32_e32 v19, 16, v19
	v_pk_fma_f16 v26, v31, v26, v178
	v_pk_fma_f16 v7, v31, v17, v7
	;; [unrolled: 1-line block ×19, first 2 shown]
	v_and_b32_e32 v16, 0xffff, v124
	v_lshrrev_b32_e32 v18, 16, v124
	v_and_b32_e32 v111, 0xffff, v125
	v_mul_u32_u24_e32 v19, 0x10001, v19
	v_pk_fma_f16 v30, v113, v22, v108
	v_pk_fma_f16 v103, v114, v22, v103
	;; [unrolled: 1-line block ×7, first 2 shown]
	v_mul_u32_u24_e32 v16, 0x10001, v16
	v_mul_u32_u24_e32 v18, 0x10001, v18
	;; [unrolled: 1-line block ×3, first 2 shown]
	v_pk_fma_f16 v12, v112, v19, v12
	v_pk_fma_f16 v13, v113, v19, v13
	v_pk_fma_f16 v14, v114, v19, v14
	v_pk_fma_f16 v15, v115, v19, v15
	v_pk_fma_f16 v4, v116, v19, v4
	v_pk_fma_f16 v5, v117, v19, v5
	v_pk_fma_f16 v6, v118, v19, v6
	v_lshrrev_b32_e32 v112, 16, v125
	v_pk_fma_f16 v7, v119, v19, v7
	v_pk_fma_f16 v11, v120, v18, v11
	;; [unrolled: 1-line block ×14, first 2 shown]
	v_lshrrev_b32_e32 v18, 16, v126
	v_mul_u32_u24_e32 v111, 0x10001, v112
	v_pk_fma_f16 v109, v132, v26, v110
	v_and_b32_e32 v110, 0xffff, v127
	v_lshrrev_b32_e32 v112, 16, v127
	v_mul_u32_u24_e32 v18, 0x10001, v18
	v_pk_fma_f16 v9, v120, v16, v9
	v_pk_fma_f16 v17, v120, v26, v17
	;; [unrolled: 1-line block ×16, first 2 shown]
	v_and_b32_e32 v16, 0xffff, v126
	v_pk_fma_f16 v22, v135, v26, v22
	v_mul_u32_u24_e32 v26, 0x10001, v110
	v_pk_fma_f16 v7, v135, v111, v7
	v_pk_fma_f16 v11, v136, v18, v11
	v_pk_fma_f16 v23, v137, v18, v23
	v_pk_fma_f16 v31, v138, v18, v31
	v_pk_fma_f16 v105, v139, v18, v105
	v_pk_fma_f16 v108, v140, v18, v108
	v_pk_fma_f16 v24, v141, v18, v24
	v_pk_fma_f16 v25, v142, v18, v25
	v_pk_fma_f16 v8, v143, v18, v8
	v_lshrrev_b32_e32 v18, 16, v128
	v_mul_u32_u24_e32 v110, 0x10001, v112
	v_and_b32_e32 v111, 0xffff, v129
	v_lshrrev_b32_e32 v112, 16, v129
	v_mul_u32_u24_e32 v16, 0x10001, v16
	v_pk_fma_f16 v17, v136, v26, v17
	v_pk_fma_f16 v27, v137, v26, v27
	;; [unrolled: 1-line block ×11, first 2 shown]
	v_mul_u32_u24_e32 v26, 0x10001, v111
	v_mul_u32_u24_e32 v111, 0x10001, v112
	v_pk_fma_f16 v9, v136, v16, v9
	v_pk_fma_f16 v12, v136, v110, v12
	;; [unrolled: 1-line block ×12, first 2 shown]
	v_and_b32_e32 v16, 0xffff, v128
	v_pk_fma_f16 v7, v143, v110, v7
	v_pk_fma_f16 v110, v148, v111, v4
	;; [unrolled: 1-line block ×4, first 2 shown]
	v_and_b32_e32 v4, 0xffff, v130
	v_lshrrev_b32_e32 v5, 16, v130
	v_and_b32_e32 v6, 0xffff, v131
	v_mul_u32_u24_e32 v16, 0x10001, v16
	v_mul_u32_u24_e32 v18, 0x10001, v18
	v_pk_fma_f16 v17, v144, v26, v17
	v_pk_fma_f16 v12, v144, v111, v12
	v_pk_fma_f16 v27, v145, v26, v27
	v_pk_fma_f16 v13, v145, v111, v13
	v_pk_fma_f16 v103, v146, v26, v103
	v_pk_fma_f16 v14, v146, v111, v14
	v_pk_fma_f16 v106, v147, v26, v106
	v_pk_fma_f16 v15, v147, v111, v15
	v_pk_fma_f16 v109, v148, v26, v109
	v_pk_fma_f16 v28, v149, v26, v28
	v_pk_fma_f16 v29, v150, v26, v29
	v_pk_fma_f16 v22, v151, v26, v22
	v_mul_u32_u24_e32 v26, 0x10001, v4
	v_mul_u32_u24_e32 v114, 0x10001, v5
	;; [unrolled: 1-line block ×3, first 2 shown]
	v_pk_fma_f16 v111, v151, v111, v7
	s_wait_loadcnt 0x3
	ds_store_b128 v86, v[160:163]
	s_wait_loadcnt 0x2
	ds_store_b128 v87, v[164:167]
	;; [unrolled: 2-line block ×4, first 2 shown]
	s_wait_dscnt 0x0
	s_barrier_signal -1
	s_barrier_wait -1
	ds_load_b128 v[4:7], v85 offset:256
	v_pk_fma_f16 v9, v144, v16, v9
	v_pk_fma_f16 v11, v144, v18, v11
	;; [unrolled: 1-line block ×16, first 2 shown]
	v_lshrrev_b32_e32 v8, 16, v131
	v_pk_fma_f16 v117, v152, v26, v9
	v_pk_fma_f16 v118, v152, v114, v11
	;; [unrolled: 1-line block ×4, first 2 shown]
	v_mul_u32_u24_e32 v116, 0x10001, v8
	v_pk_fma_f16 v122, v153, v114, v23
	v_pk_fma_f16 v31, v154, v114, v31
	;; [unrolled: 1-line block ×5, first 2 shown]
	ds_load_2addr_b64 v[8:11], v100 offset1:32
	v_pk_fma_f16 v130, v158, v114, v25
	v_pk_fma_f16 v131, v159, v26, v16
	;; [unrolled: 1-line block ×3, first 2 shown]
	ds_load_2addr_b64 v[16:19], v100 offset0:64 offset1:96
	v_pk_fma_f16 v120, v152, v116, v12
	v_pk_fma_f16 v124, v153, v116, v13
	;; [unrolled: 1-line block ×6, first 2 shown]
	ds_load_b128 v[12:15], v85 offset:272
	s_wait_dscnt 0x3
	v_and_b32_e32 v20, 0xffff, v4
	v_lshrrev_b32_e32 v4, 16, v4
	v_and_b32_e32 v21, 0xffff, v5
	v_lshrrev_b32_e32 v5, 16, v5
	v_pk_fma_f16 v123, v153, v115, v27
	v_pk_fma_f16 v30, v154, v26, v30
	;; [unrolled: 1-line block ×13, first 2 shown]
	v_mul_u32_u24_e32 v116, 0x10001, v20
	v_mul_u32_u24_e32 v4, 0x10001, v4
	;; [unrolled: 1-line block ×4, first 2 shown]
	v_pk_fma_f16 v115, v159, v115, v22
	ds_load_b128 v[20:23], v85 offset:288
	ds_load_b128 v[24:27], v85 offset:304
	s_wait_dscnt 0x4
	v_pk_fma_f16 v117, v8, v116, v117
	v_pk_fma_f16 v118, v8, v4, v118
	;; [unrolled: 1-line block ×16, first 2 shown]
	s_wait_dscnt 0x3
	v_pk_fma_f16 v107, v16, v116, v107
	v_pk_fma_f16 v108, v16, v4, v108
	;; [unrolled: 1-line block ×6, first 2 shown]
	ds_load_2addr_b64 v[8:11], v100 offset0:128 offset1:160
	v_pk_fma_f16 v28, v17, v132, v28
	v_pk_fma_f16 v17, v17, v133, v112
	;; [unrolled: 1-line block ×8, first 2 shown]
	v_and_b32_e32 v116, 0xffff, v6
	v_lshrrev_b32_e32 v129, 16, v6
	v_and_b32_e32 v130, 0xffff, v7
	v_lshrrev_b32_e32 v131, 16, v7
	ds_load_2addr_b64 v[4:7], v100 offset0:192 offset1:224
	v_mul_u32_u24_e32 v116, 0x10001, v116
	v_mul_u32_u24_e32 v129, 0x10001, v129
	;; [unrolled: 1-line block ×4, first 2 shown]
	v_pk_fma_f16 v115, v19, v132, v115
	v_pk_fma_f16 v111, v19, v133, v111
	s_wait_dscnt 0x1
	v_pk_fma_f16 v117, v8, v116, v117
	v_pk_fma_f16 v118, v8, v129, v118
	;; [unrolled: 1-line block ×16, first 2 shown]
	s_wait_dscnt 0x0
	v_pk_fma_f16 v107, v4, v116, v107
	v_pk_fma_f16 v108, v4, v129, v108
	;; [unrolled: 1-line block ×4, first 2 shown]
	ds_load_2addr_b64 v[8:11], v97 offset1:32
	v_pk_fma_f16 v132, v5, v131, v17
	v_pk_fma_f16 v133, v6, v131, v18
	ds_load_2addr_b64 v[16:19], v97 offset0:64 offset1:96
	v_pk_fma_f16 v110, v5, v116, v110
	v_pk_fma_f16 v127, v5, v129, v127
	v_pk_fma_f16 v28, v5, v130, v28
	v_pk_fma_f16 v112, v6, v116, v112
	v_pk_fma_f16 v128, v6, v129, v128
	v_pk_fma_f16 v29, v6, v130, v29
	v_and_b32_e32 v5, 0xffff, v12
	v_lshrrev_b32_e32 v6, 16, v12
	v_and_b32_e32 v12, 0xffff, v13
	v_pk_fma_f16 v115, v7, v130, v115
	v_lshrrev_b32_e32 v13, 16, v13
	v_pk_fma_f16 v113, v7, v116, v113
	v_pk_fma_f16 v114, v7, v129, v114
	v_mul_u32_u24_e32 v12, 0x10001, v12
	v_mul_u32_u24_e32 v116, 0x10001, v5
	v_mul_u32_u24_e32 v129, 0x10001, v6
	v_pk_fma_f16 v111, v7, v131, v111
	s_lshl_b64 s[26:27], s[26:27], 2
	s_wait_dscnt 0x1
	v_pk_fma_f16 v119, v8, v12, v119
	v_pk_fma_f16 v123, v9, v12, v123
	v_pk_fma_f16 v103, v10, v12, v103
	v_pk_fma_f16 v106, v11, v12, v106
	s_wait_dscnt 0x0
	v_pk_fma_f16 v109, v16, v12, v109
	v_pk_fma_f16 v28, v17, v12, v28
	;; [unrolled: 1-line block ×4, first 2 shown]
	v_and_b32_e32 v115, 0xffff, v14
	v_lshrrev_b32_e32 v14, 16, v14
	v_mul_u32_u24_e32 v13, 0x10001, v13
	v_pk_fma_f16 v117, v8, v116, v117
	v_pk_fma_f16 v118, v8, v129, v118
	;; [unrolled: 1-line block ×15, first 2 shown]
	ds_load_2addr_b64 v[4:7], v97 offset0:128 offset1:160
	ds_load_2addr_b64 v[8:11], v97 offset0:192 offset1:224
	v_pk_fma_f16 v110, v17, v116, v110
	v_pk_fma_f16 v112, v18, v116, v112
	;; [unrolled: 1-line block ×3, first 2 shown]
	v_and_b32_e32 v116, 0xffff, v15
	v_lshrrev_b32_e32 v15, 16, v15
	v_pk_fma_f16 v127, v17, v129, v127
	v_pk_fma_f16 v17, v17, v13, v132
	;; [unrolled: 1-line block ×5, first 2 shown]
	v_mul_u32_u24_e32 v115, 0x10001, v115
	v_mul_u32_u24_e32 v14, 0x10001, v14
	;; [unrolled: 1-line block ×4, first 2 shown]
	v_pk_fma_f16 v19, v19, v13, v111
	s_add_nc_u64 s[26:27], s[8:9], s[26:27]
	s_delay_alu instid0(SALU_CYCLE_1)
	v_add_nc_u64_e32 v[156:157], s[26:27], v[48:49]
	s_wait_dscnt 0x1
	v_pk_fma_f16 v111, v4, v115, v117
	v_pk_fma_f16 v117, v4, v14, v118
	;; [unrolled: 1-line block ×16, first 2 shown]
	s_wait_dscnt 0x0
	v_pk_fma_f16 v107, v8, v115, v107
	v_pk_fma_f16 v108, v8, v14, v108
	;; [unrolled: 1-line block ×6, first 2 shown]
	ds_load_2addr_b64 v[4:7], v98 offset1:32
	v_pk_fma_f16 v28, v9, v116, v28
	v_pk_fma_f16 v9, v9, v129, v17
	;; [unrolled: 1-line block ×9, first 2 shown]
	ds_load_2addr_b64 v[12:15], v98 offset0:64 offset1:96
	v_and_b32_e32 v115, 0xffff, v20
	v_lshrrev_b32_e32 v20, 16, v20
	v_and_b32_e32 v116, 0xffff, v21
	v_lshrrev_b32_e32 v21, 16, v21
	v_pk_fma_f16 v19, v11, v129, v19
	v_mul_u32_u24_e32 v115, 0x10001, v115
	v_mul_u32_u24_e32 v20, 0x10001, v20
	;; [unrolled: 1-line block ×3, first 2 shown]
	v_add_nc_u64_e32 v[160:161], s[26:27], v[50:51]
	v_add_nc_u64_e32 v[176:177], v[156:157], v[36:37]
	s_wait_dscnt 0x1
	v_pk_fma_f16 v111, v4, v115, v111
	v_pk_fma_f16 v117, v4, v20, v117
	;; [unrolled: 1-line block ×9, first 2 shown]
	s_wait_dscnt 0x0
	v_pk_fma_f16 v108, v12, v20, v108
	v_pk_fma_f16 v110, v13, v20, v110
	;; [unrolled: 1-line block ×5, first 2 shown]
	v_and_b32_e32 v114, 0xffff, v22
	v_lshrrev_b32_e32 v22, 16, v22
	v_mul_u32_u24_e32 v21, 0x10001, v21
	v_pk_fma_f16 v103, v6, v116, v103
	v_pk_fma_f16 v104, v7, v115, v104
	;; [unrolled: 1-line block ×11, first 2 shown]
	ds_load_2addr_b64 v[4:7], v98 offset0:128 offset1:160
	v_pk_fma_f16 v28, v13, v116, v28
	v_pk_fma_f16 v13, v13, v21, v9
	v_pk_fma_f16 v17, v14, v115, v17
	v_pk_fma_f16 v29, v14, v116, v29
	v_pk_fma_f16 v14, v14, v21, v10
	ds_load_2addr_b64 v[8:11], v98 offset0:192 offset1:224
	v_pk_fma_f16 v18, v15, v115, v18
	v_and_b32_e32 v115, 0xffff, v23
	v_lshrrev_b32_e32 v23, 16, v23
	v_mul_u32_u24_e32 v114, 0x10001, v114
	v_mul_u32_u24_e32 v22, 0x10001, v22
	v_pk_fma_f16 v19, v15, v21, v19
	v_mul_u32_u24_e32 v115, 0x10001, v115
	v_mul_u32_u24_e32 v23, 0x10001, v23
	v_add_nc_u64_e32 v[178:179], v[160:161], v[36:37]
	s_or_b32 s26, s4, 64
	s_delay_alu instid0(SALU_CYCLE_1)
	s_ashr_i32 s27, s26, 31
	s_wait_dscnt 0x1
	v_pk_fma_f16 v21, v4, v114, v111
	v_pk_fma_f16 v111, v4, v22, v117
	;; [unrolled: 1-line block ×16, first 2 shown]
	s_wait_dscnt 0x0
	v_pk_fma_f16 v107, v8, v114, v107
	v_pk_fma_f16 v108, v8, v22, v108
	;; [unrolled: 1-line block ×4, first 2 shown]
	ds_load_2addr_b64 v[4:7], v99 offset1:32
	v_pk_fma_f16 v124, v9, v23, v13
	v_pk_fma_f16 v125, v10, v23, v14
	ds_load_2addr_b64 v[12:15], v99 offset0:64 offset1:96
	v_pk_fma_f16 v16, v9, v114, v16
	v_pk_fma_f16 v110, v9, v22, v110
	;; [unrolled: 1-line block ×6, first 2 shown]
	v_and_b32_e32 v9, 0xffff, v24
	v_lshrrev_b32_e32 v10, 16, v24
	v_and_b32_e32 v24, 0xffff, v25
	v_lshrrev_b32_e32 v25, 16, v25
	v_pk_fma_f16 v18, v11, v114, v18
	v_pk_fma_f16 v20, v11, v22, v20
	v_pk_fma_f16 v22, v11, v115, v113
	v_mul_u32_u24_e32 v113, 0x10001, v9
	v_mul_u32_u24_e32 v114, 0x10001, v10
	;; [unrolled: 1-line block ×4, first 2 shown]
	v_pk_fma_f16 v19, v11, v23, v19
	s_wait_dscnt 0x1
	v_pk_fma_f16 v21, v4, v113, v21
	v_pk_fma_f16 v23, v4, v114, v111
	;; [unrolled: 1-line block ×16, first 2 shown]
	s_wait_dscnt 0x0
	v_pk_fma_f16 v180, v12, v25, v8
	ds_load_2addr_b64 v[8:11], v99 offset0:128 offset1:160
	ds_load_2addr_b64 v[4:7], v99 offset0:192 offset1:224
	v_pk_fma_f16 v107, v12, v113, v107
	v_pk_fma_f16 v108, v12, v114, v108
	v_pk_fma_f16 v109, v12, v24, v109
	v_pk_fma_f16 v181, v13, v113, v16
	v_pk_fma_f16 v182, v13, v114, v110
	v_pk_fma_f16 v183, v13, v24, v28
	v_pk_fma_f16 v184, v13, v25, v124
	v_pk_fma_f16 v185, v14, v113, v17
	v_pk_fma_f16 v186, v14, v114, v112
	v_pk_fma_f16 v187, v14, v24, v29
	v_pk_fma_f16 v188, v14, v25, v125
	v_and_b32_e32 v12, 0xffff, v26
	v_lshrrev_b32_e32 v13, 16, v26
	v_and_b32_e32 v14, 0xffff, v27
	v_lshrrev_b32_e32 v16, 16, v27
	v_pk_fma_f16 v189, v15, v113, v18
	v_mul_u32_u24_e32 v192, 0x10001, v12
	v_mul_u32_u24_e32 v193, 0x10001, v13
	;; [unrolled: 1-line block ×4, first 2 shown]
	v_pk_fma_f16 v190, v15, v114, v20
	v_pk_fma_f16 v191, v15, v24, v22
	;; [unrolled: 1-line block ×3, first 2 shown]
	s_wait_dscnt 0x1
	v_pk_fma_f16 v197, v8, v192, v21
	v_pk_fma_f16 v198, v8, v193, v23
	;; [unrolled: 1-line block ×16, first 2 shown]
	s_wait_dscnt 0x0
	v_pk_fma_f16 v212, v4, v192, v107
	v_pk_fma_f16 v213, v4, v193, v108
	;; [unrolled: 1-line block ×3, first 2 shown]
	ds_load_2addr_b64 v[12:15], v95 offset1:32
	ds_load_b128 v[8:11], v85 offset:320
	ds_load_b128 v[16:19], v85 offset:336
	ds_load_2addr_b64 v[20:23], v95 offset0:64 offset1:96
	ds_load_2addr_b64 v[104:107], v95 offset0:128 offset1:160
	ds_load_2addr_b64 v[24:27], v95 offset0:192 offset1:224
	ds_load_2addr_b64 v[108:111], v101 offset1:32
	ds_load_2addr_b64 v[28:31], v101 offset0:64 offset1:96
	ds_load_2addr_b64 v[112:115], v101 offset0:128 offset1:160
	;; [unrolled: 1-line block ×3, first 2 shown]
	ds_load_2addr_b64 v[120:123], v96 offset1:32
	ds_load_b128 v[124:127], v85 offset:352
	ds_load_b128 v[128:131], v85 offset:368
	ds_load_2addr_b64 v[132:135], v96 offset0:64 offset1:96
	ds_load_2addr_b64 v[136:139], v96 offset0:128 offset1:160
	;; [unrolled: 1-line block ×3, first 2 shown]
	ds_load_2addr_b64 v[144:147], v102 offset1:32
	ds_load_2addr_b64 v[148:151], v102 offset0:64 offset1:96
	ds_load_2addr_b64 v[152:155], v102 offset0:128 offset1:160
	;; [unrolled: 1-line block ×3, first 2 shown]
	s_wait_dscnt 0x0
	s_barrier_signal -1
	s_barrier_wait -1
	s_clause 0x3
	global_load_b128 v[160:163], v[176:177], off
	global_load_b128 v[164:167], v[176:177], off offset:512
	global_load_b128 v[168:171], v[178:179], off
	global_load_b128 v[172:175], v[178:179], off offset:512
	s_wait_xcnt 0x2
	v_pk_fma_f16 v176, v5, v192, v181
	v_pk_fma_f16 v177, v5, v193, v182
	s_wait_xcnt 0x0
	v_pk_fma_f16 v178, v5, v194, v183
	v_pk_fma_f16 v5, v5, v195, v184
	;; [unrolled: 1-line block ×3, first 2 shown]
	v_and_b32_e32 v184, 0xffff, v8
	v_lshrrev_b32_e32 v8, 16, v8
	v_and_b32_e32 v185, 0xffff, v9
	v_lshrrev_b32_e32 v9, 16, v9
	v_pk_fma_f16 v4, v4, v195, v180
	v_pk_fma_f16 v180, v6, v193, v186
	;; [unrolled: 1-line block ×3, first 2 shown]
	v_mul_u32_u24_e32 v184, 0x10001, v184
	v_mul_u32_u24_e32 v8, 0x10001, v8
	;; [unrolled: 1-line block ×4, first 2 shown]
	v_pk_fma_f16 v6, v6, v195, v188
	v_pk_fma_f16 v182, v7, v192, v189
	;; [unrolled: 1-line block ×18, first 2 shown]
	v_and_b32_e32 v180, 0xffff, v10
	v_lshrrev_b32_e32 v10, 16, v10
	v_and_b32_e32 v181, 0xffff, v11
	v_lshrrev_b32_e32 v11, 16, v11
	v_pk_fma_f16 v186, v7, v194, v191
	v_pk_fma_f16 v7, v7, v195, v196
	;; [unrolled: 1-line block ×16, first 2 shown]
	v_mul_u32_u24_e32 v180, 0x10001, v180
	v_mul_u32_u24_e32 v10, 0x10001, v10
	;; [unrolled: 1-line block ×4, first 2 shown]
	v_pk_fma_f16 v22, v23, v184, v182
	v_pk_fma_f16 v182, v23, v185, v186
	;; [unrolled: 1-line block ×32, first 2 shown]
	v_and_b32_e32 v10, 0xffff, v16
	v_lshrrev_b32_e32 v16, 16, v16
	v_and_b32_e32 v26, 0xffff, v17
	v_lshrrev_b32_e32 v17, 16, v17
	v_pk_fma_f16 v22, v27, v180, v22
	v_mul_u32_u24_e32 v10, 0x10001, v10
	v_mul_u32_u24_e32 v16, 0x10001, v16
	;; [unrolled: 1-line block ×4, first 2 shown]
	v_pk_fma_f16 v178, v27, v181, v182
	v_pk_fma_f16 v7, v27, v11, v7
	;; [unrolled: 1-line block ×26, first 2 shown]
	v_and_b32_e32 v16, 0xffff, v18
	v_lshrrev_b32_e32 v18, 16, v18
	v_and_b32_e32 v22, 0xffff, v19
	v_pk_fma_f16 v180, v28, v26, v190
	v_pk_fma_f16 v4, v28, v17, v4
	v_mul_u32_u24_e32 v16, 0x10001, v16
	v_mul_u32_u24_e32 v18, 0x10001, v18
	;; [unrolled: 1-line block ×3, first 2 shown]
	v_pk_fma_f16 v28, v29, v26, v176
	v_pk_fma_f16 v5, v29, v17, v5
	;; [unrolled: 1-line block ×4, first 2 shown]
	v_lshrrev_b32_e32 v19, 16, v19
	v_pk_fma_f16 v26, v31, v26, v178
	v_pk_fma_f16 v7, v31, v17, v7
	;; [unrolled: 1-line block ×19, first 2 shown]
	v_and_b32_e32 v16, 0xffff, v124
	v_lshrrev_b32_e32 v18, 16, v124
	v_and_b32_e32 v111, 0xffff, v125
	v_mul_u32_u24_e32 v19, 0x10001, v19
	v_pk_fma_f16 v30, v113, v22, v108
	v_pk_fma_f16 v103, v114, v22, v103
	;; [unrolled: 1-line block ×7, first 2 shown]
	v_mul_u32_u24_e32 v16, 0x10001, v16
	v_mul_u32_u24_e32 v18, 0x10001, v18
	;; [unrolled: 1-line block ×3, first 2 shown]
	v_pk_fma_f16 v12, v112, v19, v12
	v_pk_fma_f16 v13, v113, v19, v13
	;; [unrolled: 1-line block ×7, first 2 shown]
	v_lshrrev_b32_e32 v112, 16, v125
	v_pk_fma_f16 v7, v119, v19, v7
	v_pk_fma_f16 v11, v120, v18, v11
	;; [unrolled: 1-line block ×14, first 2 shown]
	v_lshrrev_b32_e32 v18, 16, v126
	v_mul_u32_u24_e32 v111, 0x10001, v112
	v_pk_fma_f16 v109, v132, v26, v110
	v_and_b32_e32 v110, 0xffff, v127
	v_lshrrev_b32_e32 v112, 16, v127
	v_mul_u32_u24_e32 v18, 0x10001, v18
	v_pk_fma_f16 v9, v120, v16, v9
	v_pk_fma_f16 v17, v120, v26, v17
	v_pk_fma_f16 v12, v120, v111, v12
	v_pk_fma_f16 v13, v121, v111, v13
	v_pk_fma_f16 v103, v122, v26, v103
	v_pk_fma_f16 v14, v122, v111, v14
	v_pk_fma_f16 v15, v123, v111, v15
	v_pk_fma_f16 v107, v132, v16, v107
	v_pk_fma_f16 v4, v132, v111, v4
	v_pk_fma_f16 v20, v133, v16, v20
	v_pk_fma_f16 v28, v133, v26, v28
	v_pk_fma_f16 v5, v133, v111, v5
	v_pk_fma_f16 v21, v134, v16, v21
	v_pk_fma_f16 v29, v134, v26, v29
	v_pk_fma_f16 v6, v134, v111, v6
	v_pk_fma_f16 v10, v135, v16, v10
	v_and_b32_e32 v16, 0xffff, v126
	v_pk_fma_f16 v22, v135, v26, v22
	v_mul_u32_u24_e32 v26, 0x10001, v110
	v_pk_fma_f16 v7, v135, v111, v7
	v_pk_fma_f16 v11, v136, v18, v11
	;; [unrolled: 1-line block ×9, first 2 shown]
	v_lshrrev_b32_e32 v18, 16, v128
	v_mul_u32_u24_e32 v110, 0x10001, v112
	v_and_b32_e32 v111, 0xffff, v129
	v_lshrrev_b32_e32 v112, 16, v129
	v_mul_u32_u24_e32 v16, 0x10001, v16
	v_pk_fma_f16 v17, v136, v26, v17
	v_pk_fma_f16 v27, v137, v26, v27
	;; [unrolled: 1-line block ×11, first 2 shown]
	v_mul_u32_u24_e32 v26, 0x10001, v111
	v_mul_u32_u24_e32 v111, 0x10001, v112
	v_pk_fma_f16 v9, v136, v16, v9
	v_pk_fma_f16 v12, v136, v110, v12
	;; [unrolled: 1-line block ×12, first 2 shown]
	v_and_b32_e32 v16, 0xffff, v128
	v_pk_fma_f16 v7, v143, v110, v7
	v_pk_fma_f16 v110, v148, v111, v4
	;; [unrolled: 1-line block ×4, first 2 shown]
	v_and_b32_e32 v4, 0xffff, v130
	v_lshrrev_b32_e32 v5, 16, v130
	v_and_b32_e32 v6, 0xffff, v131
	v_mul_u32_u24_e32 v16, 0x10001, v16
	v_mul_u32_u24_e32 v18, 0x10001, v18
	v_pk_fma_f16 v17, v144, v26, v17
	v_pk_fma_f16 v12, v144, v111, v12
	v_pk_fma_f16 v27, v145, v26, v27
	v_pk_fma_f16 v13, v145, v111, v13
	v_pk_fma_f16 v103, v146, v26, v103
	v_pk_fma_f16 v14, v146, v111, v14
	v_pk_fma_f16 v106, v147, v26, v106
	v_pk_fma_f16 v15, v147, v111, v15
	v_pk_fma_f16 v109, v148, v26, v109
	v_pk_fma_f16 v28, v149, v26, v28
	v_pk_fma_f16 v29, v150, v26, v29
	v_pk_fma_f16 v22, v151, v26, v22
	v_mul_u32_u24_e32 v26, 0x10001, v4
	v_mul_u32_u24_e32 v114, 0x10001, v5
	;; [unrolled: 1-line block ×3, first 2 shown]
	v_pk_fma_f16 v111, v151, v111, v7
	s_wait_loadcnt 0x3
	ds_store_b128 v86, v[160:163]
	s_wait_loadcnt 0x2
	ds_store_b128 v87, v[164:167]
	;; [unrolled: 2-line block ×4, first 2 shown]
	s_wait_dscnt 0x0
	s_barrier_signal -1
	s_barrier_wait -1
	ds_load_b128 v[4:7], v85 offset:384
	v_pk_fma_f16 v9, v144, v16, v9
	v_pk_fma_f16 v11, v144, v18, v11
	;; [unrolled: 1-line block ×16, first 2 shown]
	v_lshrrev_b32_e32 v8, 16, v131
	v_pk_fma_f16 v117, v152, v26, v9
	v_pk_fma_f16 v118, v152, v114, v11
	;; [unrolled: 1-line block ×4, first 2 shown]
	v_mul_u32_u24_e32 v116, 0x10001, v8
	v_pk_fma_f16 v122, v153, v114, v23
	v_pk_fma_f16 v31, v154, v114, v31
	;; [unrolled: 1-line block ×5, first 2 shown]
	ds_load_2addr_b64 v[8:11], v100 offset1:32
	v_pk_fma_f16 v130, v158, v114, v25
	v_pk_fma_f16 v131, v159, v26, v16
	;; [unrolled: 1-line block ×3, first 2 shown]
	ds_load_2addr_b64 v[16:19], v100 offset0:64 offset1:96
	v_pk_fma_f16 v120, v152, v116, v12
	v_pk_fma_f16 v124, v153, v116, v13
	;; [unrolled: 1-line block ×6, first 2 shown]
	ds_load_b128 v[12:15], v85 offset:400
	s_wait_dscnt 0x3
	v_and_b32_e32 v20, 0xffff, v4
	v_lshrrev_b32_e32 v4, 16, v4
	v_and_b32_e32 v21, 0xffff, v5
	v_lshrrev_b32_e32 v5, 16, v5
	v_pk_fma_f16 v123, v153, v115, v27
	v_pk_fma_f16 v30, v154, v26, v30
	;; [unrolled: 1-line block ×13, first 2 shown]
	v_mul_u32_u24_e32 v116, 0x10001, v20
	v_mul_u32_u24_e32 v4, 0x10001, v4
	;; [unrolled: 1-line block ×4, first 2 shown]
	v_pk_fma_f16 v115, v159, v115, v22
	ds_load_b128 v[20:23], v85 offset:416
	ds_load_b128 v[24:27], v85 offset:432
	s_wait_dscnt 0x4
	v_pk_fma_f16 v117, v8, v116, v117
	v_pk_fma_f16 v118, v8, v4, v118
	;; [unrolled: 1-line block ×16, first 2 shown]
	s_wait_dscnt 0x3
	v_pk_fma_f16 v107, v16, v116, v107
	v_pk_fma_f16 v108, v16, v4, v108
	;; [unrolled: 1-line block ×6, first 2 shown]
	ds_load_2addr_b64 v[8:11], v100 offset0:128 offset1:160
	v_pk_fma_f16 v28, v17, v132, v28
	v_pk_fma_f16 v17, v17, v133, v112
	;; [unrolled: 1-line block ×8, first 2 shown]
	v_and_b32_e32 v116, 0xffff, v6
	v_lshrrev_b32_e32 v129, 16, v6
	v_and_b32_e32 v130, 0xffff, v7
	v_lshrrev_b32_e32 v131, 16, v7
	ds_load_2addr_b64 v[4:7], v100 offset0:192 offset1:224
	v_mul_u32_u24_e32 v116, 0x10001, v116
	v_mul_u32_u24_e32 v129, 0x10001, v129
	;; [unrolled: 1-line block ×4, first 2 shown]
	v_pk_fma_f16 v115, v19, v132, v115
	v_pk_fma_f16 v111, v19, v133, v111
	s_wait_dscnt 0x1
	v_pk_fma_f16 v117, v8, v116, v117
	v_pk_fma_f16 v118, v8, v129, v118
	;; [unrolled: 1-line block ×16, first 2 shown]
	s_wait_dscnt 0x0
	v_pk_fma_f16 v107, v4, v116, v107
	v_pk_fma_f16 v108, v4, v129, v108
	;; [unrolled: 1-line block ×4, first 2 shown]
	ds_load_2addr_b64 v[8:11], v97 offset1:32
	v_pk_fma_f16 v132, v5, v131, v17
	v_pk_fma_f16 v133, v6, v131, v18
	ds_load_2addr_b64 v[16:19], v97 offset0:64 offset1:96
	v_pk_fma_f16 v110, v5, v116, v110
	v_pk_fma_f16 v127, v5, v129, v127
	;; [unrolled: 1-line block ×6, first 2 shown]
	v_and_b32_e32 v5, 0xffff, v12
	v_lshrrev_b32_e32 v6, 16, v12
	v_and_b32_e32 v12, 0xffff, v13
	v_pk_fma_f16 v115, v7, v130, v115
	v_lshrrev_b32_e32 v13, 16, v13
	v_pk_fma_f16 v113, v7, v116, v113
	v_pk_fma_f16 v114, v7, v129, v114
	v_mul_u32_u24_e32 v12, 0x10001, v12
	v_mul_u32_u24_e32 v116, 0x10001, v5
	;; [unrolled: 1-line block ×3, first 2 shown]
	v_pk_fma_f16 v111, v7, v131, v111
	s_mul_u64 s[26:27], s[26:27], s[14:15]
	s_wait_dscnt 0x1
	v_pk_fma_f16 v119, v8, v12, v119
	v_pk_fma_f16 v123, v9, v12, v123
	;; [unrolled: 1-line block ×4, first 2 shown]
	s_wait_dscnt 0x0
	v_pk_fma_f16 v109, v16, v12, v109
	v_pk_fma_f16 v28, v17, v12, v28
	;; [unrolled: 1-line block ×4, first 2 shown]
	v_and_b32_e32 v115, 0xffff, v14
	v_lshrrev_b32_e32 v14, 16, v14
	v_mul_u32_u24_e32 v13, 0x10001, v13
	v_pk_fma_f16 v117, v8, v116, v117
	v_pk_fma_f16 v118, v8, v129, v118
	v_pk_fma_f16 v121, v9, v116, v121
	v_pk_fma_f16 v122, v9, v129, v122
	v_pk_fma_f16 v120, v8, v13, v120
	v_pk_fma_f16 v124, v9, v13, v124
	v_pk_fma_f16 v30, v10, v116, v30
	v_pk_fma_f16 v31, v10, v129, v31
	v_pk_fma_f16 v125, v10, v13, v125
	v_pk_fma_f16 v104, v11, v116, v104
	v_pk_fma_f16 v105, v11, v129, v105
	v_pk_fma_f16 v126, v11, v13, v126
	v_pk_fma_f16 v107, v16, v116, v107
	v_pk_fma_f16 v108, v16, v129, v108
	v_pk_fma_f16 v16, v16, v13, v4
	ds_load_2addr_b64 v[4:7], v97 offset0:128 offset1:160
	ds_load_2addr_b64 v[8:11], v97 offset0:192 offset1:224
	v_pk_fma_f16 v110, v17, v116, v110
	v_pk_fma_f16 v112, v18, v116, v112
	;; [unrolled: 1-line block ×3, first 2 shown]
	v_and_b32_e32 v116, 0xffff, v15
	v_lshrrev_b32_e32 v15, 16, v15
	v_pk_fma_f16 v127, v17, v129, v127
	v_pk_fma_f16 v17, v17, v13, v132
	;; [unrolled: 1-line block ×5, first 2 shown]
	v_mul_u32_u24_e32 v115, 0x10001, v115
	v_mul_u32_u24_e32 v14, 0x10001, v14
	;; [unrolled: 1-line block ×4, first 2 shown]
	v_pk_fma_f16 v19, v19, v13, v111
	s_lshl_b64 s[26:27], s[26:27], 2
	s_delay_alu instid0(SALU_CYCLE_1)
	s_add_nc_u64 s[26:27], s[8:9], s[26:27]
	s_wait_dscnt 0x1
	v_pk_fma_f16 v111, v4, v115, v117
	v_pk_fma_f16 v117, v4, v14, v118
	v_pk_fma_f16 v118, v4, v116, v119
	v_pk_fma_f16 v119, v4, v129, v120
	v_pk_fma_f16 v120, v5, v115, v121
	v_pk_fma_f16 v121, v5, v14, v122
	v_pk_fma_f16 v122, v5, v116, v123
	v_pk_fma_f16 v123, v5, v129, v124
	v_pk_fma_f16 v30, v6, v115, v30
	v_pk_fma_f16 v31, v6, v14, v31
	v_pk_fma_f16 v103, v6, v116, v103
	v_pk_fma_f16 v124, v6, v129, v125
	v_pk_fma_f16 v104, v7, v115, v104
	v_pk_fma_f16 v105, v7, v14, v105
	v_pk_fma_f16 v106, v7, v116, v106
	v_pk_fma_f16 v125, v7, v129, v126
	s_wait_dscnt 0x0
	v_pk_fma_f16 v107, v8, v115, v107
	v_pk_fma_f16 v108, v8, v14, v108
	;; [unrolled: 1-line block ×6, first 2 shown]
	ds_load_2addr_b64 v[4:7], v98 offset1:32
	v_pk_fma_f16 v28, v9, v116, v28
	v_pk_fma_f16 v9, v9, v129, v17
	;; [unrolled: 1-line block ×9, first 2 shown]
	ds_load_2addr_b64 v[12:15], v98 offset0:64 offset1:96
	v_and_b32_e32 v115, 0xffff, v20
	v_lshrrev_b32_e32 v20, 16, v20
	v_and_b32_e32 v116, 0xffff, v21
	v_lshrrev_b32_e32 v21, 16, v21
	v_pk_fma_f16 v19, v11, v129, v19
	v_mul_u32_u24_e32 v115, 0x10001, v115
	v_mul_u32_u24_e32 v20, 0x10001, v20
	v_mul_u32_u24_e32 v116, 0x10001, v116
	v_add_nc_u64_e32 v[156:157], s[26:27], v[48:49]
	v_add_nc_u64_e32 v[160:161], s[26:27], v[50:51]
	s_wait_dscnt 0x1
	v_pk_fma_f16 v111, v4, v115, v111
	v_pk_fma_f16 v117, v4, v20, v117
	;; [unrolled: 1-line block ×9, first 2 shown]
	s_wait_dscnt 0x0
	v_pk_fma_f16 v108, v12, v20, v108
	v_pk_fma_f16 v110, v13, v20, v110
	;; [unrolled: 1-line block ×5, first 2 shown]
	v_and_b32_e32 v114, 0xffff, v22
	v_lshrrev_b32_e32 v22, 16, v22
	v_mul_u32_u24_e32 v21, 0x10001, v21
	v_pk_fma_f16 v103, v6, v116, v103
	v_pk_fma_f16 v104, v7, v115, v104
	v_pk_fma_f16 v106, v7, v116, v106
	v_pk_fma_f16 v107, v12, v115, v107
	v_pk_fma_f16 v119, v4, v21, v119
	v_pk_fma_f16 v123, v5, v21, v123
	v_pk_fma_f16 v124, v6, v21, v124
	v_pk_fma_f16 v125, v7, v21, v125
	v_pk_fma_f16 v109, v12, v116, v109
	v_pk_fma_f16 v12, v12, v21, v8
	v_pk_fma_f16 v16, v13, v115, v16
	ds_load_2addr_b64 v[4:7], v98 offset0:128 offset1:160
	v_pk_fma_f16 v28, v13, v116, v28
	v_pk_fma_f16 v13, v13, v21, v9
	;; [unrolled: 1-line block ×5, first 2 shown]
	ds_load_2addr_b64 v[8:11], v98 offset0:192 offset1:224
	v_pk_fma_f16 v18, v15, v115, v18
	v_and_b32_e32 v115, 0xffff, v23
	v_lshrrev_b32_e32 v23, 16, v23
	v_mul_u32_u24_e32 v114, 0x10001, v114
	v_mul_u32_u24_e32 v22, 0x10001, v22
	v_pk_fma_f16 v19, v15, v21, v19
	v_mul_u32_u24_e32 v115, 0x10001, v115
	v_mul_u32_u24_e32 v23, 0x10001, v23
	v_add_nc_u64_e32 v[176:177], v[156:157], v[36:37]
	v_add_nc_u64_e32 v[178:179], v[160:161], v[36:37]
	s_or_b32 s26, s4, 0x50
	s_delay_alu instid0(SALU_CYCLE_1)
	s_ashr_i32 s27, s26, 31
	s_wait_dscnt 0x1
	v_pk_fma_f16 v21, v4, v114, v111
	v_pk_fma_f16 v111, v4, v22, v117
	;; [unrolled: 1-line block ×16, first 2 shown]
	s_wait_dscnt 0x0
	v_pk_fma_f16 v107, v8, v114, v107
	v_pk_fma_f16 v108, v8, v22, v108
	;; [unrolled: 1-line block ×4, first 2 shown]
	ds_load_2addr_b64 v[4:7], v99 offset1:32
	v_pk_fma_f16 v124, v9, v23, v13
	v_pk_fma_f16 v125, v10, v23, v14
	ds_load_2addr_b64 v[12:15], v99 offset0:64 offset1:96
	v_pk_fma_f16 v16, v9, v114, v16
	v_pk_fma_f16 v110, v9, v22, v110
	;; [unrolled: 1-line block ×6, first 2 shown]
	v_and_b32_e32 v9, 0xffff, v24
	v_lshrrev_b32_e32 v10, 16, v24
	v_and_b32_e32 v24, 0xffff, v25
	v_lshrrev_b32_e32 v25, 16, v25
	v_pk_fma_f16 v18, v11, v114, v18
	v_pk_fma_f16 v20, v11, v22, v20
	;; [unrolled: 1-line block ×3, first 2 shown]
	v_mul_u32_u24_e32 v113, 0x10001, v9
	v_mul_u32_u24_e32 v114, 0x10001, v10
	;; [unrolled: 1-line block ×4, first 2 shown]
	v_pk_fma_f16 v19, v11, v23, v19
	s_wait_dscnt 0x1
	v_pk_fma_f16 v21, v4, v113, v21
	v_pk_fma_f16 v23, v4, v114, v111
	v_pk_fma_f16 v111, v4, v24, v116
	v_pk_fma_f16 v115, v4, v25, v117
	v_pk_fma_f16 v116, v5, v113, v118
	v_pk_fma_f16 v117, v5, v114, v119
	v_pk_fma_f16 v118, v5, v24, v120
	v_pk_fma_f16 v119, v5, v25, v121
	v_pk_fma_f16 v30, v6, v113, v30
	v_pk_fma_f16 v31, v6, v114, v31
	v_pk_fma_f16 v103, v6, v24, v103
	v_pk_fma_f16 v120, v6, v25, v122
	v_pk_fma_f16 v104, v7, v113, v104
	v_pk_fma_f16 v105, v7, v114, v105
	v_pk_fma_f16 v106, v7, v24, v106
	v_pk_fma_f16 v121, v7, v25, v123
	s_wait_dscnt 0x0
	v_pk_fma_f16 v180, v12, v25, v8
	ds_load_2addr_b64 v[8:11], v99 offset0:128 offset1:160
	ds_load_2addr_b64 v[4:7], v99 offset0:192 offset1:224
	v_pk_fma_f16 v107, v12, v113, v107
	v_pk_fma_f16 v108, v12, v114, v108
	;; [unrolled: 1-line block ×11, first 2 shown]
	v_and_b32_e32 v12, 0xffff, v26
	v_lshrrev_b32_e32 v13, 16, v26
	v_and_b32_e32 v14, 0xffff, v27
	v_lshrrev_b32_e32 v16, 16, v27
	v_pk_fma_f16 v189, v15, v113, v18
	v_mul_u32_u24_e32 v192, 0x10001, v12
	v_mul_u32_u24_e32 v193, 0x10001, v13
	;; [unrolled: 1-line block ×4, first 2 shown]
	v_pk_fma_f16 v190, v15, v114, v20
	v_pk_fma_f16 v191, v15, v24, v22
	;; [unrolled: 1-line block ×3, first 2 shown]
	s_wait_dscnt 0x1
	v_pk_fma_f16 v197, v8, v192, v21
	v_pk_fma_f16 v198, v8, v193, v23
	;; [unrolled: 1-line block ×16, first 2 shown]
	s_wait_dscnt 0x0
	v_pk_fma_f16 v212, v4, v192, v107
	v_pk_fma_f16 v213, v4, v193, v108
	;; [unrolled: 1-line block ×3, first 2 shown]
	ds_load_2addr_b64 v[12:15], v95 offset1:32
	ds_load_b128 v[8:11], v85 offset:448
	ds_load_b128 v[16:19], v85 offset:464
	ds_load_2addr_b64 v[20:23], v95 offset0:64 offset1:96
	ds_load_2addr_b64 v[104:107], v95 offset0:128 offset1:160
	;; [unrolled: 1-line block ×3, first 2 shown]
	ds_load_2addr_b64 v[108:111], v101 offset1:32
	ds_load_2addr_b64 v[28:31], v101 offset0:64 offset1:96
	ds_load_2addr_b64 v[112:115], v101 offset0:128 offset1:160
	ds_load_2addr_b64 v[116:119], v101 offset0:192 offset1:224
	ds_load_2addr_b64 v[120:123], v96 offset1:32
	ds_load_b128 v[124:127], v85 offset:480
	ds_load_b128 v[128:131], v85 offset:496
	ds_load_2addr_b64 v[132:135], v96 offset0:64 offset1:96
	ds_load_2addr_b64 v[136:139], v96 offset0:128 offset1:160
	;; [unrolled: 1-line block ×3, first 2 shown]
	ds_load_2addr_b64 v[144:147], v102 offset1:32
	ds_load_2addr_b64 v[148:151], v102 offset0:64 offset1:96
	ds_load_2addr_b64 v[152:155], v102 offset0:128 offset1:160
	;; [unrolled: 1-line block ×3, first 2 shown]
	s_wait_dscnt 0x0
	s_barrier_signal -1
	s_barrier_wait -1
	s_clause 0x3
	global_load_b128 v[160:163], v[176:177], off
	global_load_b128 v[164:167], v[176:177], off offset:512
	global_load_b128 v[168:171], v[178:179], off
	global_load_b128 v[172:175], v[178:179], off offset:512
	s_wait_xcnt 0x2
	v_pk_fma_f16 v176, v5, v192, v181
	v_pk_fma_f16 v177, v5, v193, v182
	s_wait_xcnt 0x0
	v_pk_fma_f16 v178, v5, v194, v183
	v_pk_fma_f16 v5, v5, v195, v184
	;; [unrolled: 1-line block ×3, first 2 shown]
	v_and_b32_e32 v184, 0xffff, v8
	v_lshrrev_b32_e32 v8, 16, v8
	v_and_b32_e32 v185, 0xffff, v9
	v_lshrrev_b32_e32 v9, 16, v9
	v_pk_fma_f16 v4, v4, v195, v180
	v_pk_fma_f16 v180, v6, v193, v186
	;; [unrolled: 1-line block ×3, first 2 shown]
	v_mul_u32_u24_e32 v184, 0x10001, v184
	v_mul_u32_u24_e32 v8, 0x10001, v8
	;; [unrolled: 1-line block ×4, first 2 shown]
	v_pk_fma_f16 v6, v6, v195, v188
	v_pk_fma_f16 v182, v7, v192, v189
	;; [unrolled: 1-line block ×18, first 2 shown]
	v_and_b32_e32 v180, 0xffff, v10
	v_lshrrev_b32_e32 v10, 16, v10
	v_and_b32_e32 v181, 0xffff, v11
	v_lshrrev_b32_e32 v11, 16, v11
	v_pk_fma_f16 v186, v7, v194, v191
	v_pk_fma_f16 v7, v7, v195, v196
	;; [unrolled: 1-line block ×16, first 2 shown]
	v_mul_u32_u24_e32 v180, 0x10001, v180
	v_mul_u32_u24_e32 v10, 0x10001, v10
	;; [unrolled: 1-line block ×4, first 2 shown]
	v_pk_fma_f16 v22, v23, v184, v182
	v_pk_fma_f16 v182, v23, v185, v186
	;; [unrolled: 1-line block ×32, first 2 shown]
	v_and_b32_e32 v10, 0xffff, v16
	v_lshrrev_b32_e32 v16, 16, v16
	v_and_b32_e32 v26, 0xffff, v17
	v_lshrrev_b32_e32 v17, 16, v17
	v_pk_fma_f16 v22, v27, v180, v22
	v_mul_u32_u24_e32 v10, 0x10001, v10
	v_mul_u32_u24_e32 v16, 0x10001, v16
	;; [unrolled: 1-line block ×4, first 2 shown]
	v_pk_fma_f16 v178, v27, v181, v182
	v_pk_fma_f16 v7, v27, v11, v7
	;; [unrolled: 1-line block ×26, first 2 shown]
	v_and_b32_e32 v16, 0xffff, v18
	v_lshrrev_b32_e32 v18, 16, v18
	v_and_b32_e32 v22, 0xffff, v19
	v_pk_fma_f16 v180, v28, v26, v190
	v_pk_fma_f16 v4, v28, v17, v4
	v_mul_u32_u24_e32 v16, 0x10001, v16
	v_mul_u32_u24_e32 v18, 0x10001, v18
	;; [unrolled: 1-line block ×3, first 2 shown]
	v_pk_fma_f16 v28, v29, v26, v176
	v_pk_fma_f16 v5, v29, v17, v5
	v_pk_fma_f16 v29, v30, v26, v177
	v_pk_fma_f16 v6, v30, v17, v6
	v_lshrrev_b32_e32 v19, 16, v19
	v_pk_fma_f16 v26, v31, v26, v178
	v_pk_fma_f16 v7, v31, v17, v7
	;; [unrolled: 1-line block ×19, first 2 shown]
	v_and_b32_e32 v16, 0xffff, v124
	v_lshrrev_b32_e32 v18, 16, v124
	v_and_b32_e32 v111, 0xffff, v125
	v_mul_u32_u24_e32 v19, 0x10001, v19
	v_pk_fma_f16 v30, v113, v22, v108
	v_pk_fma_f16 v103, v114, v22, v103
	v_pk_fma_f16 v108, v115, v22, v179
	v_pk_fma_f16 v110, v116, v22, v180
	v_pk_fma_f16 v28, v117, v22, v28
	v_pk_fma_f16 v29, v118, v22, v29
	v_pk_fma_f16 v22, v119, v22, v26
	v_mul_u32_u24_e32 v16, 0x10001, v16
	v_mul_u32_u24_e32 v18, 0x10001, v18
	;; [unrolled: 1-line block ×3, first 2 shown]
	v_pk_fma_f16 v12, v112, v19, v12
	v_pk_fma_f16 v13, v113, v19, v13
	;; [unrolled: 1-line block ×7, first 2 shown]
	v_lshrrev_b32_e32 v112, 16, v125
	v_pk_fma_f16 v7, v119, v19, v7
	v_pk_fma_f16 v11, v120, v18, v11
	v_pk_fma_f16 v19, v121, v16, v23
	v_pk_fma_f16 v23, v121, v18, v27
	v_pk_fma_f16 v27, v121, v26, v30
	v_pk_fma_f16 v30, v122, v16, v31
	v_pk_fma_f16 v31, v122, v18, v104
	v_pk_fma_f16 v104, v123, v16, v105
	v_pk_fma_f16 v105, v123, v18, v106
	v_pk_fma_f16 v106, v123, v26, v108
	v_pk_fma_f16 v108, v132, v18, v109
	v_pk_fma_f16 v24, v133, v18, v24
	v_pk_fma_f16 v25, v134, v18, v25
	v_pk_fma_f16 v8, v135, v18, v8
	v_lshrrev_b32_e32 v18, 16, v126
	v_mul_u32_u24_e32 v111, 0x10001, v112
	v_pk_fma_f16 v109, v132, v26, v110
	v_and_b32_e32 v110, 0xffff, v127
	v_lshrrev_b32_e32 v112, 16, v127
	v_mul_u32_u24_e32 v18, 0x10001, v18
	v_pk_fma_f16 v9, v120, v16, v9
	v_pk_fma_f16 v17, v120, v26, v17
	;; [unrolled: 1-line block ×16, first 2 shown]
	v_and_b32_e32 v16, 0xffff, v126
	v_pk_fma_f16 v22, v135, v26, v22
	v_mul_u32_u24_e32 v26, 0x10001, v110
	v_pk_fma_f16 v7, v135, v111, v7
	v_pk_fma_f16 v11, v136, v18, v11
	;; [unrolled: 1-line block ×9, first 2 shown]
	v_lshrrev_b32_e32 v18, 16, v128
	v_mul_u32_u24_e32 v110, 0x10001, v112
	v_and_b32_e32 v111, 0xffff, v129
	v_lshrrev_b32_e32 v112, 16, v129
	v_mul_u32_u24_e32 v16, 0x10001, v16
	v_pk_fma_f16 v17, v136, v26, v17
	v_pk_fma_f16 v27, v137, v26, v27
	;; [unrolled: 1-line block ×11, first 2 shown]
	v_mul_u32_u24_e32 v26, 0x10001, v111
	v_mul_u32_u24_e32 v111, 0x10001, v112
	v_pk_fma_f16 v9, v136, v16, v9
	v_pk_fma_f16 v12, v136, v110, v12
	;; [unrolled: 1-line block ×12, first 2 shown]
	v_and_b32_e32 v16, 0xffff, v128
	v_pk_fma_f16 v7, v143, v110, v7
	v_pk_fma_f16 v110, v148, v111, v4
	;; [unrolled: 1-line block ×4, first 2 shown]
	v_and_b32_e32 v4, 0xffff, v130
	v_lshrrev_b32_e32 v5, 16, v130
	v_and_b32_e32 v6, 0xffff, v131
	v_mul_u32_u24_e32 v16, 0x10001, v16
	v_mul_u32_u24_e32 v18, 0x10001, v18
	v_pk_fma_f16 v17, v144, v26, v17
	v_pk_fma_f16 v12, v144, v111, v12
	;; [unrolled: 1-line block ×12, first 2 shown]
	v_mul_u32_u24_e32 v26, 0x10001, v4
	v_mul_u32_u24_e32 v114, 0x10001, v5
	;; [unrolled: 1-line block ×3, first 2 shown]
	v_pk_fma_f16 v111, v151, v111, v7
	s_wait_loadcnt 0x3
	ds_store_b128 v86, v[160:163]
	s_wait_loadcnt 0x2
	ds_store_b128 v87, v[164:167]
	;; [unrolled: 2-line block ×4, first 2 shown]
	s_wait_dscnt 0x0
	s_barrier_signal -1
	s_barrier_wait -1
	ds_load_b128 v[4:7], v85 offset:512
	v_pk_fma_f16 v9, v144, v16, v9
	v_pk_fma_f16 v11, v144, v18, v11
	;; [unrolled: 1-line block ×16, first 2 shown]
	v_lshrrev_b32_e32 v8, 16, v131
	v_pk_fma_f16 v117, v152, v26, v9
	v_pk_fma_f16 v118, v152, v114, v11
	;; [unrolled: 1-line block ×4, first 2 shown]
	v_mul_u32_u24_e32 v116, 0x10001, v8
	v_pk_fma_f16 v122, v153, v114, v23
	v_pk_fma_f16 v31, v154, v114, v31
	;; [unrolled: 1-line block ×5, first 2 shown]
	ds_load_2addr_b64 v[8:11], v100 offset1:32
	v_pk_fma_f16 v130, v158, v114, v25
	v_pk_fma_f16 v131, v159, v26, v16
	;; [unrolled: 1-line block ×3, first 2 shown]
	ds_load_2addr_b64 v[16:19], v100 offset0:64 offset1:96
	v_pk_fma_f16 v120, v152, v116, v12
	v_pk_fma_f16 v124, v153, v116, v13
	;; [unrolled: 1-line block ×6, first 2 shown]
	ds_load_b128 v[12:15], v85 offset:528
	s_wait_dscnt 0x3
	v_and_b32_e32 v20, 0xffff, v4
	v_lshrrev_b32_e32 v4, 16, v4
	v_and_b32_e32 v21, 0xffff, v5
	v_lshrrev_b32_e32 v5, 16, v5
	v_pk_fma_f16 v123, v153, v115, v27
	v_pk_fma_f16 v30, v154, v26, v30
	;; [unrolled: 1-line block ×13, first 2 shown]
	v_mul_u32_u24_e32 v116, 0x10001, v20
	v_mul_u32_u24_e32 v4, 0x10001, v4
	;; [unrolled: 1-line block ×4, first 2 shown]
	v_pk_fma_f16 v115, v159, v115, v22
	ds_load_b128 v[20:23], v85 offset:544
	ds_load_b128 v[24:27], v85 offset:560
	s_wait_dscnt 0x4
	v_pk_fma_f16 v117, v8, v116, v117
	v_pk_fma_f16 v118, v8, v4, v118
	;; [unrolled: 1-line block ×16, first 2 shown]
	s_wait_dscnt 0x3
	v_pk_fma_f16 v107, v16, v116, v107
	v_pk_fma_f16 v108, v16, v4, v108
	;; [unrolled: 1-line block ×6, first 2 shown]
	ds_load_2addr_b64 v[8:11], v100 offset0:128 offset1:160
	v_pk_fma_f16 v28, v17, v132, v28
	v_pk_fma_f16 v17, v17, v133, v112
	;; [unrolled: 1-line block ×8, first 2 shown]
	v_and_b32_e32 v116, 0xffff, v6
	v_lshrrev_b32_e32 v129, 16, v6
	v_and_b32_e32 v130, 0xffff, v7
	v_lshrrev_b32_e32 v131, 16, v7
	ds_load_2addr_b64 v[4:7], v100 offset0:192 offset1:224
	v_mul_u32_u24_e32 v116, 0x10001, v116
	v_mul_u32_u24_e32 v129, 0x10001, v129
	;; [unrolled: 1-line block ×4, first 2 shown]
	v_pk_fma_f16 v115, v19, v132, v115
	v_pk_fma_f16 v111, v19, v133, v111
	s_wait_dscnt 0x1
	v_pk_fma_f16 v117, v8, v116, v117
	v_pk_fma_f16 v118, v8, v129, v118
	;; [unrolled: 1-line block ×16, first 2 shown]
	s_wait_dscnt 0x0
	v_pk_fma_f16 v107, v4, v116, v107
	v_pk_fma_f16 v108, v4, v129, v108
	;; [unrolled: 1-line block ×4, first 2 shown]
	ds_load_2addr_b64 v[8:11], v97 offset1:32
	v_pk_fma_f16 v132, v5, v131, v17
	v_pk_fma_f16 v133, v6, v131, v18
	ds_load_2addr_b64 v[16:19], v97 offset0:64 offset1:96
	v_pk_fma_f16 v110, v5, v116, v110
	v_pk_fma_f16 v127, v5, v129, v127
	;; [unrolled: 1-line block ×6, first 2 shown]
	v_and_b32_e32 v5, 0xffff, v12
	v_lshrrev_b32_e32 v6, 16, v12
	v_and_b32_e32 v12, 0xffff, v13
	v_pk_fma_f16 v115, v7, v130, v115
	v_lshrrev_b32_e32 v13, 16, v13
	v_pk_fma_f16 v113, v7, v116, v113
	v_pk_fma_f16 v114, v7, v129, v114
	v_mul_u32_u24_e32 v12, 0x10001, v12
	v_mul_u32_u24_e32 v116, 0x10001, v5
	;; [unrolled: 1-line block ×3, first 2 shown]
	v_pk_fma_f16 v111, v7, v131, v111
	s_mul_u64 s[26:27], s[26:27], s[14:15]
	s_wait_dscnt 0x1
	v_pk_fma_f16 v119, v8, v12, v119
	v_pk_fma_f16 v123, v9, v12, v123
	;; [unrolled: 1-line block ×4, first 2 shown]
	s_wait_dscnt 0x0
	v_pk_fma_f16 v109, v16, v12, v109
	v_pk_fma_f16 v28, v17, v12, v28
	;; [unrolled: 1-line block ×4, first 2 shown]
	v_and_b32_e32 v115, 0xffff, v14
	v_lshrrev_b32_e32 v14, 16, v14
	v_mul_u32_u24_e32 v13, 0x10001, v13
	v_pk_fma_f16 v117, v8, v116, v117
	v_pk_fma_f16 v118, v8, v129, v118
	;; [unrolled: 1-line block ×15, first 2 shown]
	ds_load_2addr_b64 v[4:7], v97 offset0:128 offset1:160
	ds_load_2addr_b64 v[8:11], v97 offset0:192 offset1:224
	v_pk_fma_f16 v110, v17, v116, v110
	v_pk_fma_f16 v112, v18, v116, v112
	;; [unrolled: 1-line block ×3, first 2 shown]
	v_and_b32_e32 v116, 0xffff, v15
	v_lshrrev_b32_e32 v15, 16, v15
	v_pk_fma_f16 v127, v17, v129, v127
	v_pk_fma_f16 v17, v17, v13, v132
	;; [unrolled: 1-line block ×5, first 2 shown]
	v_mul_u32_u24_e32 v115, 0x10001, v115
	v_mul_u32_u24_e32 v14, 0x10001, v14
	;; [unrolled: 1-line block ×4, first 2 shown]
	v_pk_fma_f16 v19, v19, v13, v111
	s_lshl_b64 s[26:27], s[26:27], 2
	s_delay_alu instid0(SALU_CYCLE_1)
	s_add_nc_u64 s[26:27], s[8:9], s[26:27]
	s_wait_dscnt 0x1
	v_pk_fma_f16 v111, v4, v115, v117
	v_pk_fma_f16 v117, v4, v14, v118
	;; [unrolled: 1-line block ×16, first 2 shown]
	s_wait_dscnt 0x0
	v_pk_fma_f16 v107, v8, v115, v107
	v_pk_fma_f16 v108, v8, v14, v108
	;; [unrolled: 1-line block ×6, first 2 shown]
	ds_load_2addr_b64 v[4:7], v98 offset1:32
	v_pk_fma_f16 v28, v9, v116, v28
	v_pk_fma_f16 v9, v9, v129, v17
	;; [unrolled: 1-line block ×9, first 2 shown]
	ds_load_2addr_b64 v[12:15], v98 offset0:64 offset1:96
	v_and_b32_e32 v115, 0xffff, v20
	v_lshrrev_b32_e32 v20, 16, v20
	v_and_b32_e32 v116, 0xffff, v21
	v_lshrrev_b32_e32 v21, 16, v21
	v_pk_fma_f16 v19, v11, v129, v19
	v_mul_u32_u24_e32 v115, 0x10001, v115
	v_mul_u32_u24_e32 v20, 0x10001, v20
	;; [unrolled: 1-line block ×3, first 2 shown]
	v_add_nc_u64_e32 v[156:157], s[26:27], v[48:49]
	v_add_nc_u64_e32 v[160:161], s[26:27], v[50:51]
	s_wait_dscnt 0x1
	v_pk_fma_f16 v111, v4, v115, v111
	v_pk_fma_f16 v117, v4, v20, v117
	;; [unrolled: 1-line block ×9, first 2 shown]
	s_wait_dscnt 0x0
	v_pk_fma_f16 v108, v12, v20, v108
	v_pk_fma_f16 v110, v13, v20, v110
	;; [unrolled: 1-line block ×5, first 2 shown]
	v_and_b32_e32 v114, 0xffff, v22
	v_lshrrev_b32_e32 v22, 16, v22
	v_mul_u32_u24_e32 v21, 0x10001, v21
	v_pk_fma_f16 v103, v6, v116, v103
	v_pk_fma_f16 v104, v7, v115, v104
	;; [unrolled: 1-line block ×11, first 2 shown]
	ds_load_2addr_b64 v[4:7], v98 offset0:128 offset1:160
	v_pk_fma_f16 v28, v13, v116, v28
	v_pk_fma_f16 v13, v13, v21, v9
	;; [unrolled: 1-line block ×5, first 2 shown]
	ds_load_2addr_b64 v[8:11], v98 offset0:192 offset1:224
	v_pk_fma_f16 v18, v15, v115, v18
	v_and_b32_e32 v115, 0xffff, v23
	v_lshrrev_b32_e32 v23, 16, v23
	v_mul_u32_u24_e32 v114, 0x10001, v114
	v_mul_u32_u24_e32 v22, 0x10001, v22
	v_pk_fma_f16 v19, v15, v21, v19
	v_mul_u32_u24_e32 v115, 0x10001, v115
	v_mul_u32_u24_e32 v23, 0x10001, v23
	v_add_nc_u64_e32 v[176:177], v[156:157], v[36:37]
	v_add_nc_u64_e32 v[178:179], v[160:161], v[36:37]
	s_or_b32 s26, s4, 0x60
	s_delay_alu instid0(SALU_CYCLE_1)
	s_ashr_i32 s27, s26, 31
	s_wait_dscnt 0x1
	v_pk_fma_f16 v21, v4, v114, v111
	v_pk_fma_f16 v111, v4, v22, v117
	;; [unrolled: 1-line block ×16, first 2 shown]
	s_wait_dscnt 0x0
	v_pk_fma_f16 v107, v8, v114, v107
	v_pk_fma_f16 v108, v8, v22, v108
	;; [unrolled: 1-line block ×4, first 2 shown]
	ds_load_2addr_b64 v[4:7], v99 offset1:32
	v_pk_fma_f16 v124, v9, v23, v13
	v_pk_fma_f16 v125, v10, v23, v14
	ds_load_2addr_b64 v[12:15], v99 offset0:64 offset1:96
	v_pk_fma_f16 v16, v9, v114, v16
	v_pk_fma_f16 v110, v9, v22, v110
	;; [unrolled: 1-line block ×6, first 2 shown]
	v_and_b32_e32 v9, 0xffff, v24
	v_lshrrev_b32_e32 v10, 16, v24
	v_and_b32_e32 v24, 0xffff, v25
	v_lshrrev_b32_e32 v25, 16, v25
	v_pk_fma_f16 v18, v11, v114, v18
	v_pk_fma_f16 v20, v11, v22, v20
	;; [unrolled: 1-line block ×3, first 2 shown]
	v_mul_u32_u24_e32 v113, 0x10001, v9
	v_mul_u32_u24_e32 v114, 0x10001, v10
	v_mul_u32_u24_e32 v24, 0x10001, v24
	v_mul_u32_u24_e32 v25, 0x10001, v25
	v_pk_fma_f16 v19, v11, v23, v19
	s_wait_dscnt 0x1
	v_pk_fma_f16 v21, v4, v113, v21
	v_pk_fma_f16 v23, v4, v114, v111
	;; [unrolled: 1-line block ×16, first 2 shown]
	s_wait_dscnt 0x0
	v_pk_fma_f16 v180, v12, v25, v8
	ds_load_2addr_b64 v[8:11], v99 offset0:128 offset1:160
	ds_load_2addr_b64 v[4:7], v99 offset0:192 offset1:224
	v_pk_fma_f16 v107, v12, v113, v107
	v_pk_fma_f16 v108, v12, v114, v108
	;; [unrolled: 1-line block ×11, first 2 shown]
	v_and_b32_e32 v12, 0xffff, v26
	v_lshrrev_b32_e32 v13, 16, v26
	v_and_b32_e32 v14, 0xffff, v27
	v_lshrrev_b32_e32 v16, 16, v27
	v_pk_fma_f16 v189, v15, v113, v18
	v_mul_u32_u24_e32 v192, 0x10001, v12
	v_mul_u32_u24_e32 v193, 0x10001, v13
	;; [unrolled: 1-line block ×4, first 2 shown]
	v_pk_fma_f16 v190, v15, v114, v20
	v_pk_fma_f16 v191, v15, v24, v22
	;; [unrolled: 1-line block ×3, first 2 shown]
	s_wait_dscnt 0x1
	v_pk_fma_f16 v197, v8, v192, v21
	v_pk_fma_f16 v198, v8, v193, v23
	;; [unrolled: 1-line block ×16, first 2 shown]
	s_wait_dscnt 0x0
	v_pk_fma_f16 v212, v4, v192, v107
	v_pk_fma_f16 v213, v4, v193, v108
	v_pk_fma_f16 v214, v4, v194, v109
	ds_load_2addr_b64 v[12:15], v95 offset1:32
	ds_load_b128 v[8:11], v85 offset:576
	ds_load_b128 v[16:19], v85 offset:592
	ds_load_2addr_b64 v[20:23], v95 offset0:64 offset1:96
	ds_load_2addr_b64 v[104:107], v95 offset0:128 offset1:160
	;; [unrolled: 1-line block ×3, first 2 shown]
	ds_load_2addr_b64 v[108:111], v101 offset1:32
	ds_load_2addr_b64 v[28:31], v101 offset0:64 offset1:96
	ds_load_2addr_b64 v[112:115], v101 offset0:128 offset1:160
	;; [unrolled: 1-line block ×3, first 2 shown]
	ds_load_2addr_b64 v[120:123], v96 offset1:32
	ds_load_b128 v[124:127], v85 offset:608
	ds_load_b128 v[128:131], v85 offset:624
	ds_load_2addr_b64 v[132:135], v96 offset0:64 offset1:96
	ds_load_2addr_b64 v[136:139], v96 offset0:128 offset1:160
	;; [unrolled: 1-line block ×3, first 2 shown]
	ds_load_2addr_b64 v[144:147], v102 offset1:32
	ds_load_2addr_b64 v[148:151], v102 offset0:64 offset1:96
	ds_load_2addr_b64 v[152:155], v102 offset0:128 offset1:160
	ds_load_2addr_b64 v[156:159], v102 offset0:192 offset1:224
	s_wait_dscnt 0x0
	s_barrier_signal -1
	s_barrier_wait -1
	s_clause 0x3
	global_load_b128 v[160:163], v[176:177], off
	global_load_b128 v[164:167], v[176:177], off offset:512
	global_load_b128 v[168:171], v[178:179], off
	global_load_b128 v[172:175], v[178:179], off offset:512
	s_wait_xcnt 0x2
	v_pk_fma_f16 v176, v5, v192, v181
	v_pk_fma_f16 v177, v5, v193, v182
	s_wait_xcnt 0x0
	v_pk_fma_f16 v178, v5, v194, v183
	v_pk_fma_f16 v5, v5, v195, v184
	;; [unrolled: 1-line block ×3, first 2 shown]
	v_and_b32_e32 v184, 0xffff, v8
	v_lshrrev_b32_e32 v8, 16, v8
	v_and_b32_e32 v185, 0xffff, v9
	v_lshrrev_b32_e32 v9, 16, v9
	v_pk_fma_f16 v4, v4, v195, v180
	v_pk_fma_f16 v180, v6, v193, v186
	;; [unrolled: 1-line block ×3, first 2 shown]
	v_mul_u32_u24_e32 v184, 0x10001, v184
	v_mul_u32_u24_e32 v8, 0x10001, v8
	;; [unrolled: 1-line block ×4, first 2 shown]
	v_pk_fma_f16 v6, v6, v195, v188
	v_pk_fma_f16 v182, v7, v192, v189
	v_pk_fma_f16 v183, v7, v193, v190
	v_pk_fma_f16 v187, v12, v184, v197
	v_pk_fma_f16 v188, v12, v8, v198
	v_pk_fma_f16 v189, v12, v185, v199
	v_pk_fma_f16 v12, v12, v9, v200
	v_pk_fma_f16 v198, v20, v184, v212
	v_pk_fma_f16 v199, v20, v8, v213
	v_pk_fma_f16 v200, v20, v185, v214
	v_pk_fma_f16 v4, v20, v9, v4
	v_pk_fma_f16 v20, v21, v184, v176
	v_pk_fma_f16 v176, v21, v8, v177
	v_pk_fma_f16 v177, v21, v185, v178
	v_pk_fma_f16 v5, v21, v9, v5
	v_pk_fma_f16 v21, v22, v184, v179
	v_pk_fma_f16 v178, v22, v8, v180
	v_pk_fma_f16 v179, v22, v185, v181
	v_and_b32_e32 v180, 0xffff, v10
	v_lshrrev_b32_e32 v10, 16, v10
	v_and_b32_e32 v181, 0xffff, v11
	v_lshrrev_b32_e32 v11, 16, v11
	v_pk_fma_f16 v186, v7, v194, v191
	v_pk_fma_f16 v7, v7, v195, v196
	;; [unrolled: 1-line block ×16, first 2 shown]
	v_mul_u32_u24_e32 v180, 0x10001, v180
	v_mul_u32_u24_e32 v10, 0x10001, v10
	;; [unrolled: 1-line block ×4, first 2 shown]
	v_pk_fma_f16 v22, v23, v184, v182
	v_pk_fma_f16 v182, v23, v185, v186
	;; [unrolled: 1-line block ×32, first 2 shown]
	v_and_b32_e32 v10, 0xffff, v16
	v_lshrrev_b32_e32 v16, 16, v16
	v_and_b32_e32 v26, 0xffff, v17
	v_lshrrev_b32_e32 v17, 16, v17
	v_pk_fma_f16 v22, v27, v180, v22
	v_mul_u32_u24_e32 v10, 0x10001, v10
	v_mul_u32_u24_e32 v16, 0x10001, v16
	;; [unrolled: 1-line block ×4, first 2 shown]
	v_pk_fma_f16 v178, v27, v181, v182
	v_pk_fma_f16 v7, v27, v11, v7
	;; [unrolled: 1-line block ×26, first 2 shown]
	v_and_b32_e32 v16, 0xffff, v18
	v_lshrrev_b32_e32 v18, 16, v18
	v_and_b32_e32 v22, 0xffff, v19
	v_pk_fma_f16 v180, v28, v26, v190
	v_pk_fma_f16 v4, v28, v17, v4
	v_mul_u32_u24_e32 v16, 0x10001, v16
	v_mul_u32_u24_e32 v18, 0x10001, v18
	;; [unrolled: 1-line block ×3, first 2 shown]
	v_pk_fma_f16 v28, v29, v26, v176
	v_pk_fma_f16 v5, v29, v17, v5
	;; [unrolled: 1-line block ×4, first 2 shown]
	v_lshrrev_b32_e32 v19, 16, v19
	v_pk_fma_f16 v26, v31, v26, v178
	v_pk_fma_f16 v7, v31, v17, v7
	;; [unrolled: 1-line block ×19, first 2 shown]
	v_and_b32_e32 v16, 0xffff, v124
	v_lshrrev_b32_e32 v18, 16, v124
	v_and_b32_e32 v111, 0xffff, v125
	v_mul_u32_u24_e32 v19, 0x10001, v19
	v_pk_fma_f16 v30, v113, v22, v108
	v_pk_fma_f16 v103, v114, v22, v103
	;; [unrolled: 1-line block ×7, first 2 shown]
	v_mul_u32_u24_e32 v16, 0x10001, v16
	v_mul_u32_u24_e32 v18, 0x10001, v18
	;; [unrolled: 1-line block ×3, first 2 shown]
	v_pk_fma_f16 v12, v112, v19, v12
	v_pk_fma_f16 v13, v113, v19, v13
	;; [unrolled: 1-line block ×7, first 2 shown]
	v_lshrrev_b32_e32 v112, 16, v125
	v_pk_fma_f16 v7, v119, v19, v7
	v_pk_fma_f16 v11, v120, v18, v11
	;; [unrolled: 1-line block ×14, first 2 shown]
	v_lshrrev_b32_e32 v18, 16, v126
	v_mul_u32_u24_e32 v111, 0x10001, v112
	v_pk_fma_f16 v109, v132, v26, v110
	v_and_b32_e32 v110, 0xffff, v127
	v_lshrrev_b32_e32 v112, 16, v127
	v_mul_u32_u24_e32 v18, 0x10001, v18
	v_pk_fma_f16 v9, v120, v16, v9
	v_pk_fma_f16 v17, v120, v26, v17
	;; [unrolled: 1-line block ×16, first 2 shown]
	v_and_b32_e32 v16, 0xffff, v126
	v_pk_fma_f16 v22, v135, v26, v22
	v_mul_u32_u24_e32 v26, 0x10001, v110
	v_pk_fma_f16 v7, v135, v111, v7
	v_pk_fma_f16 v11, v136, v18, v11
	v_pk_fma_f16 v23, v137, v18, v23
	v_pk_fma_f16 v31, v138, v18, v31
	v_pk_fma_f16 v105, v139, v18, v105
	v_pk_fma_f16 v108, v140, v18, v108
	v_pk_fma_f16 v24, v141, v18, v24
	v_pk_fma_f16 v25, v142, v18, v25
	v_pk_fma_f16 v8, v143, v18, v8
	v_lshrrev_b32_e32 v18, 16, v128
	v_mul_u32_u24_e32 v110, 0x10001, v112
	v_and_b32_e32 v111, 0xffff, v129
	v_lshrrev_b32_e32 v112, 16, v129
	v_mul_u32_u24_e32 v16, 0x10001, v16
	v_pk_fma_f16 v17, v136, v26, v17
	v_pk_fma_f16 v27, v137, v26, v27
	v_pk_fma_f16 v103, v138, v26, v103
	v_pk_fma_f16 v106, v139, v26, v106
	v_pk_fma_f16 v109, v140, v26, v109
	v_pk_fma_f16 v4, v140, v110, v4
	v_pk_fma_f16 v28, v141, v26, v28
	v_pk_fma_f16 v5, v141, v110, v5
	v_pk_fma_f16 v29, v142, v26, v29
	v_pk_fma_f16 v6, v142, v110, v6
	v_pk_fma_f16 v22, v143, v26, v22
	v_mul_u32_u24_e32 v26, 0x10001, v111
	v_mul_u32_u24_e32 v111, 0x10001, v112
	v_pk_fma_f16 v9, v136, v16, v9
	v_pk_fma_f16 v12, v136, v110, v12
	;; [unrolled: 1-line block ×12, first 2 shown]
	v_and_b32_e32 v16, 0xffff, v128
	v_pk_fma_f16 v7, v143, v110, v7
	v_pk_fma_f16 v110, v148, v111, v4
	;; [unrolled: 1-line block ×4, first 2 shown]
	v_and_b32_e32 v4, 0xffff, v130
	v_lshrrev_b32_e32 v5, 16, v130
	v_and_b32_e32 v6, 0xffff, v131
	v_mul_u32_u24_e32 v16, 0x10001, v16
	v_mul_u32_u24_e32 v18, 0x10001, v18
	v_pk_fma_f16 v17, v144, v26, v17
	v_pk_fma_f16 v12, v144, v111, v12
	;; [unrolled: 1-line block ×12, first 2 shown]
	v_mul_u32_u24_e32 v26, 0x10001, v4
	v_mul_u32_u24_e32 v114, 0x10001, v5
	;; [unrolled: 1-line block ×3, first 2 shown]
	v_pk_fma_f16 v111, v151, v111, v7
	s_wait_loadcnt 0x3
	ds_store_b128 v86, v[160:163]
	s_wait_loadcnt 0x2
	ds_store_b128 v87, v[164:167]
	;; [unrolled: 2-line block ×4, first 2 shown]
	s_wait_dscnt 0x0
	s_barrier_signal -1
	s_barrier_wait -1
	ds_load_b128 v[4:7], v85 offset:640
	v_pk_fma_f16 v9, v144, v16, v9
	v_pk_fma_f16 v11, v144, v18, v11
	;; [unrolled: 1-line block ×16, first 2 shown]
	v_lshrrev_b32_e32 v8, 16, v131
	v_pk_fma_f16 v117, v152, v26, v9
	v_pk_fma_f16 v118, v152, v114, v11
	;; [unrolled: 1-line block ×4, first 2 shown]
	v_mul_u32_u24_e32 v116, 0x10001, v8
	v_pk_fma_f16 v122, v153, v114, v23
	v_pk_fma_f16 v31, v154, v114, v31
	;; [unrolled: 1-line block ×5, first 2 shown]
	ds_load_2addr_b64 v[8:11], v100 offset1:32
	v_pk_fma_f16 v130, v158, v114, v25
	v_pk_fma_f16 v131, v159, v26, v16
	;; [unrolled: 1-line block ×3, first 2 shown]
	ds_load_2addr_b64 v[16:19], v100 offset0:64 offset1:96
	v_pk_fma_f16 v120, v152, v116, v12
	v_pk_fma_f16 v124, v153, v116, v13
	;; [unrolled: 1-line block ×6, first 2 shown]
	ds_load_b128 v[12:15], v85 offset:656
	s_wait_dscnt 0x3
	v_and_b32_e32 v20, 0xffff, v4
	v_lshrrev_b32_e32 v4, 16, v4
	v_and_b32_e32 v21, 0xffff, v5
	v_lshrrev_b32_e32 v5, 16, v5
	v_pk_fma_f16 v123, v153, v115, v27
	v_pk_fma_f16 v30, v154, v26, v30
	;; [unrolled: 1-line block ×13, first 2 shown]
	v_mul_u32_u24_e32 v116, 0x10001, v20
	v_mul_u32_u24_e32 v4, 0x10001, v4
	;; [unrolled: 1-line block ×4, first 2 shown]
	v_pk_fma_f16 v115, v159, v115, v22
	ds_load_b128 v[20:23], v85 offset:672
	ds_load_b128 v[24:27], v85 offset:688
	s_wait_dscnt 0x4
	v_pk_fma_f16 v117, v8, v116, v117
	v_pk_fma_f16 v118, v8, v4, v118
	;; [unrolled: 1-line block ×16, first 2 shown]
	s_wait_dscnt 0x3
	v_pk_fma_f16 v107, v16, v116, v107
	v_pk_fma_f16 v108, v16, v4, v108
	;; [unrolled: 1-line block ×6, first 2 shown]
	ds_load_2addr_b64 v[8:11], v100 offset0:128 offset1:160
	v_pk_fma_f16 v28, v17, v132, v28
	v_pk_fma_f16 v17, v17, v133, v112
	;; [unrolled: 1-line block ×8, first 2 shown]
	v_and_b32_e32 v116, 0xffff, v6
	v_lshrrev_b32_e32 v129, 16, v6
	v_and_b32_e32 v130, 0xffff, v7
	v_lshrrev_b32_e32 v131, 16, v7
	ds_load_2addr_b64 v[4:7], v100 offset0:192 offset1:224
	v_mul_u32_u24_e32 v116, 0x10001, v116
	v_mul_u32_u24_e32 v129, 0x10001, v129
	;; [unrolled: 1-line block ×4, first 2 shown]
	v_pk_fma_f16 v115, v19, v132, v115
	v_pk_fma_f16 v111, v19, v133, v111
	s_wait_dscnt 0x1
	v_pk_fma_f16 v117, v8, v116, v117
	v_pk_fma_f16 v118, v8, v129, v118
	;; [unrolled: 1-line block ×16, first 2 shown]
	s_wait_dscnt 0x0
	v_pk_fma_f16 v107, v4, v116, v107
	v_pk_fma_f16 v108, v4, v129, v108
	;; [unrolled: 1-line block ×4, first 2 shown]
	ds_load_2addr_b64 v[8:11], v97 offset1:32
	v_pk_fma_f16 v132, v5, v131, v17
	v_pk_fma_f16 v133, v6, v131, v18
	ds_load_2addr_b64 v[16:19], v97 offset0:64 offset1:96
	v_pk_fma_f16 v110, v5, v116, v110
	v_pk_fma_f16 v127, v5, v129, v127
	;; [unrolled: 1-line block ×6, first 2 shown]
	v_and_b32_e32 v5, 0xffff, v12
	v_lshrrev_b32_e32 v6, 16, v12
	v_and_b32_e32 v12, 0xffff, v13
	v_pk_fma_f16 v115, v7, v130, v115
	v_lshrrev_b32_e32 v13, 16, v13
	v_pk_fma_f16 v113, v7, v116, v113
	v_pk_fma_f16 v114, v7, v129, v114
	v_mul_u32_u24_e32 v12, 0x10001, v12
	v_mul_u32_u24_e32 v116, 0x10001, v5
	;; [unrolled: 1-line block ×3, first 2 shown]
	v_pk_fma_f16 v111, v7, v131, v111
	s_mul_u64 s[26:27], s[26:27], s[14:15]
	s_wait_dscnt 0x1
	v_pk_fma_f16 v119, v8, v12, v119
	v_pk_fma_f16 v123, v9, v12, v123
	;; [unrolled: 1-line block ×4, first 2 shown]
	s_wait_dscnt 0x0
	v_pk_fma_f16 v109, v16, v12, v109
	v_pk_fma_f16 v28, v17, v12, v28
	;; [unrolled: 1-line block ×4, first 2 shown]
	v_and_b32_e32 v115, 0xffff, v14
	v_lshrrev_b32_e32 v14, 16, v14
	v_mul_u32_u24_e32 v13, 0x10001, v13
	v_pk_fma_f16 v117, v8, v116, v117
	v_pk_fma_f16 v118, v8, v129, v118
	;; [unrolled: 1-line block ×15, first 2 shown]
	ds_load_2addr_b64 v[4:7], v97 offset0:128 offset1:160
	ds_load_2addr_b64 v[8:11], v97 offset0:192 offset1:224
	v_pk_fma_f16 v110, v17, v116, v110
	v_pk_fma_f16 v112, v18, v116, v112
	;; [unrolled: 1-line block ×3, first 2 shown]
	v_and_b32_e32 v116, 0xffff, v15
	v_lshrrev_b32_e32 v15, 16, v15
	v_pk_fma_f16 v127, v17, v129, v127
	v_pk_fma_f16 v17, v17, v13, v132
	;; [unrolled: 1-line block ×5, first 2 shown]
	v_mul_u32_u24_e32 v115, 0x10001, v115
	v_mul_u32_u24_e32 v14, 0x10001, v14
	;; [unrolled: 1-line block ×4, first 2 shown]
	v_pk_fma_f16 v19, v19, v13, v111
	s_lshl_b64 s[26:27], s[26:27], 2
	s_delay_alu instid0(SALU_CYCLE_1)
	s_add_nc_u64 s[26:27], s[8:9], s[26:27]
	s_wait_dscnt 0x1
	v_pk_fma_f16 v111, v4, v115, v117
	v_pk_fma_f16 v117, v4, v14, v118
	v_pk_fma_f16 v118, v4, v116, v119
	v_pk_fma_f16 v119, v4, v129, v120
	v_pk_fma_f16 v120, v5, v115, v121
	v_pk_fma_f16 v121, v5, v14, v122
	v_pk_fma_f16 v122, v5, v116, v123
	v_pk_fma_f16 v123, v5, v129, v124
	v_pk_fma_f16 v30, v6, v115, v30
	v_pk_fma_f16 v31, v6, v14, v31
	v_pk_fma_f16 v103, v6, v116, v103
	v_pk_fma_f16 v124, v6, v129, v125
	v_pk_fma_f16 v104, v7, v115, v104
	v_pk_fma_f16 v105, v7, v14, v105
	v_pk_fma_f16 v106, v7, v116, v106
	v_pk_fma_f16 v125, v7, v129, v126
	s_wait_dscnt 0x0
	v_pk_fma_f16 v107, v8, v115, v107
	v_pk_fma_f16 v108, v8, v14, v108
	;; [unrolled: 1-line block ×6, first 2 shown]
	ds_load_2addr_b64 v[4:7], v98 offset1:32
	v_pk_fma_f16 v28, v9, v116, v28
	v_pk_fma_f16 v9, v9, v129, v17
	;; [unrolled: 1-line block ×9, first 2 shown]
	ds_load_2addr_b64 v[12:15], v98 offset0:64 offset1:96
	v_and_b32_e32 v115, 0xffff, v20
	v_lshrrev_b32_e32 v20, 16, v20
	v_and_b32_e32 v116, 0xffff, v21
	v_lshrrev_b32_e32 v21, 16, v21
	v_pk_fma_f16 v19, v11, v129, v19
	v_mul_u32_u24_e32 v115, 0x10001, v115
	v_mul_u32_u24_e32 v20, 0x10001, v20
	;; [unrolled: 1-line block ×3, first 2 shown]
	v_add_nc_u64_e32 v[156:157], s[26:27], v[48:49]
	v_add_nc_u64_e32 v[160:161], s[26:27], v[50:51]
	s_wait_dscnt 0x1
	v_pk_fma_f16 v111, v4, v115, v111
	v_pk_fma_f16 v117, v4, v20, v117
	;; [unrolled: 1-line block ×9, first 2 shown]
	s_wait_dscnt 0x0
	v_pk_fma_f16 v108, v12, v20, v108
	v_pk_fma_f16 v110, v13, v20, v110
	;; [unrolled: 1-line block ×5, first 2 shown]
	v_and_b32_e32 v114, 0xffff, v22
	v_lshrrev_b32_e32 v22, 16, v22
	v_mul_u32_u24_e32 v21, 0x10001, v21
	v_pk_fma_f16 v103, v6, v116, v103
	v_pk_fma_f16 v104, v7, v115, v104
	;; [unrolled: 1-line block ×11, first 2 shown]
	ds_load_2addr_b64 v[4:7], v98 offset0:128 offset1:160
	v_pk_fma_f16 v28, v13, v116, v28
	v_pk_fma_f16 v13, v13, v21, v9
	;; [unrolled: 1-line block ×5, first 2 shown]
	ds_load_2addr_b64 v[8:11], v98 offset0:192 offset1:224
	v_pk_fma_f16 v18, v15, v115, v18
	v_and_b32_e32 v115, 0xffff, v23
	v_lshrrev_b32_e32 v23, 16, v23
	v_mul_u32_u24_e32 v114, 0x10001, v114
	v_mul_u32_u24_e32 v22, 0x10001, v22
	v_pk_fma_f16 v19, v15, v21, v19
	v_mul_u32_u24_e32 v115, 0x10001, v115
	v_mul_u32_u24_e32 v23, 0x10001, v23
	v_add_nc_u64_e32 v[176:177], v[156:157], v[36:37]
	v_add_nc_u64_e32 v[178:179], v[160:161], v[36:37]
	s_or_b32 s26, s4, 0x70
	s_delay_alu instid0(SALU_CYCLE_1)
	s_ashr_i32 s27, s26, 31
	s_wait_dscnt 0x1
	v_pk_fma_f16 v21, v4, v114, v111
	v_pk_fma_f16 v111, v4, v22, v117
	;; [unrolled: 1-line block ×16, first 2 shown]
	s_wait_dscnt 0x0
	v_pk_fma_f16 v107, v8, v114, v107
	v_pk_fma_f16 v108, v8, v22, v108
	v_pk_fma_f16 v109, v8, v115, v109
	v_pk_fma_f16 v8, v8, v23, v12
	ds_load_2addr_b64 v[4:7], v99 offset1:32
	v_pk_fma_f16 v124, v9, v23, v13
	v_pk_fma_f16 v125, v10, v23, v14
	ds_load_2addr_b64 v[12:15], v99 offset0:64 offset1:96
	v_pk_fma_f16 v16, v9, v114, v16
	v_pk_fma_f16 v110, v9, v22, v110
	;; [unrolled: 1-line block ×6, first 2 shown]
	v_and_b32_e32 v9, 0xffff, v24
	v_lshrrev_b32_e32 v10, 16, v24
	v_and_b32_e32 v24, 0xffff, v25
	v_lshrrev_b32_e32 v25, 16, v25
	v_pk_fma_f16 v18, v11, v114, v18
	v_pk_fma_f16 v20, v11, v22, v20
	;; [unrolled: 1-line block ×3, first 2 shown]
	v_mul_u32_u24_e32 v113, 0x10001, v9
	v_mul_u32_u24_e32 v114, 0x10001, v10
	;; [unrolled: 1-line block ×4, first 2 shown]
	v_pk_fma_f16 v19, v11, v23, v19
	s_wait_dscnt 0x1
	v_pk_fma_f16 v21, v4, v113, v21
	v_pk_fma_f16 v23, v4, v114, v111
	;; [unrolled: 1-line block ×16, first 2 shown]
	s_wait_dscnt 0x0
	v_pk_fma_f16 v180, v12, v25, v8
	ds_load_2addr_b64 v[8:11], v99 offset0:128 offset1:160
	ds_load_2addr_b64 v[4:7], v99 offset0:192 offset1:224
	v_pk_fma_f16 v107, v12, v113, v107
	v_pk_fma_f16 v108, v12, v114, v108
	;; [unrolled: 1-line block ×11, first 2 shown]
	v_and_b32_e32 v12, 0xffff, v26
	v_lshrrev_b32_e32 v13, 16, v26
	v_and_b32_e32 v14, 0xffff, v27
	v_lshrrev_b32_e32 v16, 16, v27
	v_pk_fma_f16 v189, v15, v113, v18
	v_mul_u32_u24_e32 v192, 0x10001, v12
	v_mul_u32_u24_e32 v193, 0x10001, v13
	;; [unrolled: 1-line block ×4, first 2 shown]
	v_pk_fma_f16 v190, v15, v114, v20
	v_pk_fma_f16 v191, v15, v24, v22
	;; [unrolled: 1-line block ×3, first 2 shown]
	s_wait_dscnt 0x1
	v_pk_fma_f16 v197, v8, v192, v21
	v_pk_fma_f16 v198, v8, v193, v23
	v_pk_fma_f16 v199, v8, v194, v111
	v_pk_fma_f16 v200, v8, v195, v115
	v_pk_fma_f16 v201, v9, v192, v116
	v_pk_fma_f16 v202, v9, v193, v117
	v_pk_fma_f16 v203, v9, v194, v118
	v_pk_fma_f16 v204, v9, v195, v119
	v_pk_fma_f16 v205, v10, v192, v30
	v_pk_fma_f16 v206, v10, v193, v31
	v_pk_fma_f16 v103, v10, v194, v103
	v_pk_fma_f16 v207, v10, v195, v120
	v_pk_fma_f16 v208, v11, v192, v104
	v_pk_fma_f16 v209, v11, v193, v105
	v_pk_fma_f16 v210, v11, v194, v106
	v_pk_fma_f16 v211, v11, v195, v121
	s_wait_dscnt 0x0
	v_pk_fma_f16 v212, v4, v192, v107
	v_pk_fma_f16 v213, v4, v193, v108
	;; [unrolled: 1-line block ×3, first 2 shown]
	ds_load_2addr_b64 v[12:15], v95 offset1:32
	ds_load_b128 v[8:11], v85 offset:704
	ds_load_b128 v[16:19], v85 offset:720
	ds_load_2addr_b64 v[20:23], v95 offset0:64 offset1:96
	ds_load_2addr_b64 v[104:107], v95 offset0:128 offset1:160
	;; [unrolled: 1-line block ×3, first 2 shown]
	ds_load_2addr_b64 v[108:111], v101 offset1:32
	ds_load_2addr_b64 v[28:31], v101 offset0:64 offset1:96
	ds_load_2addr_b64 v[112:115], v101 offset0:128 offset1:160
	;; [unrolled: 1-line block ×3, first 2 shown]
	ds_load_2addr_b64 v[120:123], v96 offset1:32
	ds_load_b128 v[124:127], v85 offset:736
	ds_load_b128 v[128:131], v85 offset:752
	ds_load_2addr_b64 v[132:135], v96 offset0:64 offset1:96
	ds_load_2addr_b64 v[136:139], v96 offset0:128 offset1:160
	ds_load_2addr_b64 v[140:143], v96 offset0:192 offset1:224
	ds_load_2addr_b64 v[144:147], v102 offset1:32
	ds_load_2addr_b64 v[148:151], v102 offset0:64 offset1:96
	ds_load_2addr_b64 v[152:155], v102 offset0:128 offset1:160
	;; [unrolled: 1-line block ×3, first 2 shown]
	s_wait_dscnt 0x0
	s_barrier_signal -1
	s_barrier_wait -1
	s_clause 0x3
	global_load_b128 v[160:163], v[176:177], off
	global_load_b128 v[164:167], v[176:177], off offset:512
	global_load_b128 v[168:171], v[178:179], off
	global_load_b128 v[172:175], v[178:179], off offset:512
	s_wait_xcnt 0x2
	v_pk_fma_f16 v176, v5, v192, v181
	v_pk_fma_f16 v177, v5, v193, v182
	s_wait_xcnt 0x0
	v_pk_fma_f16 v178, v5, v194, v183
	v_pk_fma_f16 v5, v5, v195, v184
	;; [unrolled: 1-line block ×3, first 2 shown]
	v_and_b32_e32 v184, 0xffff, v8
	v_lshrrev_b32_e32 v8, 16, v8
	v_and_b32_e32 v185, 0xffff, v9
	v_lshrrev_b32_e32 v9, 16, v9
	v_pk_fma_f16 v4, v4, v195, v180
	v_pk_fma_f16 v180, v6, v193, v186
	;; [unrolled: 1-line block ×3, first 2 shown]
	v_mul_u32_u24_e32 v184, 0x10001, v184
	v_mul_u32_u24_e32 v8, 0x10001, v8
	;; [unrolled: 1-line block ×4, first 2 shown]
	v_pk_fma_f16 v6, v6, v195, v188
	v_pk_fma_f16 v182, v7, v192, v189
	;; [unrolled: 1-line block ×18, first 2 shown]
	v_and_b32_e32 v180, 0xffff, v10
	v_lshrrev_b32_e32 v10, 16, v10
	v_and_b32_e32 v181, 0xffff, v11
	v_lshrrev_b32_e32 v11, 16, v11
	v_pk_fma_f16 v186, v7, v194, v191
	v_pk_fma_f16 v7, v7, v195, v196
	;; [unrolled: 1-line block ×16, first 2 shown]
	v_mul_u32_u24_e32 v180, 0x10001, v180
	v_mul_u32_u24_e32 v10, 0x10001, v10
	;; [unrolled: 1-line block ×4, first 2 shown]
	v_pk_fma_f16 v22, v23, v184, v182
	v_pk_fma_f16 v182, v23, v185, v186
	;; [unrolled: 1-line block ×32, first 2 shown]
	v_and_b32_e32 v10, 0xffff, v16
	v_lshrrev_b32_e32 v16, 16, v16
	v_and_b32_e32 v26, 0xffff, v17
	v_lshrrev_b32_e32 v17, 16, v17
	v_pk_fma_f16 v22, v27, v180, v22
	v_mul_u32_u24_e32 v10, 0x10001, v10
	v_mul_u32_u24_e32 v16, 0x10001, v16
	v_mul_u32_u24_e32 v26, 0x10001, v26
	v_mul_u32_u24_e32 v17, 0x10001, v17
	v_pk_fma_f16 v178, v27, v181, v182
	v_pk_fma_f16 v7, v27, v11, v7
	;; [unrolled: 1-line block ×26, first 2 shown]
	v_and_b32_e32 v16, 0xffff, v18
	v_lshrrev_b32_e32 v18, 16, v18
	v_and_b32_e32 v22, 0xffff, v19
	v_pk_fma_f16 v180, v28, v26, v190
	v_pk_fma_f16 v4, v28, v17, v4
	v_mul_u32_u24_e32 v16, 0x10001, v16
	v_mul_u32_u24_e32 v18, 0x10001, v18
	;; [unrolled: 1-line block ×3, first 2 shown]
	v_pk_fma_f16 v28, v29, v26, v176
	v_pk_fma_f16 v5, v29, v17, v5
	;; [unrolled: 1-line block ×4, first 2 shown]
	v_lshrrev_b32_e32 v19, 16, v19
	v_pk_fma_f16 v26, v31, v26, v178
	v_pk_fma_f16 v7, v31, v17, v7
	;; [unrolled: 1-line block ×19, first 2 shown]
	v_and_b32_e32 v16, 0xffff, v124
	v_lshrrev_b32_e32 v18, 16, v124
	v_and_b32_e32 v111, 0xffff, v125
	v_mul_u32_u24_e32 v19, 0x10001, v19
	v_pk_fma_f16 v30, v113, v22, v108
	v_pk_fma_f16 v103, v114, v22, v103
	;; [unrolled: 1-line block ×7, first 2 shown]
	v_mul_u32_u24_e32 v16, 0x10001, v16
	v_mul_u32_u24_e32 v18, 0x10001, v18
	v_mul_u32_u24_e32 v26, 0x10001, v111
	v_pk_fma_f16 v12, v112, v19, v12
	v_pk_fma_f16 v13, v113, v19, v13
	;; [unrolled: 1-line block ×7, first 2 shown]
	v_lshrrev_b32_e32 v112, 16, v125
	v_pk_fma_f16 v7, v119, v19, v7
	v_pk_fma_f16 v11, v120, v18, v11
	v_pk_fma_f16 v19, v121, v16, v23
	v_pk_fma_f16 v23, v121, v18, v27
	v_pk_fma_f16 v27, v121, v26, v30
	v_pk_fma_f16 v30, v122, v16, v31
	v_pk_fma_f16 v31, v122, v18, v104
	v_pk_fma_f16 v104, v123, v16, v105
	v_pk_fma_f16 v105, v123, v18, v106
	v_pk_fma_f16 v106, v123, v26, v108
	v_pk_fma_f16 v108, v132, v18, v109
	v_pk_fma_f16 v24, v133, v18, v24
	v_pk_fma_f16 v25, v134, v18, v25
	v_pk_fma_f16 v8, v135, v18, v8
	v_lshrrev_b32_e32 v18, 16, v126
	v_mul_u32_u24_e32 v111, 0x10001, v112
	v_pk_fma_f16 v109, v132, v26, v110
	v_and_b32_e32 v110, 0xffff, v127
	v_lshrrev_b32_e32 v112, 16, v127
	v_mul_u32_u24_e32 v18, 0x10001, v18
	v_pk_fma_f16 v9, v120, v16, v9
	v_pk_fma_f16 v17, v120, v26, v17
	;; [unrolled: 1-line block ×16, first 2 shown]
	v_and_b32_e32 v16, 0xffff, v126
	v_pk_fma_f16 v22, v135, v26, v22
	v_mul_u32_u24_e32 v26, 0x10001, v110
	v_pk_fma_f16 v7, v135, v111, v7
	v_pk_fma_f16 v11, v136, v18, v11
	;; [unrolled: 1-line block ×9, first 2 shown]
	v_lshrrev_b32_e32 v18, 16, v128
	v_mul_u32_u24_e32 v110, 0x10001, v112
	v_and_b32_e32 v111, 0xffff, v129
	v_lshrrev_b32_e32 v112, 16, v129
	v_mul_u32_u24_e32 v16, 0x10001, v16
	v_pk_fma_f16 v17, v136, v26, v17
	v_pk_fma_f16 v27, v137, v26, v27
	;; [unrolled: 1-line block ×11, first 2 shown]
	v_mul_u32_u24_e32 v26, 0x10001, v111
	v_mul_u32_u24_e32 v111, 0x10001, v112
	v_pk_fma_f16 v9, v136, v16, v9
	v_pk_fma_f16 v12, v136, v110, v12
	;; [unrolled: 1-line block ×12, first 2 shown]
	v_and_b32_e32 v16, 0xffff, v128
	v_pk_fma_f16 v7, v143, v110, v7
	v_pk_fma_f16 v110, v148, v111, v4
	;; [unrolled: 1-line block ×4, first 2 shown]
	v_and_b32_e32 v4, 0xffff, v130
	v_lshrrev_b32_e32 v5, 16, v130
	v_and_b32_e32 v6, 0xffff, v131
	v_mul_u32_u24_e32 v16, 0x10001, v16
	v_mul_u32_u24_e32 v18, 0x10001, v18
	v_pk_fma_f16 v17, v144, v26, v17
	v_pk_fma_f16 v12, v144, v111, v12
	;; [unrolled: 1-line block ×12, first 2 shown]
	v_mul_u32_u24_e32 v26, 0x10001, v4
	v_mul_u32_u24_e32 v114, 0x10001, v5
	;; [unrolled: 1-line block ×3, first 2 shown]
	v_pk_fma_f16 v111, v151, v111, v7
	s_wait_loadcnt 0x3
	ds_store_b128 v86, v[160:163]
	s_wait_loadcnt 0x2
	ds_store_b128 v87, v[164:167]
	;; [unrolled: 2-line block ×4, first 2 shown]
	s_wait_dscnt 0x0
	s_barrier_signal -1
	s_barrier_wait -1
	ds_load_b128 v[4:7], v85 offset:768
	v_pk_fma_f16 v9, v144, v16, v9
	v_pk_fma_f16 v11, v144, v18, v11
	;; [unrolled: 1-line block ×16, first 2 shown]
	v_lshrrev_b32_e32 v8, 16, v131
	v_pk_fma_f16 v117, v152, v26, v9
	v_pk_fma_f16 v118, v152, v114, v11
	;; [unrolled: 1-line block ×4, first 2 shown]
	v_mul_u32_u24_e32 v116, 0x10001, v8
	v_pk_fma_f16 v122, v153, v114, v23
	v_pk_fma_f16 v31, v154, v114, v31
	;; [unrolled: 1-line block ×5, first 2 shown]
	ds_load_2addr_b64 v[8:11], v100 offset1:32
	v_pk_fma_f16 v130, v158, v114, v25
	v_pk_fma_f16 v131, v159, v26, v16
	v_pk_fma_f16 v114, v159, v114, v18
	ds_load_2addr_b64 v[16:19], v100 offset0:64 offset1:96
	v_pk_fma_f16 v120, v152, v116, v12
	v_pk_fma_f16 v124, v153, v116, v13
	;; [unrolled: 1-line block ×6, first 2 shown]
	ds_load_b128 v[12:15], v85 offset:784
	s_wait_dscnt 0x3
	v_and_b32_e32 v20, 0xffff, v4
	v_lshrrev_b32_e32 v4, 16, v4
	v_and_b32_e32 v21, 0xffff, v5
	v_lshrrev_b32_e32 v5, 16, v5
	v_pk_fma_f16 v123, v153, v115, v27
	v_pk_fma_f16 v30, v154, v26, v30
	;; [unrolled: 1-line block ×13, first 2 shown]
	v_mul_u32_u24_e32 v116, 0x10001, v20
	v_mul_u32_u24_e32 v4, 0x10001, v4
	;; [unrolled: 1-line block ×4, first 2 shown]
	v_pk_fma_f16 v115, v159, v115, v22
	ds_load_b128 v[20:23], v85 offset:800
	ds_load_b128 v[24:27], v85 offset:816
	s_wait_dscnt 0x4
	v_pk_fma_f16 v117, v8, v116, v117
	v_pk_fma_f16 v118, v8, v4, v118
	;; [unrolled: 1-line block ×16, first 2 shown]
	s_wait_dscnt 0x3
	v_pk_fma_f16 v107, v16, v116, v107
	v_pk_fma_f16 v108, v16, v4, v108
	v_pk_fma_f16 v109, v16, v132, v109
	v_pk_fma_f16 v16, v16, v133, v110
	v_pk_fma_f16 v110, v17, v116, v127
	v_pk_fma_f16 v127, v17, v4, v128
	ds_load_2addr_b64 v[8:11], v100 offset0:128 offset1:160
	v_pk_fma_f16 v28, v17, v132, v28
	v_pk_fma_f16 v17, v17, v133, v112
	;; [unrolled: 1-line block ×8, first 2 shown]
	v_and_b32_e32 v116, 0xffff, v6
	v_lshrrev_b32_e32 v129, 16, v6
	v_and_b32_e32 v130, 0xffff, v7
	v_lshrrev_b32_e32 v131, 16, v7
	ds_load_2addr_b64 v[4:7], v100 offset0:192 offset1:224
	v_mul_u32_u24_e32 v116, 0x10001, v116
	v_mul_u32_u24_e32 v129, 0x10001, v129
	;; [unrolled: 1-line block ×4, first 2 shown]
	v_pk_fma_f16 v115, v19, v132, v115
	v_pk_fma_f16 v111, v19, v133, v111
	s_wait_dscnt 0x1
	v_pk_fma_f16 v117, v8, v116, v117
	v_pk_fma_f16 v118, v8, v129, v118
	;; [unrolled: 1-line block ×16, first 2 shown]
	s_wait_dscnt 0x0
	v_pk_fma_f16 v107, v4, v116, v107
	v_pk_fma_f16 v108, v4, v129, v108
	;; [unrolled: 1-line block ×4, first 2 shown]
	ds_load_2addr_b64 v[8:11], v97 offset1:32
	v_pk_fma_f16 v132, v5, v131, v17
	v_pk_fma_f16 v133, v6, v131, v18
	ds_load_2addr_b64 v[16:19], v97 offset0:64 offset1:96
	v_pk_fma_f16 v110, v5, v116, v110
	v_pk_fma_f16 v127, v5, v129, v127
	;; [unrolled: 1-line block ×6, first 2 shown]
	v_and_b32_e32 v5, 0xffff, v12
	v_lshrrev_b32_e32 v6, 16, v12
	v_and_b32_e32 v12, 0xffff, v13
	v_pk_fma_f16 v115, v7, v130, v115
	v_lshrrev_b32_e32 v13, 16, v13
	v_pk_fma_f16 v113, v7, v116, v113
	v_pk_fma_f16 v114, v7, v129, v114
	v_mul_u32_u24_e32 v12, 0x10001, v12
	v_mul_u32_u24_e32 v116, 0x10001, v5
	;; [unrolled: 1-line block ×3, first 2 shown]
	v_pk_fma_f16 v111, v7, v131, v111
	s_mul_u64 s[26:27], s[26:27], s[14:15]
	s_wait_dscnt 0x1
	v_pk_fma_f16 v119, v8, v12, v119
	v_pk_fma_f16 v123, v9, v12, v123
	;; [unrolled: 1-line block ×4, first 2 shown]
	s_wait_dscnt 0x0
	v_pk_fma_f16 v109, v16, v12, v109
	v_pk_fma_f16 v28, v17, v12, v28
	;; [unrolled: 1-line block ×4, first 2 shown]
	v_and_b32_e32 v115, 0xffff, v14
	v_lshrrev_b32_e32 v14, 16, v14
	v_mul_u32_u24_e32 v13, 0x10001, v13
	v_pk_fma_f16 v117, v8, v116, v117
	v_pk_fma_f16 v118, v8, v129, v118
	v_pk_fma_f16 v121, v9, v116, v121
	v_pk_fma_f16 v122, v9, v129, v122
	v_pk_fma_f16 v120, v8, v13, v120
	v_pk_fma_f16 v124, v9, v13, v124
	v_pk_fma_f16 v30, v10, v116, v30
	v_pk_fma_f16 v31, v10, v129, v31
	v_pk_fma_f16 v125, v10, v13, v125
	v_pk_fma_f16 v104, v11, v116, v104
	v_pk_fma_f16 v105, v11, v129, v105
	v_pk_fma_f16 v126, v11, v13, v126
	v_pk_fma_f16 v107, v16, v116, v107
	v_pk_fma_f16 v108, v16, v129, v108
	v_pk_fma_f16 v16, v16, v13, v4
	ds_load_2addr_b64 v[4:7], v97 offset0:128 offset1:160
	ds_load_2addr_b64 v[8:11], v97 offset0:192 offset1:224
	v_pk_fma_f16 v110, v17, v116, v110
	v_pk_fma_f16 v112, v18, v116, v112
	;; [unrolled: 1-line block ×3, first 2 shown]
	v_and_b32_e32 v116, 0xffff, v15
	v_lshrrev_b32_e32 v15, 16, v15
	v_pk_fma_f16 v127, v17, v129, v127
	v_pk_fma_f16 v17, v17, v13, v132
	;; [unrolled: 1-line block ×5, first 2 shown]
	v_mul_u32_u24_e32 v115, 0x10001, v115
	v_mul_u32_u24_e32 v14, 0x10001, v14
	;; [unrolled: 1-line block ×4, first 2 shown]
	v_pk_fma_f16 v19, v19, v13, v111
	s_lshl_b64 s[26:27], s[26:27], 2
	s_delay_alu instid0(SALU_CYCLE_1)
	s_add_nc_u64 s[26:27], s[8:9], s[26:27]
	s_wait_dscnt 0x1
	v_pk_fma_f16 v111, v4, v115, v117
	v_pk_fma_f16 v117, v4, v14, v118
	;; [unrolled: 1-line block ×16, first 2 shown]
	s_wait_dscnt 0x0
	v_pk_fma_f16 v107, v8, v115, v107
	v_pk_fma_f16 v108, v8, v14, v108
	;; [unrolled: 1-line block ×6, first 2 shown]
	ds_load_2addr_b64 v[4:7], v98 offset1:32
	v_pk_fma_f16 v28, v9, v116, v28
	v_pk_fma_f16 v9, v9, v129, v17
	;; [unrolled: 1-line block ×9, first 2 shown]
	ds_load_2addr_b64 v[12:15], v98 offset0:64 offset1:96
	v_and_b32_e32 v115, 0xffff, v20
	v_lshrrev_b32_e32 v20, 16, v20
	v_and_b32_e32 v116, 0xffff, v21
	v_lshrrev_b32_e32 v21, 16, v21
	v_pk_fma_f16 v19, v11, v129, v19
	v_mul_u32_u24_e32 v115, 0x10001, v115
	v_mul_u32_u24_e32 v20, 0x10001, v20
	;; [unrolled: 1-line block ×3, first 2 shown]
	v_add_nc_u64_e32 v[156:157], s[26:27], v[48:49]
	v_add_nc_u64_e32 v[160:161], s[26:27], v[50:51]
	s_wait_dscnt 0x1
	v_pk_fma_f16 v111, v4, v115, v111
	v_pk_fma_f16 v117, v4, v20, v117
	;; [unrolled: 1-line block ×9, first 2 shown]
	s_wait_dscnt 0x0
	v_pk_fma_f16 v108, v12, v20, v108
	v_pk_fma_f16 v110, v13, v20, v110
	;; [unrolled: 1-line block ×5, first 2 shown]
	v_and_b32_e32 v114, 0xffff, v22
	v_lshrrev_b32_e32 v22, 16, v22
	v_mul_u32_u24_e32 v21, 0x10001, v21
	v_pk_fma_f16 v103, v6, v116, v103
	v_pk_fma_f16 v104, v7, v115, v104
	;; [unrolled: 1-line block ×11, first 2 shown]
	ds_load_2addr_b64 v[4:7], v98 offset0:128 offset1:160
	v_pk_fma_f16 v28, v13, v116, v28
	v_pk_fma_f16 v13, v13, v21, v9
	;; [unrolled: 1-line block ×5, first 2 shown]
	ds_load_2addr_b64 v[8:11], v98 offset0:192 offset1:224
	v_pk_fma_f16 v18, v15, v115, v18
	v_and_b32_e32 v115, 0xffff, v23
	v_lshrrev_b32_e32 v23, 16, v23
	v_mul_u32_u24_e32 v114, 0x10001, v114
	v_mul_u32_u24_e32 v22, 0x10001, v22
	v_pk_fma_f16 v19, v15, v21, v19
	v_mul_u32_u24_e32 v115, 0x10001, v115
	v_mul_u32_u24_e32 v23, 0x10001, v23
	v_add_nc_u64_e32 v[176:177], v[156:157], v[36:37]
	v_add_nc_u64_e32 v[178:179], v[160:161], v[36:37]
	s_wait_dscnt 0x1
	v_pk_fma_f16 v21, v4, v114, v111
	v_pk_fma_f16 v111, v4, v22, v117
	;; [unrolled: 1-line block ×16, first 2 shown]
	s_wait_dscnt 0x0
	v_pk_fma_f16 v107, v8, v114, v107
	v_pk_fma_f16 v108, v8, v22, v108
	;; [unrolled: 1-line block ×4, first 2 shown]
	ds_load_2addr_b64 v[4:7], v99 offset1:32
	v_pk_fma_f16 v124, v9, v23, v13
	v_pk_fma_f16 v125, v10, v23, v14
	ds_load_2addr_b64 v[12:15], v99 offset0:64 offset1:96
	v_pk_fma_f16 v16, v9, v114, v16
	v_pk_fma_f16 v110, v9, v22, v110
	;; [unrolled: 1-line block ×6, first 2 shown]
	v_and_b32_e32 v9, 0xffff, v24
	v_lshrrev_b32_e32 v10, 16, v24
	v_and_b32_e32 v24, 0xffff, v25
	v_lshrrev_b32_e32 v25, 16, v25
	v_pk_fma_f16 v18, v11, v114, v18
	v_pk_fma_f16 v20, v11, v22, v20
	;; [unrolled: 1-line block ×3, first 2 shown]
	v_mul_u32_u24_e32 v113, 0x10001, v9
	v_mul_u32_u24_e32 v114, 0x10001, v10
	;; [unrolled: 1-line block ×4, first 2 shown]
	v_pk_fma_f16 v19, v11, v23, v19
	s_wait_dscnt 0x1
	v_pk_fma_f16 v21, v4, v113, v21
	v_pk_fma_f16 v23, v4, v114, v111
	;; [unrolled: 1-line block ×16, first 2 shown]
	s_wait_dscnt 0x0
	v_pk_fma_f16 v180, v12, v25, v8
	ds_load_2addr_b64 v[8:11], v99 offset0:128 offset1:160
	ds_load_2addr_b64 v[4:7], v99 offset0:192 offset1:224
	v_pk_fma_f16 v107, v12, v113, v107
	v_pk_fma_f16 v108, v12, v114, v108
	;; [unrolled: 1-line block ×11, first 2 shown]
	v_and_b32_e32 v12, 0xffff, v26
	v_lshrrev_b32_e32 v13, 16, v26
	v_and_b32_e32 v14, 0xffff, v27
	v_lshrrev_b32_e32 v16, 16, v27
	v_pk_fma_f16 v189, v15, v113, v18
	v_mul_u32_u24_e32 v192, 0x10001, v12
	v_mul_u32_u24_e32 v193, 0x10001, v13
	;; [unrolled: 1-line block ×4, first 2 shown]
	v_pk_fma_f16 v190, v15, v114, v20
	v_pk_fma_f16 v191, v15, v24, v22
	;; [unrolled: 1-line block ×3, first 2 shown]
	s_wait_dscnt 0x1
	v_pk_fma_f16 v197, v8, v192, v21
	v_pk_fma_f16 v198, v8, v193, v23
	;; [unrolled: 1-line block ×16, first 2 shown]
	s_wait_dscnt 0x0
	v_pk_fma_f16 v212, v4, v192, v107
	v_pk_fma_f16 v213, v4, v193, v108
	;; [unrolled: 1-line block ×3, first 2 shown]
	ds_load_2addr_b64 v[12:15], v95 offset1:32
	ds_load_b128 v[8:11], v85 offset:832
	ds_load_b128 v[16:19], v85 offset:848
	ds_load_2addr_b64 v[20:23], v95 offset0:64 offset1:96
	ds_load_2addr_b64 v[104:107], v95 offset0:128 offset1:160
	;; [unrolled: 1-line block ×3, first 2 shown]
	ds_load_2addr_b64 v[108:111], v101 offset1:32
	ds_load_2addr_b64 v[28:31], v101 offset0:64 offset1:96
	ds_load_2addr_b64 v[112:115], v101 offset0:128 offset1:160
	;; [unrolled: 1-line block ×3, first 2 shown]
	ds_load_2addr_b64 v[120:123], v96 offset1:32
	ds_load_b128 v[124:127], v85 offset:864
	ds_load_b128 v[128:131], v85 offset:880
	ds_load_2addr_b64 v[132:135], v96 offset0:64 offset1:96
	ds_load_2addr_b64 v[136:139], v96 offset0:128 offset1:160
	;; [unrolled: 1-line block ×3, first 2 shown]
	ds_load_2addr_b64 v[144:147], v102 offset1:32
	ds_load_2addr_b64 v[148:151], v102 offset0:64 offset1:96
	ds_load_2addr_b64 v[152:155], v102 offset0:128 offset1:160
	;; [unrolled: 1-line block ×3, first 2 shown]
	s_wait_dscnt 0x0
	s_barrier_signal -1
	s_barrier_wait -1
	s_clause 0x3
	global_load_b128 v[160:163], v[176:177], off
	global_load_b128 v[164:167], v[176:177], off offset:512
	global_load_b128 v[168:171], v[178:179], off
	global_load_b128 v[172:175], v[178:179], off offset:512
	v_pk_fma_f16 v36, v5, v192, v181
	s_wait_xcnt 0x2
	v_pk_fma_f16 v176, v5, v193, v182
	v_pk_fma_f16 v177, v5, v194, v183
	;; [unrolled: 1-line block ×3, first 2 shown]
	v_and_b32_e32 v183, 0xffff, v8
	v_lshrrev_b32_e32 v8, 16, v8
	v_and_b32_e32 v184, 0xffff, v9
	v_lshrrev_b32_e32 v9, 16, v9
	v_pk_fma_f16 v4, v4, v195, v180
	s_wait_xcnt 0x0
	v_pk_fma_f16 v178, v6, v192, v185
	v_pk_fma_f16 v179, v6, v193, v186
	;; [unrolled: 1-line block ×3, first 2 shown]
	v_mul_u32_u24_e32 v183, 0x10001, v183
	v_mul_u32_u24_e32 v8, 0x10001, v8
	;; [unrolled: 1-line block ×4, first 2 shown]
	v_pk_fma_f16 v6, v6, v195, v188
	v_pk_fma_f16 v182, v7, v193, v190
	;; [unrolled: 1-line block ×16, first 2 shown]
	v_and_b32_e32 v179, 0xffff, v10
	v_lshrrev_b32_e32 v10, 16, v10
	v_and_b32_e32 v180, 0xffff, v11
	v_lshrrev_b32_e32 v11, 16, v11
	v_pk_fma_f16 v181, v7, v192, v189
	v_pk_fma_f16 v185, v7, v194, v191
	;; [unrolled: 1-line block ×18, first 2 shown]
	v_mul_u32_u24_e32 v179, 0x10001, v179
	v_mul_u32_u24_e32 v10, 0x10001, v10
	;; [unrolled: 1-line block ×4, first 2 shown]
	v_pk_fma_f16 v22, v23, v183, v181
	v_pk_fma_f16 v181, v23, v184, v185
	v_pk_fma_f16 v7, v23, v9, v7
	v_pk_fma_f16 v9, v104, v179, v186
	v_pk_fma_f16 v23, v104, v10, v187
	v_pk_fma_f16 v182, v104, v180, v188
	v_pk_fma_f16 v12, v104, v11, v12
	v_pk_fma_f16 v104, v105, v179, v189
	v_pk_fma_f16 v183, v105, v10, v190
	v_pk_fma_f16 v184, v105, v180, v191
	v_pk_fma_f16 v13, v105, v11, v13
	v_pk_fma_f16 v105, v106, v179, v192
	v_pk_fma_f16 v185, v106, v10, v193
	v_pk_fma_f16 v103, v106, v180, v103
	v_pk_fma_f16 v14, v106, v11, v14
	v_pk_fma_f16 v106, v107, v179, v194
	v_pk_fma_f16 v186, v107, v10, v195
	v_pk_fma_f16 v187, v107, v180, v196
	v_pk_fma_f16 v15, v107, v11, v15
	v_pk_fma_f16 v107, v24, v179, v197
	v_pk_fma_f16 v188, v24, v10, v198
	v_pk_fma_f16 v189, v24, v180, v199
	v_pk_fma_f16 v4, v24, v11, v4
	v_pk_fma_f16 v20, v25, v179, v20
	v_pk_fma_f16 v24, v25, v10, v36
	v_pk_fma_f16 v36, v25, v180, v176
	v_pk_fma_f16 v5, v25, v11, v5
	v_pk_fma_f16 v21, v26, v179, v21
	v_pk_fma_f16 v25, v26, v10, v177
	v_pk_fma_f16 v176, v26, v180, v178
	v_pk_fma_f16 v6, v26, v11, v6
	v_pk_fma_f16 v8, v27, v10, v8
	v_and_b32_e32 v10, 0xffff, v16
	v_lshrrev_b32_e32 v16, 16, v16
	v_and_b32_e32 v26, 0xffff, v17
	v_lshrrev_b32_e32 v17, 16, v17
	v_pk_fma_f16 v22, v27, v179, v22
	v_mul_u32_u24_e32 v10, 0x10001, v10
	v_mul_u32_u24_e32 v16, 0x10001, v16
	;; [unrolled: 1-line block ×4, first 2 shown]
	v_pk_fma_f16 v177, v27, v180, v181
	v_pk_fma_f16 v7, v27, v11, v7
	;; [unrolled: 1-line block ×26, first 2 shown]
	v_and_b32_e32 v16, 0xffff, v18
	v_lshrrev_b32_e32 v18, 16, v18
	v_and_b32_e32 v22, 0xffff, v19
	v_pk_fma_f16 v179, v28, v26, v189
	v_pk_fma_f16 v4, v28, v17, v4
	v_mul_u32_u24_e32 v16, 0x10001, v16
	v_mul_u32_u24_e32 v18, 0x10001, v18
	v_mul_u32_u24_e32 v22, 0x10001, v22
	v_pk_fma_f16 v28, v29, v26, v36
	v_pk_fma_f16 v5, v29, v17, v5
	v_pk_fma_f16 v29, v30, v26, v176
	v_pk_fma_f16 v6, v30, v17, v6
	v_lshrrev_b32_e32 v19, 16, v19
	v_pk_fma_f16 v26, v31, v26, v177
	v_pk_fma_f16 v7, v31, v17, v7
	;; [unrolled: 1-line block ×20, first 2 shown]
	v_and_b32_e32 v16, 0xffff, v124
	v_lshrrev_b32_e32 v18, 16, v124
	v_and_b32_e32 v110, 0xffff, v125
	v_mul_u32_u24_e32 v19, 0x10001, v19
	v_pk_fma_f16 v103, v114, v22, v103
	v_pk_fma_f16 v106, v115, v22, v178
	;; [unrolled: 1-line block ×6, first 2 shown]
	v_mul_u32_u24_e32 v16, 0x10001, v16
	v_mul_u32_u24_e32 v18, 0x10001, v18
	;; [unrolled: 1-line block ×3, first 2 shown]
	v_pk_fma_f16 v12, v112, v19, v12
	v_pk_fma_f16 v13, v113, v19, v13
	;; [unrolled: 1-line block ×7, first 2 shown]
	v_lshrrev_b32_e32 v111, 16, v125
	v_pk_fma_f16 v7, v119, v19, v7
	v_pk_fma_f16 v11, v120, v18, v11
	;; [unrolled: 1-line block ×16, first 2 shown]
	v_lshrrev_b32_e32 v18, 16, v126
	v_mul_u32_u24_e32 v110, 0x10001, v111
	v_pk_fma_f16 v108, v132, v26, v109
	v_and_b32_e32 v109, 0xffff, v127
	v_lshrrev_b32_e32 v111, 16, v127
	v_mul_u32_u24_e32 v18, 0x10001, v18
	v_pk_fma_f16 v9, v120, v16, v9
	v_pk_fma_f16 v17, v120, v26, v17
	;; [unrolled: 1-line block ×14, first 2 shown]
	v_and_b32_e32 v16, 0xffff, v126
	v_pk_fma_f16 v22, v135, v26, v22
	v_mul_u32_u24_e32 v26, 0x10001, v109
	v_pk_fma_f16 v7, v135, v110, v7
	v_pk_fma_f16 v11, v136, v18, v11
	;; [unrolled: 1-line block ×9, first 2 shown]
	v_lshrrev_b32_e32 v18, 16, v128
	v_mul_u32_u24_e32 v109, 0x10001, v111
	v_and_b32_e32 v110, 0xffff, v129
	v_lshrrev_b32_e32 v111, 16, v129
	v_mul_u32_u24_e32 v16, 0x10001, v16
	v_pk_fma_f16 v17, v136, v26, v17
	v_pk_fma_f16 v27, v137, v26, v27
	;; [unrolled: 1-line block ×11, first 2 shown]
	v_mul_u32_u24_e32 v26, 0x10001, v110
	v_mul_u32_u24_e32 v110, 0x10001, v111
	v_pk_fma_f16 v9, v136, v16, v9
	v_pk_fma_f16 v12, v136, v109, v12
	;; [unrolled: 1-line block ×12, first 2 shown]
	v_and_b32_e32 v16, 0xffff, v128
	v_pk_fma_f16 v7, v143, v109, v7
	v_pk_fma_f16 v109, v148, v110, v4
	;; [unrolled: 1-line block ×4, first 2 shown]
	v_and_b32_e32 v4, 0xffff, v130
	v_lshrrev_b32_e32 v5, 16, v130
	v_and_b32_e32 v6, 0xffff, v131
	v_mul_u32_u24_e32 v16, 0x10001, v16
	v_mul_u32_u24_e32 v18, 0x10001, v18
	v_pk_fma_f16 v17, v144, v26, v17
	v_pk_fma_f16 v12, v144, v110, v12
	;; [unrolled: 1-line block ×12, first 2 shown]
	v_mul_u32_u24_e32 v26, 0x10001, v4
	v_mul_u32_u24_e32 v113, 0x10001, v5
	;; [unrolled: 1-line block ×3, first 2 shown]
	v_pk_fma_f16 v110, v151, v110, v7
	s_wait_loadcnt 0x3
	ds_store_b128 v86, v[160:163]
	s_wait_loadcnt 0x2
	ds_store_b128 v87, v[164:167]
	;; [unrolled: 2-line block ×4, first 2 shown]
	s_wait_dscnt 0x0
	s_barrier_signal -1
	s_barrier_wait -1
	ds_load_b128 v[4:7], v85 offset:896
	v_pk_fma_f16 v9, v144, v16, v9
	v_pk_fma_f16 v11, v144, v18, v11
	;; [unrolled: 1-line block ×16, first 2 shown]
	v_lshrrev_b32_e32 v8, 16, v131
	v_pk_fma_f16 v116, v152, v26, v9
	v_pk_fma_f16 v117, v152, v113, v11
	;; [unrolled: 1-line block ×4, first 2 shown]
	v_mul_u32_u24_e32 v115, 0x10001, v8
	v_pk_fma_f16 v121, v153, v113, v23
	v_pk_fma_f16 v31, v154, v113, v31
	;; [unrolled: 1-line block ×5, first 2 shown]
	ds_load_2addr_b64 v[8:11], v100 offset1:32
	v_pk_fma_f16 v129, v158, v113, v25
	v_pk_fma_f16 v130, v159, v26, v16
	;; [unrolled: 1-line block ×3, first 2 shown]
	ds_load_2addr_b64 v[16:19], v100 offset0:64 offset1:96
	v_pk_fma_f16 v119, v152, v115, v12
	v_pk_fma_f16 v123, v153, v115, v13
	;; [unrolled: 1-line block ×6, first 2 shown]
	ds_load_b128 v[12:15], v85 offset:912
	s_wait_dscnt 0x3
	v_and_b32_e32 v20, 0xffff, v4
	v_lshrrev_b32_e32 v4, 16, v4
	v_and_b32_e32 v21, 0xffff, v5
	v_lshrrev_b32_e32 v5, 16, v5
	v_pk_fma_f16 v122, v153, v114, v27
	v_pk_fma_f16 v30, v154, v26, v30
	;; [unrolled: 1-line block ×13, first 2 shown]
	v_mul_u32_u24_e32 v115, 0x10001, v20
	v_mul_u32_u24_e32 v4, 0x10001, v4
	;; [unrolled: 1-line block ×4, first 2 shown]
	v_pk_fma_f16 v114, v159, v114, v22
	ds_load_b128 v[20:23], v85 offset:928
	ds_load_b128 v[24:27], v85 offset:944
	s_wait_dscnt 0x4
	v_pk_fma_f16 v116, v8, v115, v116
	v_pk_fma_f16 v117, v8, v4, v117
	;; [unrolled: 1-line block ×16, first 2 shown]
	s_wait_dscnt 0x3
	v_pk_fma_f16 v106, v16, v115, v106
	v_pk_fma_f16 v107, v16, v4, v107
	;; [unrolled: 1-line block ×6, first 2 shown]
	ds_load_2addr_b64 v[8:11], v100 offset0:128 offset1:160
	v_pk_fma_f16 v28, v17, v131, v28
	v_pk_fma_f16 v17, v17, v132, v111
	;; [unrolled: 1-line block ×8, first 2 shown]
	v_and_b32_e32 v115, 0xffff, v6
	v_lshrrev_b32_e32 v128, 16, v6
	v_and_b32_e32 v129, 0xffff, v7
	v_lshrrev_b32_e32 v130, 16, v7
	ds_load_2addr_b64 v[4:7], v100 offset0:192 offset1:224
	v_mul_u32_u24_e32 v100, 0x10001, v115
	v_mul_u32_u24_e32 v115, 0x10001, v128
	;; [unrolled: 1-line block ×4, first 2 shown]
	v_pk_fma_f16 v114, v19, v131, v114
	v_pk_fma_f16 v110, v19, v132, v110
	s_wait_dscnt 0x1
	v_pk_fma_f16 v116, v8, v100, v116
	v_pk_fma_f16 v117, v8, v115, v117
	;; [unrolled: 1-line block ×16, first 2 shown]
	s_wait_dscnt 0x0
	v_pk_fma_f16 v106, v4, v100, v106
	v_pk_fma_f16 v107, v4, v115, v107
	;; [unrolled: 1-line block ×4, first 2 shown]
	ds_load_2addr_b64 v[8:11], v97 offset1:32
	v_pk_fma_f16 v130, v5, v129, v17
	v_pk_fma_f16 v131, v6, v129, v18
	ds_load_2addr_b64 v[16:19], v97 offset0:64 offset1:96
	v_pk_fma_f16 v109, v5, v100, v109
	v_pk_fma_f16 v126, v5, v115, v126
	;; [unrolled: 1-line block ×6, first 2 shown]
	v_and_b32_e32 v5, 0xffff, v12
	v_lshrrev_b32_e32 v6, 16, v12
	v_and_b32_e32 v12, 0xffff, v13
	v_pk_fma_f16 v100, v7, v100, v112
	v_pk_fma_f16 v112, v7, v115, v113
	;; [unrolled: 1-line block ×3, first 2 shown]
	v_lshrrev_b32_e32 v13, 16, v13
	v_mul_u32_u24_e32 v12, 0x10001, v12
	v_mul_u32_u24_e32 v114, 0x10001, v5
	;; [unrolled: 1-line block ×3, first 2 shown]
	v_pk_fma_f16 v110, v7, v129, v110
	s_wait_dscnt 0x1
	v_pk_fma_f16 v118, v8, v12, v118
	v_pk_fma_f16 v122, v9, v12, v122
	v_pk_fma_f16 v36, v10, v12, v36
	v_pk_fma_f16 v105, v11, v12, v105
	s_wait_dscnt 0x0
	v_pk_fma_f16 v108, v16, v12, v108
	v_pk_fma_f16 v28, v17, v12, v28
	;; [unrolled: 1-line block ×4, first 2 shown]
	v_and_b32_e32 v113, 0xffff, v14
	v_lshrrev_b32_e32 v14, 16, v14
	v_mul_u32_u24_e32 v13, 0x10001, v13
	v_pk_fma_f16 v116, v8, v114, v116
	v_pk_fma_f16 v117, v8, v115, v117
	;; [unrolled: 1-line block ×15, first 2 shown]
	ds_load_2addr_b64 v[4:7], v97 offset0:128 offset1:160
	ds_load_2addr_b64 v[8:11], v97 offset0:192 offset1:224
	v_pk_fma_f16 v109, v17, v114, v109
	v_pk_fma_f16 v111, v18, v114, v111
	;; [unrolled: 1-line block ×3, first 2 shown]
	v_and_b32_e32 v114, 0xffff, v15
	v_lshrrev_b32_e32 v15, 16, v15
	v_pk_fma_f16 v126, v17, v115, v126
	v_pk_fma_f16 v17, v17, v13, v130
	;; [unrolled: 1-line block ×5, first 2 shown]
	v_mul_u32_u24_e32 v97, 0x10001, v113
	v_mul_u32_u24_e32 v14, 0x10001, v14
	;; [unrolled: 1-line block ×4, first 2 shown]
	v_pk_fma_f16 v19, v19, v13, v110
	s_wait_dscnt 0x1
	v_pk_fma_f16 v110, v4, v97, v116
	v_pk_fma_f16 v115, v4, v14, v117
	;; [unrolled: 1-line block ×16, first 2 shown]
	s_wait_dscnt 0x0
	v_pk_fma_f16 v106, v8, v97, v106
	v_pk_fma_f16 v107, v8, v14, v107
	;; [unrolled: 1-line block ×6, first 2 shown]
	ds_load_2addr_b64 v[4:7], v98 offset1:32
	v_pk_fma_f16 v28, v9, v113, v28
	v_pk_fma_f16 v9, v9, v114, v17
	;; [unrolled: 1-line block ×9, first 2 shown]
	ds_load_2addr_b64 v[12:15], v98 offset0:64 offset1:96
	v_and_b32_e32 v112, 0xffff, v20
	v_lshrrev_b32_e32 v20, 16, v20
	v_and_b32_e32 v113, 0xffff, v21
	v_lshrrev_b32_e32 v21, 16, v21
	v_pk_fma_f16 v19, v11, v114, v19
	v_mul_u32_u24_e32 v112, 0x10001, v112
	v_mul_u32_u24_e32 v20, 0x10001, v20
	;; [unrolled: 1-line block ×4, first 2 shown]
	s_wait_dscnt 0x1
	v_pk_fma_f16 v110, v4, v112, v110
	v_pk_fma_f16 v114, v4, v20, v115
	;; [unrolled: 1-line block ×16, first 2 shown]
	s_wait_dscnt 0x0
	v_pk_fma_f16 v106, v12, v112, v106
	v_pk_fma_f16 v107, v12, v20, v107
	;; [unrolled: 1-line block ×6, first 2 shown]
	ds_load_2addr_b64 v[4:7], v98 offset0:128 offset1:160
	v_pk_fma_f16 v28, v13, v113, v28
	v_pk_fma_f16 v13, v13, v21, v9
	v_pk_fma_f16 v17, v14, v112, v17
	v_pk_fma_f16 v111, v14, v20, v111
	v_pk_fma_f16 v29, v14, v113, v29
	v_pk_fma_f16 v14, v14, v21, v10
	ds_load_2addr_b64 v[8:11], v98 offset0:192 offset1:224
	v_pk_fma_f16 v18, v15, v112, v18
	v_pk_fma_f16 v20, v15, v20, v97
	;; [unrolled: 1-line block ×3, first 2 shown]
	v_and_b32_e32 v100, 0xffff, v22
	v_lshrrev_b32_e32 v22, 16, v22
	v_and_b32_e32 v112, 0xffff, v23
	v_lshrrev_b32_e32 v23, 16, v23
	v_pk_fma_f16 v19, v15, v21, v19
	v_mul_u32_u24_e32 v98, 0x10001, v100
	v_mul_u32_u24_e32 v22, 0x10001, v22
	;; [unrolled: 1-line block ×3, first 2 shown]
	s_wait_dscnt 0x1
	s_delay_alu instid0(VALU_DEP_3) | instskip(NEXT) | instid1(VALU_DEP_3)
	v_pk_fma_f16 v21, v4, v98, v110
	v_pk_fma_f16 v110, v4, v22, v114
	s_delay_alu instid0(VALU_DEP_3)
	v_pk_fma_f16 v112, v4, v100, v115
	v_pk_fma_f16 v115, v5, v22, v118
	;; [unrolled: 1-line block ×4, first 2 shown]
	s_wait_dscnt 0x0
	v_pk_fma_f16 v107, v8, v22, v107
	v_pk_fma_f16 v109, v9, v22, v109
	;; [unrolled: 1-line block ×5, first 2 shown]
	v_and_b32_e32 v97, 0xffff, v24
	v_lshrrev_b32_e32 v24, 16, v24
	v_mul_u32_u24_e32 v23, 0x10001, v23
	v_pk_fma_f16 v114, v5, v98, v117
	v_pk_fma_f16 v30, v6, v98, v30
	;; [unrolled: 1-line block ×14, first 2 shown]
	ds_load_2addr_b64 v[4:7], v99 offset1:32
	v_pk_fma_f16 v28, v9, v100, v28
	v_pk_fma_f16 v9, v9, v23, v13
	;; [unrolled: 1-line block ×5, first 2 shown]
	ds_load_2addr_b64 v[12:15], v99 offset0:64 offset1:96
	v_pk_fma_f16 v18, v11, v98, v18
	v_and_b32_e32 v98, 0xffff, v25
	v_lshrrev_b32_e32 v25, 16, v25
	v_mul_u32_u24_e32 v97, 0x10001, v97
	v_mul_u32_u24_e32 v24, 0x10001, v24
	v_pk_fma_f16 v19, v11, v23, v19
	v_mul_u32_u24_e32 v98, 0x10001, v98
	v_mul_u32_u24_e32 v25, 0x10001, v25
	s_wait_dscnt 0x1
	v_pk_fma_f16 v21, v4, v97, v21
	v_pk_fma_f16 v23, v4, v24, v110
	;; [unrolled: 1-line block ×16, first 2 shown]
	s_wait_dscnt 0x0
	v_pk_fma_f16 v118, v12, v25, v8
	ds_load_2addr_b64 v[4:7], v99 offset0:128 offset1:160
	v_pk_fma_f16 v119, v13, v25, v9
	v_pk_fma_f16 v120, v14, v25, v10
	ds_load_2addr_b64 v[8:11], v99 offset0:192 offset1:224
	v_pk_fma_f16 v106, v12, v97, v106
	v_pk_fma_f16 v107, v12, v24, v107
	;; [unrolled: 1-line block ×9, first 2 shown]
	v_and_b32_e32 v12, 0xffff, v26
	v_lshrrev_b32_e32 v13, 16, v26
	v_and_b32_e32 v14, 0xffff, v27
	v_pk_fma_f16 v18, v15, v97, v18
	v_pk_fma_f16 v20, v15, v24, v20
	v_pk_fma_f16 v22, v15, v98, v22
	v_lshrrev_b32_e32 v24, 16, v27
	v_mul_u32_u24_e32 v26, 0x10001, v12
	v_mul_u32_u24_e32 v27, 0x10001, v13
	;; [unrolled: 1-line block ×3, first 2 shown]
	v_pk_fma_f16 v25, v15, v25, v19
	ds_load_b128 v[12:15], v85 offset:960
	v_mul_u32_u24_e32 v24, 0x10001, v24
	s_wait_dscnt 0x2
	v_pk_fma_f16 v98, v4, v26, v21
	v_pk_fma_f16 v99, v4, v27, v23
	;; [unrolled: 1-line block ×16, first 2 shown]
	s_wait_dscnt 0x1
	v_pk_fma_f16 v107, v8, v27, v107
	v_pk_fma_f16 v108, v8, v97, v108
	;; [unrolled: 1-line block ×4, first 2 shown]
	ds_load_2addr_b64 v[4:7], v95 offset1:32
	v_pk_fma_f16 v111, v10, v27, v111
	v_pk_fma_f16 v29, v10, v97, v29
	;; [unrolled: 1-line block ×4, first 2 shown]
	ds_load_2addr_b64 v[20:23], v95 offset0:64 offset1:96
	v_pk_fma_f16 v106, v8, v26, v106
	v_pk_fma_f16 v8, v8, v24, v118
	;; [unrolled: 1-line block ×7, first 2 shown]
	ds_load_b128 v[16:19], v85 offset:976
	s_wait_dscnt 0x3
	v_and_b32_e32 v120, 0xffff, v12
	v_lshrrev_b32_e32 v12, 16, v12
	v_and_b32_e32 v121, 0xffff, v13
	v_lshrrev_b32_e32 v13, 16, v13
	v_pk_fma_f16 v24, v11, v24, v25
	v_mul_u32_u24_e32 v120, 0x10001, v120
	v_mul_u32_u24_e32 v12, 0x10001, v12
	;; [unrolled: 1-line block ×4, first 2 shown]
	s_wait_dscnt 0x2
	v_pk_fma_f16 v25, v4, v120, v98
	v_pk_fma_f16 v98, v4, v12, v99
	;; [unrolled: 1-line block ×16, first 2 shown]
	s_wait_dscnt 0x1
	v_pk_fma_f16 v106, v20, v120, v106
	v_pk_fma_f16 v107, v20, v12, v107
	;; [unrolled: 1-line block ×6, first 2 shown]
	ds_load_2addr_b64 v[4:7], v95 offset0:128 offset1:160
	v_pk_fma_f16 v28, v21, v121, v28
	v_pk_fma_f16 v21, v21, v13, v9
	;; [unrolled: 1-line block ×6, first 2 shown]
	ds_load_2addr_b64 v[8:11], v95 offset0:192 offset1:224
	v_pk_fma_f16 v12, v23, v12, v27
	v_pk_fma_f16 v27, v23, v121, v97
	v_and_b32_e32 v97, 0xffff, v14
	v_lshrrev_b32_e32 v14, 16, v14
	v_and_b32_e32 v119, 0xffff, v15
	v_lshrrev_b32_e32 v15, 16, v15
	v_pk_fma_f16 v26, v23, v120, v26
	v_mul_u32_u24_e32 v95, 0x10001, v97
	v_mul_u32_u24_e32 v14, 0x10001, v14
	;; [unrolled: 1-line block ×4, first 2 shown]
	v_pk_fma_f16 v23, v23, v13, v24
	s_wait_dscnt 0x1
	v_pk_fma_f16 v24, v4, v95, v25
	v_pk_fma_f16 v25, v4, v14, v98
	;; [unrolled: 1-line block ×16, first 2 shown]
	s_wait_dscnt 0x0
	v_pk_fma_f16 v106, v8, v95, v106
	v_pk_fma_f16 v107, v8, v14, v107
	;; [unrolled: 1-line block ×6, first 2 shown]
	ds_load_2addr_b64 v[4:7], v101 offset1:32
	v_pk_fma_f16 v28, v9, v97, v28
	v_pk_fma_f16 v9, v9, v119, v21
	;; [unrolled: 1-line block ×8, first 2 shown]
	ds_load_2addr_b64 v[12:15], v101 offset0:64 offset1:96
	v_pk_fma_f16 v27, v11, v97, v27
	v_and_b32_e32 v95, 0xffff, v16
	v_lshrrev_b32_e32 v16, 16, v16
	v_and_b32_e32 v97, 0xffff, v17
	v_lshrrev_b32_e32 v17, 16, v17
	v_pk_fma_f16 v23, v11, v119, v23
	v_mul_u32_u24_e32 v95, 0x10001, v95
	v_mul_u32_u24_e32 v16, 0x10001, v16
	;; [unrolled: 1-line block ×4, first 2 shown]
	s_wait_dscnt 0x1
	v_pk_fma_f16 v24, v4, v95, v24
	v_pk_fma_f16 v25, v4, v16, v25
	;; [unrolled: 1-line block ×16, first 2 shown]
	s_wait_dscnt 0x0
	v_pk_fma_f16 v116, v12, v17, v8
	ds_load_2addr_b64 v[4:7], v101 offset0:128 offset1:160
	v_pk_fma_f16 v117, v13, v17, v9
	v_pk_fma_f16 v118, v14, v17, v10
	ds_load_2addr_b64 v[8:11], v101 offset0:192 offset1:224
	v_pk_fma_f16 v106, v12, v95, v106
	v_pk_fma_f16 v107, v12, v16, v107
	v_pk_fma_f16 v108, v12, v97, v108
	v_pk_fma_f16 v20, v13, v95, v20
	v_pk_fma_f16 v109, v13, v16, v109
	v_pk_fma_f16 v28, v13, v97, v28
	v_pk_fma_f16 v21, v14, v95, v21
	v_pk_fma_f16 v111, v14, v16, v111
	v_pk_fma_f16 v29, v14, v97, v29
	v_and_b32_e32 v12, 0xffff, v18
	v_lshrrev_b32_e32 v13, 16, v18
	v_and_b32_e32 v14, 0xffff, v19
	v_pk_fma_f16 v22, v15, v95, v22
	v_pk_fma_f16 v16, v15, v16, v26
	;; [unrolled: 1-line block ×3, first 2 shown]
	v_lshrrev_b32_e32 v18, 16, v19
	v_mul_u32_u24_e32 v19, 0x10001, v12
	v_mul_u32_u24_e32 v27, 0x10001, v13
	;; [unrolled: 1-line block ×3, first 2 shown]
	v_pk_fma_f16 v101, v15, v17, v23
	ds_load_b128 v[12:15], v85 offset:992
	v_mul_u32_u24_e32 v97, 0x10001, v18
	s_wait_dscnt 0x2
	v_pk_fma_f16 v24, v4, v19, v24
	v_pk_fma_f16 v25, v4, v27, v25
	;; [unrolled: 1-line block ×16, first 2 shown]
	s_wait_dscnt 0x1
	v_pk_fma_f16 v106, v8, v19, v106
	v_pk_fma_f16 v107, v8, v27, v107
	v_pk_fma_f16 v108, v8, v95, v108
	v_pk_fma_f16 v8, v8, v97, v116
	v_pk_fma_f16 v116, v9, v19, v20
	v_pk_fma_f16 v109, v9, v27, v109
	v_pk_fma_f16 v28, v9, v95, v28
	ds_load_2addr_b64 v[4:7], v96 offset1:32
	v_pk_fma_f16 v9, v9, v97, v117
	v_pk_fma_f16 v117, v10, v19, v21
	;; [unrolled: 1-line block ×6, first 2 shown]
	ds_load_2addr_b64 v[20:23], v96 offset0:64 offset1:96
	v_pk_fma_f16 v27, v11, v27, v16
	v_pk_fma_f16 v26, v11, v95, v26
	ds_load_b128 v[16:19], v85 offset:1008
	s_wait_dscnt 0x3
	v_and_b32_e32 v95, 0xffff, v12
	v_lshrrev_b32_e32 v12, 16, v12
	v_and_b32_e32 v119, 0xffff, v13
	v_lshrrev_b32_e32 v13, 16, v13
	v_pk_fma_f16 v97, v11, v97, v101
	v_mul_u32_u24_e32 v95, 0x10001, v95
	v_mul_u32_u24_e32 v12, 0x10001, v12
	;; [unrolled: 1-line block ×3, first 2 shown]
	s_wait_dscnt 0x2
	s_delay_alu instid0(VALU_DEP_3) | instskip(NEXT) | instid1(VALU_DEP_3)
	v_pk_fma_f16 v24, v4, v95, v24
	v_pk_fma_f16 v25, v4, v12, v25
	v_pk_fma_f16 v101, v5, v12, v110
	v_pk_fma_f16 v31, v6, v12, v31
	v_pk_fma_f16 v104, v7, v12, v104
	v_pk_fma_f16 v98, v4, v119, v98
	s_wait_dscnt 0x1
	v_pk_fma_f16 v107, v20, v12, v107
	v_pk_fma_f16 v109, v21, v12, v109
	;; [unrolled: 1-line block ×4, first 2 shown]
	v_and_b32_e32 v27, 0xffff, v14
	v_lshrrev_b32_e32 v14, 16, v14
	v_mul_u32_u24_e32 v13, 0x10001, v13
	v_pk_fma_f16 v100, v5, v95, v100
	v_pk_fma_f16 v110, v5, v119, v112
	;; [unrolled: 1-line block ×14, first 2 shown]
	ds_load_2addr_b64 v[4:7], v96 offset0:128 offset1:160
	v_pk_fma_f16 v28, v21, v119, v28
	v_pk_fma_f16 v21, v21, v13, v9
	;; [unrolled: 1-line block ×5, first 2 shown]
	ds_load_2addr_b64 v[8:11], v96 offset0:192 offset1:224
	v_and_b32_e32 v117, 0xffff, v15
	v_lshrrev_b32_e32 v15, 16, v15
	v_pk_fma_f16 v95, v23, v95, v118
	v_mul_u32_u24_e32 v27, 0x10001, v27
	v_mul_u32_u24_e32 v14, 0x10001, v14
	;; [unrolled: 1-line block ×4, first 2 shown]
	v_pk_fma_f16 v26, v23, v119, v26
	v_pk_fma_f16 v23, v23, v13, v97
	s_wait_dscnt 0x1
	v_pk_fma_f16 v24, v4, v27, v24
	v_pk_fma_f16 v25, v4, v14, v25
	v_pk_fma_f16 v97, v4, v96, v98
	v_pk_fma_f16 v98, v4, v117, v99
	v_pk_fma_f16 v99, v5, v27, v100
	v_pk_fma_f16 v100, v5, v14, v101
	v_pk_fma_f16 v30, v6, v27, v30
	v_pk_fma_f16 v31, v6, v14, v31
	v_pk_fma_f16 v103, v7, v27, v103
	v_pk_fma_f16 v104, v7, v14, v104
	s_wait_dscnt 0x0
	v_pk_fma_f16 v106, v8, v27, v106
	v_pk_fma_f16 v107, v8, v14, v107
	;; [unrolled: 1-line block ×14, first 2 shown]
	ds_load_2addr_b64 v[12:15], v102 offset0:64 offset1:96
	v_pk_fma_f16 v101, v5, v96, v110
	v_pk_fma_f16 v110, v5, v117, v112
	;; [unrolled: 1-line block ×6, first 2 shown]
	ds_load_2addr_b64 v[4:7], v102 offset1:32
	v_pk_fma_f16 v26, v11, v96, v26
	v_and_b32_e32 v96, 0xffff, v17
	v_and_b32_e32 v95, 0xffff, v16
	v_dual_lshrrev_b32 v16, 16, v16 :: v_dual_lshrrev_b32 v17, 16, v17
	v_pk_fma_f16 v23, v11, v117, v23
	s_delay_alu instid0(VALU_DEP_4) | instskip(NEXT) | instid1(VALU_DEP_4)
	v_mul_u32_u24_e32 v96, 0x10001, v96
	v_mul_u32_u24_e32 v95, 0x10001, v95
	s_delay_alu instid0(VALU_DEP_4) | instskip(SKIP_1) | instid1(VALU_DEP_3)
	v_mul_u32_u24_e32 v16, 0x10001, v16
	s_wait_dscnt 0x1
	v_pk_fma_f16 v126, v15, v96, v26
	v_and_b32_e32 v26, 0xffff, v18
	v_lshrrev_b32_e32 v18, 16, v18
	v_mul_u32_u24_e32 v17, 0x10001, v17
	v_pk_fma_f16 v107, v12, v16, v107
	v_pk_fma_f16 v122, v13, v16, v109
	;; [unrolled: 1-line block ×3, first 2 shown]
	s_wait_dscnt 0x0
	v_pk_fma_f16 v24, v4, v95, v24
	v_pk_fma_f16 v25, v4, v16, v25
	;; [unrolled: 1-line block ×16, first 2 shown]
	ds_load_2addr_b64 v[4:7], v102 offset0:128 offset1:160
	v_pk_fma_f16 v16, v15, v16, v27
	v_and_b32_e32 v27, 0xffff, v19
	v_lshrrev_b32_e32 v19, 16, v19
	v_pk_fma_f16 v106, v12, v95, v106
	v_pk_fma_f16 v121, v12, v96, v108
	;; [unrolled: 1-line block ×9, first 2 shown]
	ds_load_2addr_b64 v[8:11], v102 offset0:192 offset1:224
	s_wait_dscnt 0x0
	s_barrier_signal -1
	s_barrier_wait -1
	s_load_b32 s5, s[24:25], 0x4
	v_mul_u32_u24_e32 v127, 0x10001, v26
	v_mul_u32_u24_e32 v18, 0x10001, v18
	;; [unrolled: 1-line block ×4, first 2 shown]
	v_pk_fma_f16 v22, v15, v95, v22
	v_pk_fma_f16 v105, v4, v127, v24
	;; [unrolled: 1-line block ×17, first 2 shown]
	v_pk_add_f32 v[4:5], v[62:63], v[64:65]
	v_pk_add_f32 v[6:7], v[56:57], v[60:61]
	v_pk_fma_f16 v15, v15, v17, v23
	s_wait_kmcnt 0x0
	s_lshl_b32 s5, s5, 7
	v_pk_fma_f16 v111, v8, v127, v106
	v_pk_add_f32 v[4:5], v[70:71], v[4:5]
	v_pk_add_f32 v[6:7], v[58:59], v[6:7]
	v_pk_fma_f16 v106, v8, v18, v107
	v_pk_fma_f16 v96, v8, v128, v121
	;; [unrolled: 1-line block ×3, first 2 shown]
	v_pk_add_f32 v[4:5], v[68:69], v[4:5]
	v_pk_add_f32 v[6:7], v[54:55], v[6:7]
	v_pk_fma_f16 v115, v9, v127, v20
	v_pk_fma_f16 v107, v9, v18, v122
	;; [unrolled: 1-line block ×12, first 2 shown]
	v_pk_fma_f32 v[32:33], v[32:33], v[66:67], v[4:5]
	v_pk_fma_f32 v[34:35], v[34:35], v[52:53], v[6:7]
	s_add_co_i32 s4, s5, s4
	s_delay_alu instid0(SALU_CYCLE_1)
	s_cmp_ge_i32 s4, s30
	s_cbranch_scc1 .LBB25_87
; %bb.86:                               ;   in Loop: Header=BB25_17 Depth=1
	v_dual_mov_b32 v52, v0 :: v_dual_mov_b32 v53, v1
	v_dual_mov_b32 v64, v2 :: v_dual_mov_b32 v63, v3
	s_branch .LBB25_17
.LBB25_87:
	v_mov_b32_e32 v4, v78
.LBB25_88:
	v_cmp_lt_i32_e32 vcc_lo, v94, v77
	s_cmp_lg_u64 s[12:13], 0
	s_cselect_b32 s3, -1, 0
	s_cmp_eq_u32 s31, 0
	v_cndmask_b32_e32 v5, v4, v94, vcc_lo
	v_cmp_lt_i32_e32 vcc_lo, v93, v77
	s_cselect_b32 s4, -1, 0
	s_delay_alu instid0(SALU_CYCLE_1) | instskip(NEXT) | instid1(VALU_DEP_2)
	s_and_b32 s3, s4, s3
	v_lshlrev_b32_e32 v5, 2, v5
	ds_bpermute_b32 v6, v5, v34
	ds_bpermute_b32 v7, v5, v35
	;; [unrolled: 1-line block ×4, first 2 shown]
	v_cndmask_b32_e32 v5, v4, v93, vcc_lo
	v_cmp_lt_i32_e32 vcc_lo, v92, v77
	s_delay_alu instid0(VALU_DEP_2)
	v_lshlrev_b32_e32 v5, 2, v5
	s_wait_dscnt 0x2
	v_pk_add_f32 v[6:7], v[34:35], v[6:7]
	s_wait_dscnt 0x0
	v_pk_add_f32 v[8:9], v[32:33], v[8:9]
	ds_bpermute_b32 v10, v5, v6
	ds_bpermute_b32 v11, v5, v7
	;; [unrolled: 1-line block ×4, first 2 shown]
	v_cndmask_b32_e32 v5, v4, v92, vcc_lo
	v_cmp_lt_i32_e32 vcc_lo, v91, v77
	s_delay_alu instid0(VALU_DEP_2)
	v_lshlrev_b32_e32 v5, 2, v5
	s_wait_dscnt 0x2
	v_pk_add_f32 v[6:7], v[6:7], v[10:11]
	s_wait_dscnt 0x0
	v_pk_add_f32 v[8:9], v[8:9], v[12:13]
	ds_bpermute_b32 v10, v5, v6
	ds_bpermute_b32 v11, v5, v7
	;; [unrolled: 1-line block ×4, first 2 shown]
	v_cndmask_b32_e32 v5, v4, v91, vcc_lo
	v_cmp_lt_i32_e32 vcc_lo, v90, v77
	s_delay_alu instid0(VALU_DEP_2) | instskip(SKIP_1) | instid1(VALU_DEP_1)
	v_dual_cndmask_b32 v4, v4, v90 :: v_dual_lshlrev_b32 v5, 2, v5
	s_and_b32 vcc_lo, exec_lo, s3
	v_lshlrev_b32_e32 v14, 2, v4
	s_wait_dscnt 0x2
	v_pk_add_f32 v[6:7], v[6:7], v[10:11]
	s_wait_dscnt 0x0
	v_pk_add_f32 v[8:9], v[8:9], v[12:13]
	ds_bpermute_b32 v10, v5, v6
	ds_bpermute_b32 v11, v5, v7
	;; [unrolled: 1-line block ×4, first 2 shown]
	s_wait_dscnt 0x2
	v_pk_add_f32 v[4:5], v[6:7], v[10:11]
	s_wait_dscnt 0x0
	v_pk_add_f32 v[8:9], v[8:9], v[12:13]
	ds_bpermute_b32 v6, v14, v4
	ds_bpermute_b32 v7, v14, v5
	;; [unrolled: 1-line block ×4, first 2 shown]
	s_wait_dscnt 0x2
	v_pk_add_f32 v[6:7], v[4:5], v[6:7]
	s_wait_dscnt 0x0
	v_pk_add_f32 v[4:5], v[8:9], v[10:11]
	s_cbranch_vccz .LBB25_90
; %bb.89:
	s_ashr_i32 s3, s2, 31
	v_dual_mov_b32 v8, 0 :: v_dual_max_num_f32 v12, v0, v0
	s_lshl_b64 s[4:5], s[2:3], 2
	v_dual_max_num_f32 v13, v1, v1 :: v_dual_max_num_f32 v14, v2, v2
	s_add_nc_u64 s[4:5], s[12:13], s[4:5]
	v_max_num_f32_e32 v16, v3, v3
	global_load_b128 v[8:11], v8, s[4:5]
	s_wait_loadcnt 0x0
	v_dual_max_num_f32 v15, v8, v8 :: v_dual_max_num_f32 v17, v9, v9
	v_dual_max_num_f32 v18, v10, v10 :: v_dual_max_num_f32 v19, v11, v11
	s_delay_alu instid0(VALU_DEP_2) | instskip(NEXT) | instid1(VALU_DEP_2)
	v_dual_max_num_f32 v12, v12, v15 :: v_dual_max_num_f32 v13, v13, v17
	v_dual_max_num_f32 v14, v14, v18 :: v_dual_max_num_f32 v15, v16, v19
	s_delay_alu instid0(VALU_DEP_2) | instskip(NEXT) | instid1(VALU_DEP_2)
	v_dual_sub_f32 v0, v0, v12 :: v_dual_sub_f32 v9, v9, v13
	v_dual_sub_f32 v8, v8, v12 :: v_dual_sub_f32 v16, v2, v14
	s_delay_alu instid0(VALU_DEP_3) | instskip(NEXT) | instid1(VALU_DEP_3)
	v_dual_sub_f32 v1, v1, v13 :: v_dual_sub_f32 v11, v11, v15
	v_mul_f32_e32 v2, 0x3fb8aa3b, v0
	v_dual_sub_f32 v10, v10, v14 :: v_dual_sub_f32 v17, v3, v15
	s_delay_alu instid0(VALU_DEP_3) | instskip(SKIP_1) | instid1(VALU_DEP_4)
	v_dual_mul_f32 v3, 0x3fb8aa3b, v8 :: v_dual_mul_f32 v18, 0x3fb8aa3b, v1
	v_dual_mul_f32 v19, 0x3fb8aa3b, v9 :: v_dual_mul_f32 v20, 0x3fb8aa3b, v16
	v_fma_f32 v32, 0x3fb8aa3b, v0, -v2
	v_rndne_f32_e32 v33, v2
	v_mul_f32_e32 v23, 0x3fb8aa3b, v11
	v_fma_f32 v34, 0x3fb8aa3b, v8, -v3
	v_rndne_f32_e32 v35, v3
	v_fma_f32 v38, 0x3fb8aa3b, v9, -v19
	v_rndne_f32_e32 v39, v19
	v_rndne_f32_e32 v41, v20
	s_delay_alu instid0(VALU_DEP_4) | instskip(SKIP_4) | instid1(VALU_DEP_4)
	v_dual_fmac_f32 v32, 0x32a5705f, v0 :: v_dual_sub_f32 v3, v3, v35
	v_sub_f32_e32 v2, v2, v33
	v_fma_f32 v40, 0x3fb8aa3b, v16, -v20
	v_dual_fmac_f32 v34, 0x32a5705f, v8 :: v_dual_sub_f32 v19, v19, v39
	v_fmac_f32_e32 v38, 0x32a5705f, v9
	v_dual_sub_f32 v20, v20, v41 :: v_dual_add_f32 v2, v2, v32
	v_dual_mul_f32 v21, 0x3fb8aa3b, v10 :: v_dual_mul_f32 v22, 0x3fb8aa3b, v17
	v_fma_f32 v36, 0x3fb8aa3b, v1, -v18
	v_rndne_f32_e32 v37, v18
	v_dual_add_f32 v3, v3, v34 :: v_dual_fmac_f32 v40, 0x32a5705f, v16
	v_add_f32_e32 v19, v19, v38
	v_exp_f32_e32 v2, v2
	v_rndne_f32_e32 v43, v21
	v_rndne_f32_e32 v47, v23
	v_cvt_i32_f32_e32 v33, v33
	v_fmac_f32_e32 v36, 0x32a5705f, v1
	v_sub_f32_e32 v18, v18, v37
	v_exp_f32_e32 v3, v3
	v_exp_f32_e32 v19, v19
	v_fma_f32 v42, 0x3fb8aa3b, v10, -v21
	v_fma_f32 v46, 0x3fb8aa3b, v11, -v23
	v_cvt_i32_f32_e32 v35, v35
	v_cvt_i32_f32_e32 v39, v39
	v_sub_f32_e32 v21, v21, v43
	v_dual_sub_f32 v23, v23, v47 :: v_dual_add_f32 v18, v18, v36
	v_ldexp_f32 v2, v2, v33
	v_cmp_ngt_f32_e32 vcc_lo, 0xc2ce8ed0, v0
	v_fma_f32 v44, 0x3fb8aa3b, v17, -v22
	v_rndne_f32_e32 v45, v22
	v_exp_f32_e32 v18, v18
	v_ldexp_f32 v3, v3, v35
	v_ldexp_f32 v19, v19, v39
	v_cndmask_b32_e32 v2, 0, v2, vcc_lo
	v_cmp_ngt_f32_e32 vcc_lo, 0xc2ce8ed0, v8
	v_cvt_i32_f32_e32 v37, v37
	v_fmac_f32_e32 v42, 0x32a5705f, v10
	v_dual_sub_f32 v22, v22, v45 :: v_dual_add_f32 v20, v20, v40
	v_dual_cndmask_b32 v3, 0, v3 :: v_dual_fmac_f32 v44, 0x32a5705f, v17
	s_delay_alu instid0(VALU_DEP_3)
	v_add_f32_e32 v21, v21, v42
	v_ldexp_f32 v18, v18, v37
	v_cmp_ngt_f32_e32 vcc_lo, 0xc2ce8ed0, v1
	v_exp_f32_e32 v20, v20
	v_add_f32_e32 v22, v22, v44
	v_cvt_i32_f32_e32 v41, v41
	v_exp_f32_e32 v21, v21
	v_cndmask_b32_e32 v18, 0, v18, vcc_lo
	v_cmp_ngt_f32_e32 vcc_lo, 0xc2ce8ed0, v9
	v_exp_f32_e32 v22, v22
	v_cvt_i32_f32_e32 v43, v43
	v_cvt_i32_f32_e32 v45, v45
	v_ldexp_f32 v20, v20, v41
	v_cndmask_b32_e32 v19, 0, v19, vcc_lo
	v_cmp_ngt_f32_e32 vcc_lo, 0xc2ce8ed0, v16
	v_ldexp_f32 v21, v21, v43
	v_ldexp_f32 v22, v22, v45
	v_cvt_i32_f32_e32 v47, v47
	v_cndmask_b32_e32 v20, 0, v20, vcc_lo
	v_cmp_ngt_f32_e32 vcc_lo, 0xc2ce8ed0, v10
	v_dual_fmac_f32 v46, 0x32a5705f, v11 :: v_dual_cndmask_b32 v21, 0, v21
	s_delay_alu instid0(VALU_DEP_1) | instskip(SKIP_1) | instid1(VALU_DEP_2)
	v_add_f32_e32 v23, v23, v46
	v_cmp_ngt_f32_e32 vcc_lo, 0xc2ce8ed0, v17
	v_exp_f32_e32 v23, v23
	v_cndmask_b32_e32 v22, 0, v22, vcc_lo
	v_cmp_ngt_f32_e32 vcc_lo, 0xc2ce8ed0, v11
	s_delay_alu instid0(TRANS32_DEP_1) | instskip(NEXT) | instid1(VALU_DEP_1)
	v_ldexp_f32 v23, v23, v47
	v_cndmask_b32_e32 v23, 0, v23, vcc_lo
	v_cmp_nlt_f32_e32 vcc_lo, 0x42b17218, v0
	v_cndmask_b32_e32 v0, 0x7f800000, v2, vcc_lo
	v_cmp_nlt_f32_e32 vcc_lo, 0x42b17218, v8
	;; [unrolled: 2-line block ×5, first 2 shown]
	v_cvt_f16_f32_e32 v16, v0
	s_delay_alu instid0(VALU_DEP_3) | instskip(SKIP_2) | instid1(VALU_DEP_4)
	v_pk_fma_f32 v[6:7], v[6:7], v[0:1], v[2:3]
	v_cndmask_b32_e32 v8, 0x7f800000, v20, vcc_lo
	v_cmp_nlt_f32_e32 vcc_lo, 0x42b17218, v10
	v_and_b32_e32 v16, 0xffff, v16
	s_delay_alu instid0(VALU_DEP_3)
	v_cvt_f16_f32_e32 v18, v8
	v_cndmask_b32_e32 v10, 0x7f800000, v21, vcc_lo
	v_cmp_nlt_f32_e32 vcc_lo, 0x42b17218, v17
	v_cvt_f16_f32_e32 v17, v1
	v_mul_u32_u24_e32 v3, 0x10001, v16
	v_and_b32_e32 v1, 0xffff, v18
	v_cndmask_b32_e32 v9, 0x7f800000, v22, vcc_lo
	s_delay_alu instid0(VALU_DEP_4) | instskip(SKIP_1) | instid1(VALU_DEP_4)
	v_and_b32_e32 v0, 0xffff, v17
	v_cmp_nlt_f32_e32 vcc_lo, 0x42b17218, v11
	v_mul_u32_u24_e32 v1, 0x10001, v1
	v_pk_mul_f16 v105, v105, v3
	v_cvt_f16_f32_e32 v19, v9
	v_mul_u32_u24_e32 v0, 0x10001, v0
	v_cndmask_b32_e32 v11, 0x7f800000, v23, vcc_lo
	v_pk_mul_f16 v114, v114, v3
	v_pk_mul_f16 v113, v113, v3
	v_and_b32_e32 v2, 0xffff, v19
	v_pk_mul_f16 v112, v112, v3
	v_pk_mul_f16 v111, v111, v3
	;; [unrolled: 1-line block ×4, first 2 shown]
	v_mul_u32_u24_e32 v2, 0x10001, v2
	v_pk_mul_f16 v59, v59, v3
	v_pk_mul_f16 v103, v103, v0
	;; [unrolled: 1-line block ×25, first 2 shown]
	v_mov_b64_e32 v[0:1], v[12:13]
	v_mov_b64_e32 v[2:3], v[14:15]
	v_pk_fma_f32 v[4:5], v[4:5], v[8:9], v[10:11]
.LBB25_90:
	s_mov_b32 s3, exec_lo
	v_cmpx_gt_i32_e64 s22, v72
	s_cbranch_execz .LBB25_107
; %bb.91:
	s_load_b32 s0, s[0:1], 0xd4
	v_mov_b32_e32 v8, 1.0
	s_wait_kmcnt 0x0
	s_cmp_lg_u32 s0, 1
	s_cselect_b32 s1, -1, 0
	s_cmp_eq_u32 s0, 1
	s_cselect_b32 s3, -1, 0
	s_and_b32 vcc_lo, exec_lo, s1
	s_cbranch_vccnz .LBB25_93
; %bb.92:
	v_div_scale_f32 v8, null, v6, v6, 1.0
	s_delay_alu instid0(VALU_DEP_1) | instskip(SKIP_1) | instid1(TRANS32_DEP_1)
	v_rcp_f32_e32 v9, v8
	v_nop
	v_fma_f32 v10, -v8, v9, 1.0
	s_delay_alu instid0(VALU_DEP_1) | instskip(SKIP_1) | instid1(VALU_DEP_1)
	v_fmac_f32_e32 v9, v10, v9
	v_div_scale_f32 v10, vcc_lo, 1.0, v6, 1.0
	v_mul_f32_e32 v11, v10, v9
	s_delay_alu instid0(VALU_DEP_1) | instskip(NEXT) | instid1(VALU_DEP_1)
	v_fma_f32 v12, -v8, v11, v10
	v_fmac_f32_e32 v11, v12, v9
	s_delay_alu instid0(VALU_DEP_1) | instskip(NEXT) | instid1(VALU_DEP_1)
	v_fma_f32 v8, -v8, v11, v10
	v_div_fmas_f32 v8, v8, v9, v11
	s_delay_alu instid0(VALU_DEP_1)
	v_div_fixup_f32 v8, v8, v6, 1.0
.LBB25_93:
	v_mad_u32 v9, s28, s22, v72
	v_dual_lshrrev_b32 v21, 16, v115 :: v_dual_lshrrev_b32 v22, 16, v61
	v_dual_mov_b32 v23, 0 :: v_dual_lshrrev_b32 v11, 16, v105
	v_dual_lshrrev_b32 v13, 16, v114 :: v_dual_lshrrev_b32 v15, 16, v113
	v_dual_lshrrev_b32 v17, 16, v112 :: v_dual_lshrrev_b32 v19, 16, v111
	s_delay_alu instid0(VALU_DEP_4) | instskip(NEXT) | instid1(VALU_DEP_4)
	v_cvt_f32_f16_e32 v33, v22
	v_dual_lshrrev_b32 v35, 16, v59 :: v_dual_mov_b32 v37, v23
	v_mad_u32 v9, v9, s23, s2
	v_cvt_f32_f16_e32 v10, v105
	v_cvt_f32_f16_e32 v12, v114
	;; [unrolled: 1-line block ×10, first 2 shown]
	v_mad_u32 v9, s0, v9, s31
	v_cvt_f32_f16_e32 v19, v19
	v_cvt_f32_f16_e32 v21, v21
	v_cmp_eq_u32_e32 vcc_lo, 0, v73
	v_cvt_f32_f16_e32 v32, v61
	v_cvt_f32_f16_e32 v34, v59
	;; [unrolled: 1-line block ×3, first 2 shown]
	s_and_b32 s1, vcc_lo, s1
	v_lshl_add_u32 v22, v9, 9, v74
	v_mov_b32_e32 v39, v23
	v_pk_mul_f32 v[10:11], v[8:9], v[10:11] op_sel_hi:[0,1]
	v_pk_mul_f32 v[12:13], v[8:9], v[12:13] op_sel_hi:[0,1]
	v_pk_mul_f32 v[14:15], v[8:9], v[14:15] op_sel_hi:[0,1]
	v_add_nc_u32_e32 v36, 0x80, v22
	v_add_nc_u32_e32 v38, 0x100, v22
	v_lshl_add_u64 v[40:41], v[22:23], 2, s[16:17]
	v_add_nc_u32_e32 v22, 0x180, v22
	v_pk_mul_f32 v[16:17], v[8:9], v[16:17] op_sel_hi:[0,1]
	v_lshl_add_u64 v[36:37], v[36:37], 2, s[16:17]
	v_pk_mul_f32 v[18:19], v[8:9], v[18:19] op_sel_hi:[0,1]
	v_pk_mul_f32 v[20:21], v[8:9], v[20:21] op_sel_hi:[0,1]
	v_lshl_add_u64 v[38:39], v[38:39], 2, s[16:17]
	v_lshl_add_u64 v[22:23], v[22:23], 2, s[16:17]
	v_pk_mul_f32 v[32:33], v[8:9], v[32:33] op_sel_hi:[0,1]
	v_pk_mul_f32 v[34:35], v[8:9], v[34:35] op_sel_hi:[0,1]
	s_clause 0x3
	global_store_b128 v[40:41], v[10:13], off
	global_store_b128 v[36:37], v[14:17], off
	;; [unrolled: 1-line block ×4, first 2 shown]
	s_wait_xcnt 0x0
	s_and_saveexec_b32 s2, s1
	s_cbranch_execz .LBB25_95
; %bb.94:
	v_dual_mov_b32 v10, v0 :: v_dual_mov_b32 v11, v6
	global_store_b64 v9, v[10:11], s[18:19] scale_offset
.LBB25_95:
	s_wait_xcnt 0x0
	s_or_b32 exec_lo, exec_lo, s2
	v_cndmask_b32_e64 v8, 0, 1, s3
	v_mov_b32_e32 v0, 1.0
	s_and_not1_b32 vcc_lo, exec_lo, s3
	s_cbranch_vccnz .LBB25_97
; %bb.96:
	v_div_scale_f32 v0, null, v7, v7, 1.0
	s_delay_alu instid0(VALU_DEP_1) | instskip(SKIP_1) | instid1(TRANS32_DEP_1)
	v_rcp_f32_e32 v6, v0
	v_nop
	v_fma_f32 v10, -v0, v6, 1.0
	s_delay_alu instid0(VALU_DEP_1) | instskip(SKIP_1) | instid1(VALU_DEP_1)
	v_fmac_f32_e32 v6, v10, v6
	v_div_scale_f32 v10, vcc_lo, 1.0, v7, 1.0
	v_mul_f32_e32 v11, v10, v6
	s_delay_alu instid0(VALU_DEP_1) | instskip(NEXT) | instid1(VALU_DEP_1)
	v_fma_f32 v12, -v0, v11, v10
	v_fmac_f32_e32 v11, v12, v6
	s_delay_alu instid0(VALU_DEP_1) | instskip(NEXT) | instid1(VALU_DEP_1)
	v_fma_f32 v0, -v0, v11, v10
	v_div_fmas_f32 v0, v0, v6, v11
	s_delay_alu instid0(VALU_DEP_1)
	v_div_fixup_f32 v0, v0, v7, 1.0
.LBB25_97:
	v_dual_add_nc_u32 v9, s0, v9 :: v_dual_mov_b32 v23, 0
	v_dual_lshrrev_b32 v6, 16, v103 :: v_dual_lshrrev_b32 v13, 16, v110
	v_cvt_f32_f16_e32 v10, v103
	s_delay_alu instid0(VALU_DEP_3) | instskip(SKIP_1) | instid1(VALU_DEP_4)
	v_lshl_add_u32 v22, v9, 9, v74
	v_lshrrev_b32_e32 v16, 16, v109
	v_cvt_f32_f16_e32 v11, v6
	v_lshrrev_b32_e32 v6, 16, v108
	v_cvt_f32_f16_e32 v12, v110
	v_dual_mov_b32 v15, v23 :: v_dual_add_nc_u32 v14, 0x80, v22
	v_dual_mov_b32 v19, v23 :: v_dual_add_nc_u32 v18, 0x100, v22
	v_cvt_f32_f16_e32 v13, v13
	v_lshrrev_b32_e32 v20, 16, v107
	s_delay_alu instid0(VALU_DEP_4)
	v_lshl_add_u64 v[38:39], v[14:15], 2, s[16:17]
	v_cvt_f32_f16_e32 v15, v6
	v_lshrrev_b32_e32 v6, 16, v106
	v_lshl_add_u64 v[40:41], v[18:19], 2, s[16:17]
	v_lshrrev_b32_e32 v34, 16, v104
	v_cvt_f32_f16_e32 v14, v108
	v_cvt_f32_f16_e32 v17, v16
	;; [unrolled: 1-line block ×3, first 2 shown]
	v_lshrrev_b32_e32 v6, 16, v62
	v_cvt_f32_f16_e32 v16, v109
	v_cvt_f32_f16_e32 v18, v106
	;; [unrolled: 1-line block ×4, first 2 shown]
	v_lshl_add_u64 v[36:37], v[22:23], 2, s[16:17]
	v_add_nc_u32_e32 v22, 0x180, v22
	v_cvt_f32_f16_e32 v33, v6
	v_cvt_f32_f16_e32 v32, v62
	;; [unrolled: 1-line block ×4, first 2 shown]
	v_pk_mul_f32 v[10:11], v[0:1], v[10:11] op_sel_hi:[0,1]
	v_pk_mul_f32 v[12:13], v[0:1], v[12:13] op_sel_hi:[0,1]
	v_pk_mul_f32 v[14:15], v[0:1], v[14:15] op_sel_hi:[0,1]
	v_pk_mul_f32 v[16:17], v[0:1], v[16:17] op_sel_hi:[0,1]
	v_pk_mul_f32 v[18:19], v[0:1], v[18:19] op_sel_hi:[0,1]
	v_pk_mul_f32 v[20:21], v[0:1], v[20:21] op_sel_hi:[0,1]
	v_lshl_add_u64 v[22:23], v[22:23], 2, s[16:17]
	v_pk_mul_f32 v[32:33], v[0:1], v[32:33] op_sel_hi:[0,1]
	v_pk_mul_f32 v[34:35], v[0:1], v[34:35] op_sel_hi:[0,1]
	s_clause 0x3
	global_store_b128 v[36:37], v[10:13], off
	global_store_b128 v[38:39], v[14:17], off
	;; [unrolled: 1-line block ×4, first 2 shown]
	s_wait_xcnt 0x0
	s_and_saveexec_b32 s2, s1
	s_cbranch_execz .LBB25_99
; %bb.98:
	v_mov_b32_e32 v6, v1
	global_store_b64 v9, v[6:7], s[18:19] scale_offset
.LBB25_99:
	s_wait_xcnt 0x0
	s_or_b32 exec_lo, exec_lo, s2
	v_cmp_ne_u32_e32 vcc_lo, 1, v8
	v_mov_b32_e32 v0, 1.0
	s_cbranch_vccnz .LBB25_101
; %bb.100:
	v_div_scale_f32 v0, null, v4, v4, 1.0
	s_delay_alu instid0(VALU_DEP_1) | instskip(SKIP_1) | instid1(TRANS32_DEP_1)
	v_rcp_f32_e32 v1, v0
	v_nop
	v_fma_f32 v6, -v0, v1, 1.0
	s_delay_alu instid0(VALU_DEP_1) | instskip(SKIP_1) | instid1(VALU_DEP_1)
	v_fmac_f32_e32 v1, v6, v1
	v_div_scale_f32 v6, vcc_lo, 1.0, v4, 1.0
	v_mul_f32_e32 v7, v6, v1
	s_delay_alu instid0(VALU_DEP_1) | instskip(NEXT) | instid1(VALU_DEP_1)
	v_fma_f32 v10, -v0, v7, v6
	v_fmac_f32_e32 v7, v10, v1
	s_delay_alu instid0(VALU_DEP_1) | instskip(NEXT) | instid1(VALU_DEP_1)
	v_fma_f32 v0, -v0, v7, v6
	v_div_fmas_f32 v0, v0, v1, v7
	s_delay_alu instid0(VALU_DEP_1)
	v_div_fixup_f32 v0, v0, v4, 1.0
.LBB25_101:
	v_dual_add_nc_u32 v1, s0, v9 :: v_dual_mov_b32 v7, 0
	v_dual_lshrrev_b32 v9, 16, v95 :: v_dual_lshrrev_b32 v13, 16, v102
	v_cvt_f32_f16_e32 v10, v95
	s_delay_alu instid0(VALU_DEP_3) | instskip(SKIP_1) | instid1(VALU_DEP_4)
	v_lshl_add_u32 v6, v1, 9, v74
	v_lshrrev_b32_e32 v16, 16, v101
	v_cvt_f32_f16_e32 v11, v9
	v_lshrrev_b32_e32 v9, 16, v100
	v_cvt_f32_f16_e32 v12, v102
	v_dual_mov_b32 v15, v7 :: v_dual_add_nc_u32 v14, 0x80, v6
	v_dual_mov_b32 v19, v7 :: v_dual_add_nc_u32 v18, 0x100, v6
	v_cvt_f32_f16_e32 v13, v13
	v_lshrrev_b32_e32 v20, 16, v97
	s_delay_alu instid0(VALU_DEP_4)
	v_lshl_add_u64 v[36:37], v[14:15], 2, s[16:17]
	v_cvt_f32_f16_e32 v15, v9
	v_lshrrev_b32_e32 v9, 16, v96
	v_lshl_add_u64 v[38:39], v[18:19], 2, s[16:17]
	v_lshrrev_b32_e32 v34, 16, v99
	v_cvt_f32_f16_e32 v14, v100
	v_cvt_f32_f16_e32 v17, v16
	;; [unrolled: 1-line block ×3, first 2 shown]
	v_lshrrev_b32_e32 v9, 16, v98
	v_cvt_f32_f16_e32 v16, v101
	v_cvt_f32_f16_e32 v18, v96
	;; [unrolled: 1-line block ×4, first 2 shown]
	v_lshl_add_u64 v[22:23], v[6:7], 2, s[16:17]
	v_add_nc_u32_e32 v6, 0x180, v6
	v_cvt_f32_f16_e32 v33, v9
	v_cvt_f32_f16_e32 v32, v98
	;; [unrolled: 1-line block ×4, first 2 shown]
	v_pk_mul_f32 v[10:11], v[0:1], v[10:11] op_sel_hi:[0,1]
	v_pk_mul_f32 v[12:13], v[0:1], v[12:13] op_sel_hi:[0,1]
	;; [unrolled: 1-line block ×6, first 2 shown]
	v_lshl_add_u64 v[6:7], v[6:7], 2, s[16:17]
	v_pk_mul_f32 v[32:33], v[0:1], v[32:33] op_sel_hi:[0,1]
	v_pk_mul_f32 v[34:35], v[0:1], v[34:35] op_sel_hi:[0,1]
	s_clause 0x3
	global_store_b128 v[22:23], v[10:13], off
	global_store_b128 v[36:37], v[14:17], off
	;; [unrolled: 1-line block ×4, first 2 shown]
	s_wait_xcnt 0x0
	s_and_saveexec_b32 s2, s1
	s_cbranch_execz .LBB25_103
; %bb.102:
	v_dual_mov_b32 v6, v2 :: v_dual_mov_b32 v7, v4
	global_store_b64 v1, v[6:7], s[18:19] scale_offset
.LBB25_103:
	s_wait_xcnt 0x0
	s_or_b32 exec_lo, exec_lo, s2
	v_cmp_ne_u32_e32 vcc_lo, 1, v8
	v_mov_b32_e32 v0, 1.0
	s_cbranch_vccnz .LBB25_105
; %bb.104:
	v_div_scale_f32 v0, null, v5, v5, 1.0
	s_delay_alu instid0(VALU_DEP_1) | instskip(SKIP_1) | instid1(TRANS32_DEP_1)
	v_rcp_f32_e32 v2, v0
	v_nop
	v_fma_f32 v4, -v0, v2, 1.0
	s_delay_alu instid0(VALU_DEP_1) | instskip(SKIP_1) | instid1(VALU_DEP_1)
	v_fmac_f32_e32 v2, v4, v2
	v_div_scale_f32 v4, vcc_lo, 1.0, v5, 1.0
	v_mul_f32_e32 v6, v4, v2
	s_delay_alu instid0(VALU_DEP_1) | instskip(NEXT) | instid1(VALU_DEP_1)
	v_fma_f32 v7, -v0, v6, v4
	v_fmac_f32_e32 v6, v7, v2
	s_delay_alu instid0(VALU_DEP_1) | instskip(NEXT) | instid1(VALU_DEP_1)
	v_fma_f32 v0, -v0, v6, v4
	v_div_fmas_f32 v0, v0, v2, v6
	s_delay_alu instid0(VALU_DEP_1)
	v_div_fixup_f32 v0, v0, v5, 1.0
.LBB25_105:
	v_dual_add_nc_u32 v1, s0, v1 :: v_dual_mov_b32 v19, 0
	v_dual_lshrrev_b32 v2, 16, v30 :: v_dual_lshrrev_b32 v4, 16, v31
	v_cvt_f32_f16_e32 v6, v30
	s_delay_alu instid0(VALU_DEP_3) | instskip(SKIP_1) | instid1(VALU_DEP_4)
	v_lshl_add_u32 v18, v1, 9, v74
	v_cvt_f32_f16_e32 v8, v31
	v_cvt_f32_f16_e32 v7, v2
	;; [unrolled: 1-line block ×3, first 2 shown]
	v_dual_lshrrev_b32 v2, 16, v28 :: v_dual_lshrrev_b32 v4, 16, v29
	v_dual_mov_b32 v11, v19 :: v_dual_add_nc_u32 v10, 0x80, v18
	v_dual_mov_b32 v15, v19 :: v_dual_add_nc_u32 v14, 0x100, v18
	s_delay_alu instid0(VALU_DEP_3) | instskip(SKIP_1) | instid1(VALU_DEP_4)
	v_cvt_f32_f16_e32 v13, v4
	v_lshrrev_b32_e32 v4, 16, v26
	v_lshl_add_u64 v[30:31], v[10:11], 2, s[16:17]
	v_cvt_f32_f16_e32 v11, v2
	v_lshrrev_b32_e32 v2, 16, v24
	v_cvt_f32_f16_e32 v10, v28
	v_cvt_f32_f16_e32 v12, v29
	v_lshl_add_u64 v[28:29], v[14:15], 2, s[16:17]
	v_cvt_f32_f16_e32 v17, v4
	v_cvt_f32_f16_e32 v15, v2
	v_dual_lshrrev_b32 v2, 16, v27 :: v_dual_lshrrev_b32 v4, 16, v25
	v_cvt_f32_f16_e32 v14, v24
	v_cvt_f32_f16_e32 v16, v26
	v_lshl_add_u64 v[22:23], v[18:19], 2, s[16:17]
	v_add_nc_u32_e32 v18, 0x180, v18
	v_cvt_f32_f16_e32 v21, v2
	v_cvt_f32_f16_e32 v20, v27
	;; [unrolled: 1-line block ×4, first 2 shown]
	v_pk_mul_f32 v[6:7], v[0:1], v[6:7] op_sel_hi:[0,1]
	v_pk_mul_f32 v[8:9], v[0:1], v[8:9] op_sel_hi:[0,1]
	;; [unrolled: 1-line block ×6, first 2 shown]
	v_lshl_add_u64 v[24:25], v[18:19], 2, s[16:17]
	v_pk_mul_f32 v[18:19], v[0:1], v[20:21] op_sel_hi:[0,1]
	v_pk_mul_f32 v[20:21], v[0:1], v[26:27] op_sel_hi:[0,1]
	s_clause 0x3
	global_store_b128 v[22:23], v[6:9], off
	global_store_b128 v[30:31], v[10:13], off
	;; [unrolled: 1-line block ×4, first 2 shown]
	s_wait_xcnt 0x0
	s_and_b32 exec_lo, exec_lo, s1
	s_cbranch_execz .LBB25_107
; %bb.106:
	v_mov_b32_e32 v4, v3
	global_store_b64 v1, v[4:5], s[18:19] scale_offset
.LBB25_107:
	s_sendmsg sendmsg(MSG_DEALLOC_VGPRS)
	s_endpgm
	.section	.rodata,"a",@progbits
	.p2align	6, 0x0
	.amdhsa_kernel _ZL15flash_attn_tileILi576ELi512ELi8ELi4ELb1EEvPKcS1_S1_S1_S1_PKiPfP15HIP_vector_typeIfLj2EEffffjfiS5_IjLj3EEiiiiiiiiiiiliiliiiiil
		.amdhsa_group_segment_fixed_size 63488
		.amdhsa_private_segment_fixed_size 0
		.amdhsa_kernarg_size 464
		.amdhsa_user_sgpr_count 2
		.amdhsa_user_sgpr_dispatch_ptr 0
		.amdhsa_user_sgpr_queue_ptr 0
		.amdhsa_user_sgpr_kernarg_segment_ptr 1
		.amdhsa_user_sgpr_dispatch_id 0
		.amdhsa_user_sgpr_kernarg_preload_length 0
		.amdhsa_user_sgpr_kernarg_preload_offset 0
		.amdhsa_user_sgpr_private_segment_size 0
		.amdhsa_wavefront_size32 1
		.amdhsa_uses_dynamic_stack 0
		.amdhsa_enable_private_segment 0
		.amdhsa_system_sgpr_workgroup_id_x 1
		.amdhsa_system_sgpr_workgroup_id_y 1
		.amdhsa_system_sgpr_workgroup_id_z 1
		.amdhsa_system_sgpr_workgroup_info 0
		.amdhsa_system_vgpr_workitem_id 1
		.amdhsa_next_free_vgpr 215
		.amdhsa_next_free_sgpr 42
		.amdhsa_named_barrier_count 0
		.amdhsa_reserve_vcc 1
		.amdhsa_float_round_mode_32 0
		.amdhsa_float_round_mode_16_64 0
		.amdhsa_float_denorm_mode_32 3
		.amdhsa_float_denorm_mode_16_64 3
		.amdhsa_fp16_overflow 0
		.amdhsa_memory_ordered 1
		.amdhsa_forward_progress 1
		.amdhsa_inst_pref_size 255
		.amdhsa_round_robin_scheduling 0
		.amdhsa_exception_fp_ieee_invalid_op 0
		.amdhsa_exception_fp_denorm_src 0
		.amdhsa_exception_fp_ieee_div_zero 0
		.amdhsa_exception_fp_ieee_overflow 0
		.amdhsa_exception_fp_ieee_underflow 0
		.amdhsa_exception_fp_ieee_inexact 0
		.amdhsa_exception_int_div_zero 0
	.end_amdhsa_kernel
	.section	.text._ZL15flash_attn_tileILi576ELi512ELi8ELi4ELb1EEvPKcS1_S1_S1_S1_PKiPfP15HIP_vector_typeIfLj2EEffffjfiS5_IjLj3EEiiiiiiiiiiiliiliiiiil,"axG",@progbits,_ZL15flash_attn_tileILi576ELi512ELi8ELi4ELb1EEvPKcS1_S1_S1_S1_PKiPfP15HIP_vector_typeIfLj2EEffffjfiS5_IjLj3EEiiiiiiiiiiiliiliiiiil,comdat
.Lfunc_end25:
	.size	_ZL15flash_attn_tileILi576ELi512ELi8ELi4ELb1EEvPKcS1_S1_S1_S1_PKiPfP15HIP_vector_typeIfLj2EEffffjfiS5_IjLj3EEiiiiiiiiiiiliiliiiiil, .Lfunc_end25-_ZL15flash_attn_tileILi576ELi512ELi8ELi4ELb1EEvPKcS1_S1_S1_S1_PKiPfP15HIP_vector_typeIfLj2EEffffjfiS5_IjLj3EEiiiiiiiiiiiliiliiiiil
                                        ; -- End function
	.set _ZL15flash_attn_tileILi576ELi512ELi8ELi4ELb1EEvPKcS1_S1_S1_S1_PKiPfP15HIP_vector_typeIfLj2EEffffjfiS5_IjLj3EEiiiiiiiiiiiliiliiiiil.num_vgpr, 215
	.set _ZL15flash_attn_tileILi576ELi512ELi8ELi4ELb1EEvPKcS1_S1_S1_S1_PKiPfP15HIP_vector_typeIfLj2EEffffjfiS5_IjLj3EEiiiiiiiiiiiliiliiiiil.num_agpr, 0
	.set _ZL15flash_attn_tileILi576ELi512ELi8ELi4ELb1EEvPKcS1_S1_S1_S1_PKiPfP15HIP_vector_typeIfLj2EEffffjfiS5_IjLj3EEiiiiiiiiiiiliiliiiiil.numbered_sgpr, 42
	.set _ZL15flash_attn_tileILi576ELi512ELi8ELi4ELb1EEvPKcS1_S1_S1_S1_PKiPfP15HIP_vector_typeIfLj2EEffffjfiS5_IjLj3EEiiiiiiiiiiiliiliiiiil.num_named_barrier, 0
	.set _ZL15flash_attn_tileILi576ELi512ELi8ELi4ELb1EEvPKcS1_S1_S1_S1_PKiPfP15HIP_vector_typeIfLj2EEffffjfiS5_IjLj3EEiiiiiiiiiiiliiliiiiil.private_seg_size, 0
	.set _ZL15flash_attn_tileILi576ELi512ELi8ELi4ELb1EEvPKcS1_S1_S1_S1_PKiPfP15HIP_vector_typeIfLj2EEffffjfiS5_IjLj3EEiiiiiiiiiiiliiliiiiil.uses_vcc, 1
	.set _ZL15flash_attn_tileILi576ELi512ELi8ELi4ELb1EEvPKcS1_S1_S1_S1_PKiPfP15HIP_vector_typeIfLj2EEffffjfiS5_IjLj3EEiiiiiiiiiiiliiliiiiil.uses_flat_scratch, 0
	.set _ZL15flash_attn_tileILi576ELi512ELi8ELi4ELb1EEvPKcS1_S1_S1_S1_PKiPfP15HIP_vector_typeIfLj2EEffffjfiS5_IjLj3EEiiiiiiiiiiiliiliiiiil.has_dyn_sized_stack, 0
	.set _ZL15flash_attn_tileILi576ELi512ELi8ELi4ELb1EEvPKcS1_S1_S1_S1_PKiPfP15HIP_vector_typeIfLj2EEffffjfiS5_IjLj3EEiiiiiiiiiiiliiliiiiil.has_recursion, 0
	.set _ZL15flash_attn_tileILi576ELi512ELi8ELi4ELb1EEvPKcS1_S1_S1_S1_PKiPfP15HIP_vector_typeIfLj2EEffffjfiS5_IjLj3EEiiiiiiiiiiiliiliiiiil.has_indirect_call, 0
	.section	.AMDGPU.csdata,"",@progbits
; Kernel info:
; codeLenInByte = 62660
; TotalNumSgprs: 44
; NumVgprs: 215
; ScratchSize: 0
; MemoryBound: 0
; FloatMode: 240
; IeeeMode: 1
; LDSByteSize: 63488 bytes/workgroup (compile time only)
; SGPRBlocks: 0
; VGPRBlocks: 13
; NumSGPRsForWavesPerEU: 44
; NumVGPRsForWavesPerEU: 215
; NamedBarCnt: 0
; Occupancy: 4
; WaveLimiterHint : 1
; COMPUTE_PGM_RSRC2:SCRATCH_EN: 0
; COMPUTE_PGM_RSRC2:USER_SGPR: 2
; COMPUTE_PGM_RSRC2:TRAP_HANDLER: 0
; COMPUTE_PGM_RSRC2:TGID_X_EN: 1
; COMPUTE_PGM_RSRC2:TGID_Y_EN: 1
; COMPUTE_PGM_RSRC2:TGID_Z_EN: 1
; COMPUTE_PGM_RSRC2:TIDIG_COMP_CNT: 1
	.section	.text._ZL15flash_attn_tileILi576ELi512ELi4ELi4ELb1EEvPKcS1_S1_S1_S1_PKiPfP15HIP_vector_typeIfLj2EEffffjfiS5_IjLj3EEiiiiiiiiiiiliiliiiiil,"axG",@progbits,_ZL15flash_attn_tileILi576ELi512ELi4ELi4ELb1EEvPKcS1_S1_S1_S1_PKiPfP15HIP_vector_typeIfLj2EEffffjfiS5_IjLj3EEiiiiiiiiiiiliiliiiiil,comdat
	.globl	_ZL15flash_attn_tileILi576ELi512ELi4ELi4ELb1EEvPKcS1_S1_S1_S1_PKiPfP15HIP_vector_typeIfLj2EEffffjfiS5_IjLj3EEiiiiiiiiiiiliiliiiiil ; -- Begin function _ZL15flash_attn_tileILi576ELi512ELi4ELi4ELb1EEvPKcS1_S1_S1_S1_PKiPfP15HIP_vector_typeIfLj2EEffffjfiS5_IjLj3EEiiiiiiiiiiiliiliiiiil
	.p2align	8
	.type	_ZL15flash_attn_tileILi576ELi512ELi4ELi4ELb1EEvPKcS1_S1_S1_S1_PKiPfP15HIP_vector_typeIfLj2EEffffjfiS5_IjLj3EEiiiiiiiiiiiliiliiiiil,@function
_ZL15flash_attn_tileILi576ELi512ELi4ELi4ELb1EEvPKcS1_S1_S1_S1_PKiPfP15HIP_vector_typeIfLj2EEffffjfiS5_IjLj3EEiiiiiiiiiiiliiliiiiil: ; @_ZL15flash_attn_tileILi576ELi512ELi4ELi4ELb1EEvPKcS1_S1_S1_S1_PKiPfP15HIP_vector_typeIfLj2EEffffjfiS5_IjLj3EEiiiiiiiiiiiliiliiiiil
; %bb.0:
	s_clause 0x1
	s_load_b128 s[20:23], s[0:1], 0x5c
	s_load_b64 s[28:29], s[0:1], 0x80
	s_bfe_u32 s5, ttmp6, 0x40014
	s_lshr_b32 s4, ttmp7, 16
	s_add_co_i32 s5, s5, 1
	s_bfe_u32 s6, ttmp6, 0x40008
	s_mul_i32 s5, s4, s5
	s_getreg_b32 s24, hwreg(HW_REG_IB_STS2, 6, 4)
	s_add_co_i32 s6, s6, s5
	s_load_b64 s[36:37], s[0:1], 0xb8
	s_mov_b32 s35, 0
	s_mov_b64 s[30:31], 0
	s_wait_kmcnt 0x0
	s_ashr_i32 s2, s23, 31
	s_delay_alu instid0(SALU_CYCLE_1) | instskip(NEXT) | instid1(SALU_CYCLE_1)
	s_lshr_b32 s2, s2, 30
	s_add_co_i32 s2, s23, s2
	s_delay_alu instid0(SALU_CYCLE_1) | instskip(NEXT) | instid1(SALU_CYCLE_1)
	s_ashr_i32 s2, s2, 2
	s_cvt_f32_u32 s3, s2
	s_sub_co_i32 s7, 0, s2
	s_delay_alu instid0(SALU_CYCLE_2) | instskip(SKIP_1) | instid1(TRANS32_DEP_1)
	v_rcp_iflag_f32_e32 v1, s3
	v_nop
	v_readfirstlane_b32 s3, v1
	s_mul_f32 s3, s3, 0x4f7ffffe
	s_delay_alu instid0(SALU_CYCLE_3) | instskip(NEXT) | instid1(SALU_CYCLE_3)
	s_cvt_u32_f32 s3, s3
	s_mul_i32 s7, s7, s3
	s_delay_alu instid0(SALU_CYCLE_1) | instskip(NEXT) | instid1(SALU_CYCLE_1)
	s_mul_hi_u32 s7, s3, s7
	s_add_co_i32 s3, s3, s7
	s_cmp_eq_u32 s24, 0
	s_cselect_b32 s4, s4, s6
	s_delay_alu instid0(SALU_CYCLE_1) | instskip(NEXT) | instid1(SALU_CYCLE_1)
	s_mul_hi_u32 s3, s4, s3
	s_mul_i32 s5, s3, s2
	s_add_co_i32 s6, s3, 1
	s_sub_co_i32 s5, s4, s5
	s_delay_alu instid0(SALU_CYCLE_1)
	s_sub_co_i32 s7, s5, s2
	s_cmp_ge_u32 s5, s2
	s_cselect_b32 s3, s6, s3
	s_cselect_b32 s5, s7, s5
	s_add_co_i32 s6, s3, 1
	s_cmp_ge_u32 s5, s2
	s_cselect_b32 s2, s6, s3
	s_abs_i32 s3, s29
	s_lshl_b32 s4, s4, 2
	s_cvt_f32_u32 s5, s3
	s_sub_co_i32 s6, 0, s3
	s_mul_i32 s7, s2, s23
	s_abs_i32 s8, s23
	v_rcp_iflag_f32_e32 v1, s5
	s_sub_co_i32 s33, s4, s7
	v_nop
	s_delay_alu instid0(TRANS32_DEP_1) | instskip(SKIP_1) | instid1(SALU_CYCLE_3)
	v_readfirstlane_b32 s5, v1
	s_mul_f32 s5, s5, 0x4f7ffffe
	s_cvt_u32_f32 s5, s5
	s_delay_alu instid0(SALU_CYCLE_3) | instskip(NEXT) | instid1(SALU_CYCLE_1)
	s_mul_i32 s6, s6, s5
	s_mul_hi_u32 s6, s5, s6
	s_delay_alu instid0(SALU_CYCLE_1) | instskip(NEXT) | instid1(SALU_CYCLE_1)
	s_add_co_i32 s5, s5, s6
	s_mul_hi_u32 s4, s8, s5
	s_xor_b32 s5, s23, s29
	s_mul_i32 s6, s4, s3
	s_ashr_i32 s25, s5, 31
	s_sub_co_i32 s5, s8, s6
	s_add_co_i32 s6, s4, 1
	s_sub_co_i32 s7, s5, s3
	s_cmp_ge_u32 s5, s3
	s_cselect_b32 s4, s6, s4
	s_cselect_b32 s5, s7, s5
	s_add_co_i32 s6, s4, 1
	s_cmp_ge_u32 s5, s3
	s_cselect_b32 s3, s6, s4
	s_load_b512 s[4:19], s[0:1], 0x0
	s_xor_b32 s3, s3, s25
	s_delay_alu instid0(SALU_CYCLE_1) | instskip(NEXT) | instid1(SALU_CYCLE_1)
	s_sub_co_i32 s3, s3, s25
	s_abs_i32 s29, s3
	s_delay_alu instid0(SALU_CYCLE_1) | instskip(NEXT) | instid1(SALU_CYCLE_3)
	s_cvt_f32_u32 s25, s29
	v_rcp_iflag_f32_e32 v1, s25
	v_nop
	s_delay_alu instid0(TRANS32_DEP_1)
	v_readfirstlane_b32 s25, v1
	s_wait_kmcnt 0x0
	s_cmp_eq_u64 s[10:11], 0
	s_cbranch_scc1 .LBB26_2
; %bb.1:
	s_abs_i32 s30, s36
	s_abs_i32 s31, s2
	s_cvt_f32_u32 s26, s30
	s_sub_co_i32 s27, 0, s30
	s_delay_alu instid0(SALU_CYCLE_2) | instskip(SKIP_1) | instid1(TRANS32_DEP_1)
	v_rcp_iflag_f32_e32 v1, s26
	v_nop
	v_readfirstlane_b32 s26, v1
	s_mul_f32 s26, s26, 0x4f7ffffe
	s_delay_alu instid0(SALU_CYCLE_3) | instskip(NEXT) | instid1(SALU_CYCLE_3)
	s_cvt_u32_f32 s26, s26
	s_mul_i32 s27, s27, s26
	s_delay_alu instid0(SALU_CYCLE_1) | instskip(NEXT) | instid1(SALU_CYCLE_1)
	s_mul_hi_u32 s27, s26, s27
	s_add_co_i32 s26, s26, s27
	s_delay_alu instid0(SALU_CYCLE_1) | instskip(SKIP_2) | instid1(SALU_CYCLE_1)
	s_mul_hi_u32 s34, s31, s26
	s_load_b64 s[26:27], s[0:1], 0xc8
	s_mul_i32 s34, s34, s30
	s_sub_co_i32 s31, s31, s34
	s_ashr_i32 s34, s2, 31
	s_sub_co_i32 s36, s31, s30
	s_cmp_ge_u32 s31, s30
	s_cselect_b32 s31, s36, s31
	s_delay_alu instid0(SALU_CYCLE_1) | instskip(SKIP_2) | instid1(SALU_CYCLE_1)
	s_sub_co_i32 s36, s31, s30
	s_cmp_ge_u32 s31, s30
	s_cselect_b32 s30, s36, s31
	s_xor_b32 s30, s30, s34
	s_delay_alu instid0(SALU_CYCLE_1) | instskip(NEXT) | instid1(SALU_CYCLE_1)
	s_sub_co_i32 s30, s30, s34
	s_ashr_i32 s31, s30, 31
	s_wait_kmcnt 0x0
	s_mul_u64 s[26:27], s[26:27], s[30:31]
	s_delay_alu instid0(SALU_CYCLE_1)
	s_add_nc_u64 s[30:31], s[10:11], s[26:27]
.LBB26_2:
	s_bfe_u32 s10, ttmp6, 0x4000c
	v_dual_lshrrev_b32 v1, 10, v0 :: v_dual_mov_b32 v3, 0
	s_add_co_i32 s10, s10, 1
	s_and_b32 s11, ttmp6, 15
	s_mul_i32 s10, ttmp9, s10
	s_delay_alu instid0(VALU_DEP_1)
	v_bfe_u32 v1, v1, 1, 9
	s_add_co_i32 s11, s11, s10
	s_cmp_eq_u32 s24, 0
	v_bfe_u32 v6, v0, 10, 10
	s_cselect_b32 s26, ttmp9, s11
	s_load_b96 s[40:42], s[0:1], 0x70
	v_lshl_add_u32 v80, s26, 2, v1
	s_delay_alu instid0(VALU_DEP_2) | instskip(SKIP_1) | instid1(VALU_DEP_3)
	v_dual_mov_b32 v65, v3 :: v_dual_lshlrev_b32 v8, 1, v6
	v_mul_u32_u24_e32 v82, 0x900, v6
	v_mul_hi_u32 v1, s20, v80
	s_delay_alu instid0(VALU_DEP_1) | instskip(SKIP_3) | instid1(VALU_DEP_1)
	v_dual_add_nc_u32 v1, v80, v1 :: v_dual_bitop2_b32 v64, 2, v8 bitop3:0x40
	s_wait_kmcnt 0x0
	s_mul_i32 s20, s33, s41
	s_ashr_i32 s11, s41, 31
	v_lshrrev_b32_e32 v1, s21, v1
	s_mov_b32 s10, s41
	s_ashr_i32 s41, s40, 31
	s_lshr_b64 s[10:11], s[10:11], 2
	s_lshr_b64 s[38:39], s[40:41], 2
	v_mul_lo_u32 v1, v1, s22
	s_ashr_i32 s21, s20, 31
	v_mul_u64_e32 v[10:11], s[10:11], v[64:65]
	v_and_b32_e32 v65, 0x3ff, v0
	s_delay_alu instid0(VALU_DEP_1) | instskip(SKIP_2) | instid1(VALU_DEP_1)
	v_lshlrev_b32_e32 v0, 4, v65
	v_cmp_gt_u32_e32 vcc_lo, 16, v65
	v_dual_mov_b32 v1, v3 :: v_dual_sub_nc_u32 v2, v80, v1
	v_mul_u64_e32 v[4:5], s[38:39], v[2:3]
	s_mul_i32 s38, s2, s42
	s_delay_alu instid0(SALU_CYCLE_1) | instskip(NEXT) | instid1(SALU_CYCLE_1)
	s_ashr_i32 s39, s38, 31
	s_add_nc_u64 s[4:5], s[4:5], s[38:39]
	s_delay_alu instid0(SALU_CYCLE_1)
	s_add_nc_u64 s[4:5], s[4:5], s[20:21]
	s_delay_alu instid0(VALU_DEP_1) | instid1(SALU_CYCLE_1)
	v_lshl_add_u64 v[4:5], v[4:5], 2, s[4:5]
	s_load_b32 s4, s[0:1], 0x40
	s_delay_alu instid0(VALU_DEP_1) | instskip(NEXT) | instid1(VALU_DEP_1)
	v_add_nc_u64_e32 v[0:1], v[4:5], v[0:1]
	v_lshl_add_u64 v[4:5], v[10:11], 2, v[0:1]
	s_clause 0x3
	global_load_b128 v[10:13], v[4:5], off
	global_load_b128 v[14:17], v[4:5], off offset:512
	global_load_b128 v[18:21], v[4:5], off offset:1024
	;; [unrolled: 1-line block ×3, first 2 shown]
	s_wait_loadcnt 0x3
	s_wait_kmcnt 0x0
	v_fma_mixlo_f16 v10, s4, v10, 0
	v_fma_mixlo_f16 v11, s4, v11, 0
	;; [unrolled: 1-line block ×4, first 2 shown]
	s_wait_loadcnt 0x2
	v_fma_mixlo_f16 v14, s4, v14, 0
	v_fma_mixlo_f16 v15, s4, v15, 0
	;; [unrolled: 1-line block ×4, first 2 shown]
	s_wait_loadcnt 0x1
	v_fma_mixlo_f16 v18, s4, v18, 0
	v_fma_mixlo_f16 v19, s4, v19, 0
	;; [unrolled: 1-line block ×3, first 2 shown]
	s_wait_loadcnt 0x0
	v_fma_mixlo_f16 v22, s4, v22, 0
	v_fma_mixlo_f16 v23, s4, v23, 0
	v_dual_lshlrev_b32 v7, 3, v65 :: v_dual_lshlrev_b32 v11, 16, v11
	v_fma_mixlo_f16 v25, s4, v25, 0
	v_and_b32_e32 v10, 0xffff, v10
	v_dual_lshlrev_b32 v13, 16, v13 :: v_dual_lshlrev_b32 v15, 16, v15
	v_and_b32_e32 v12, 0xffff, v12
	v_and_b32_e32 v14, 0xffff, v14
	v_fma_mixlo_f16 v20, s4, v20, 0
	v_fma_mixlo_f16 v24, s4, v24, 0
	v_dual_lshlrev_b32 v17, 16, v17 :: v_dual_lshlrev_b32 v19, 16, v19
	v_and_b32_e32 v16, 0xffff, v16
	v_and_b32_e32 v18, 0xffff, v18
	v_dual_lshlrev_b32 v21, 16, v21 :: v_dual_lshlrev_b32 v23, 16, v23
	v_and_b32_e32 v22, 0xffff, v22
	v_dual_lshlrev_b32 v25, 16, v25 :: v_dual_bitop2_b32 v10, v11, v10 bitop3:0x54
	v_or3_b32 v11, v13, v12, 0
	v_or_b32_e32 v12, v15, v14
	v_and_b32_e32 v20, 0xffff, v20
	v_and_b32_e32 v24, 0xffff, v24
	v_or3_b32 v13, v17, v16, 0
	v_or_b32_e32 v14, v19, v18
	v_or_b32_e32 v16, v23, v22
	v_mad_u32_u24 v9, 0x900, v6, v7
	v_or3_b32 v10, 0, 0, v10
	v_or3_b32 v12, 0, 0, v12
	;; [unrolled: 1-line block ×6, first 2 shown]
	ds_store_2addr_b64 v9, v[10:11], v[12:13] offset1:32
	ds_store_2addr_b64 v9, v[14:15], v[16:17] offset0:64 offset1:96
	s_and_saveexec_b32 s5, vcc_lo
	s_cbranch_execz .LBB26_4
; %bb.3:
	global_load_b128 v[10:13], v[4:5], off offset:2048
	s_wait_loadcnt 0x0
	v_fma_mixlo_f16 v9, s4, v10, 0
	v_mov_b32_e32 v10, v13
	s_delay_alu instid0(VALU_DEP_2) | instskip(NEXT) | instid1(VALU_DEP_2)
	v_and_b32_e32 v9, 0xffff, v9
	v_pk_mul_f32 v[4:5], s[4:5], v[10:11] op_sel_hi:[0,1]
	s_delay_alu instid0(VALU_DEP_1) | instskip(SKIP_1) | instid1(VALU_DEP_2)
	v_cvt_pk_f16_f32 v4, v4, v5
	v_fma_mixlo_f16 v5, s4, v12, 0
	v_and_b32_e32 v10, 0xffff0000, v4
	s_delay_alu instid0(VALU_DEP_2) | instskip(NEXT) | instid1(VALU_DEP_2)
	v_and_b32_e32 v5, 0xffff, v5
	v_dual_lshlrev_b32 v4, 16, v4 :: v_dual_bitop2_b32 v9, v10, v9 bitop3:0x54
	s_delay_alu instid0(VALU_DEP_1) | instskip(NEXT) | instid1(VALU_DEP_2)
	v_or3_b32 v5, v4, v5, 0
	v_or3_b32 v4, 0, 0, v9
	v_add_nc_u32_e32 v9, v7, v82
	ds_store_b64 v9, v[4:5] offset:1024
.LBB26_4:
	s_or_b32 exec_lo, exec_lo, s5
	v_bitop3_b32 v4, v8, 3, 1 bitop3:0xc8
	v_dual_mov_b32 v5, v3 :: v_dual_bitop2_b32 v3, 1, v8 bitop3:0x54
	s_delay_alu instid0(VALU_DEP_1) | instskip(NEXT) | instid1(VALU_DEP_2)
	v_mul_u64_e32 v[4:5], s[10:11], v[4:5]
	v_mad_u32_u24 v26, 0x480, v3, v7
	s_delay_alu instid0(VALU_DEP_2)
	v_lshl_add_u64 v[0:1], v[4:5], 2, v[0:1]
	s_clause 0x3
	global_load_b128 v[10:13], v[0:1], off
	global_load_b128 v[14:17], v[0:1], off offset:512
	global_load_b128 v[18:21], v[0:1], off offset:1024
	;; [unrolled: 1-line block ×3, first 2 shown]
	s_wait_loadcnt 0x3
	v_fma_mixlo_f16 v4, s4, v10, 0
	v_fma_mixlo_f16 v5, s4, v11, 0
	;; [unrolled: 1-line block ×4, first 2 shown]
	s_wait_loadcnt 0x2
	v_fma_mixlo_f16 v10, s4, v14, 0
	v_fma_mixlo_f16 v11, s4, v15, 0
	;; [unrolled: 1-line block ×4, first 2 shown]
	s_wait_loadcnt 0x1
	v_fma_mixlo_f16 v14, s4, v18, 0
	v_fma_mixlo_f16 v15, s4, v19, 0
	s_wait_loadcnt 0x0
	v_fma_mixlo_f16 v18, s4, v22, 0
	v_fma_mixlo_f16 v19, s4, v23, 0
	;; [unrolled: 1-line block ×4, first 2 shown]
	v_dual_lshlrev_b32 v5, 16, v5 :: v_dual_lshlrev_b32 v11, 16, v11
	v_and_b32_e32 v4, 0xffff, v4
	v_dual_lshlrev_b32 v9, 16, v9 :: v_dual_lshlrev_b32 v15, 16, v15
	v_and_b32_e32 v8, 0xffff, v8
	v_and_b32_e32 v10, 0xffff, v10
	v_fma_mixlo_f16 v16, s4, v20, 0
	v_fma_mixlo_f16 v20, s4, v24, 0
	v_dual_lshlrev_b32 v13, 16, v13 :: v_dual_lshlrev_b32 v19, 16, v19
	v_and_b32_e32 v12, 0xffff, v12
	v_and_b32_e32 v14, 0xffff, v14
	;; [unrolled: 1-line block ×3, first 2 shown]
	v_dual_lshlrev_b32 v17, 16, v17 :: v_dual_bitop2_b32 v4, v5, v4 bitop3:0x54
	v_lshlrev_b32_e32 v21, 16, v21
	v_or3_b32 v5, v9, v8, 0
	v_or_b32_e32 v8, v11, v10
	v_and_b32_e32 v16, 0xffff, v16
	v_and_b32_e32 v20, 0xffff, v20
	v_or3_b32 v9, v13, v12, 0
	v_or_b32_e32 v10, v15, v14
	v_or_b32_e32 v12, v19, v18
	v_or3_b32 v4, 0, 0, v4
	v_or3_b32 v8, 0, 0, v8
	;; [unrolled: 1-line block ×6, first 2 shown]
	ds_store_2addr_b64 v26, v[4:5], v[8:9] offset1:32
	ds_store_2addr_b64 v26, v[10:11], v[12:13] offset0:64 offset1:96
	s_and_saveexec_b32 s5, vcc_lo
	s_cbranch_execz .LBB26_6
; %bb.5:
	global_load_b128 v[8:11], v[0:1], off offset:2048
	v_mul_u32_u24_e32 v3, 0x480, v3
	s_delay_alu instid0(VALU_DEP_1) | instskip(SKIP_3) | instid1(VALU_DEP_2)
	v_add_nc_u32_e32 v3, v7, v3
	s_wait_loadcnt 0x0
	v_fma_mixlo_f16 v4, s4, v8, 0
	v_mov_b32_e32 v8, v11
	v_and_b32_e32 v4, 0xffff, v4
	s_delay_alu instid0(VALU_DEP_2) | instskip(NEXT) | instid1(VALU_DEP_1)
	v_pk_mul_f32 v[0:1], s[4:5], v[8:9] op_sel_hi:[0,1]
	v_cvt_pk_f16_f32 v0, v0, v1
	v_fma_mixlo_f16 v1, s4, v10, 0
	s_delay_alu instid0(VALU_DEP_2) | instskip(NEXT) | instid1(VALU_DEP_2)
	v_and_b32_e32 v5, 0xffff0000, v0
	v_and_b32_e32 v1, 0xffff, v1
	v_lshlrev_b32_e32 v0, 16, v0
	s_delay_alu instid0(VALU_DEP_3) | instskip(NEXT) | instid1(VALU_DEP_2)
	v_or_b32_e32 v4, v5, v4
	v_or3_b32 v1, v0, v1, 0
	s_delay_alu instid0(VALU_DEP_2)
	v_or3_b32 v0, 0, 0, v4
	ds_store_b64 v3, v[0:1] offset:1024
.LBB26_6:
	s_or_b32 exec_lo, exec_lo, s5
	s_cmp_eq_u64 s[14:15], 0
	s_wait_dscnt 0x0
	s_barrier_signal -1
	s_barrier_wait -1
	s_cbranch_scc1 .LBB26_8
; %bb.7:
	s_load_b32 s4, s[0:1], 0xd0
	s_wait_kmcnt 0x0
	s_mul_i32 s4, s4, s2
	s_delay_alu instid0(SALU_CYCLE_1)
	s_add_co_i32 s4, s4, s26
	s_load_b32 s28, s[14:15], s4 offset:0x0 scale_offset
.LBB26_8:
	s_wait_xcnt 0x0
	s_bfe_u32 s4, ttmp6, 0x40010
	s_and_b32 s5, ttmp7, 0xffff
	s_add_co_i32 s4, s4, 1
	s_bfe_u32 s10, ttmp6, 0x40004
	s_mul_i32 s4, s5, s4
	v_lshlrev_b32_e32 v81, 2, v65
	s_add_co_i32 s10, s10, s4
	s_cmp_eq_u32 s24, 0
	v_mbcnt_lo_u32_b32 v83, -1, 0
	s_cselect_b32 s20, s5, s10
	s_mov_b32 s5, 0
	s_lshl_b32 s4, s20, 6
	s_wait_kmcnt 0x0
	s_cmp_lt_i32 s4, s28
	s_cbranch_scc1 .LBB26_11
; %bb.9:
	v_mbcnt_lo_u32_b32 v0, -1, 0
	s_delay_alu instid0(VALU_DEP_1)
	v_dual_mov_b32 v84, 32 :: v_dual_bitop2_b32 v97, 16, v0 bitop3:0x14
	v_xor_b32_e32 v93, 8, v0
	v_xor_b32_e32 v94, 4, v0
	;; [unrolled: 1-line block ×4, first 2 shown]
	s_and_not1_b32 vcc_lo, exec_lo, s5
	s_cbranch_vccz .LBB26_12
; %bb.10:
	v_dual_mov_b32 v77, 0xfeffffff :: v_dual_mov_b32 v60, 0
	v_dual_mov_b32 v67, 0 :: v_dual_mov_b32 v21, 0
	;; [unrolled: 1-line block ×3, first 2 shown]
	s_delay_alu instid0(VALU_DEP_2)
	v_dual_mov_b32 v76, v77 :: v_dual_mov_b32 v66, v67
	v_dual_mov_b32 v18, 0 :: v_dual_mov_b32 v17, 0
	;; [unrolled: 1-line block ×7, first 2 shown]
	s_branch .LBB26_32
.LBB26_11:
                                        ; implicit-def: $vgpr0
                                        ; implicit-def: $vgpr84
                                        ; implicit-def: $vgpr97
                                        ; implicit-def: $vgpr93
                                        ; implicit-def: $vgpr94
                                        ; implicit-def: $vgpr95
                                        ; implicit-def: $vgpr96
.LBB26_12:
	s_mul_f32 s5, s25, 0x4f7ffffe
	s_clause 0x1
	s_load_b128 s[24:27], s[0:1], 0x98
	s_load_b64 s[14:15], s[0:1], 0x8c
	s_sub_co_i32 s10, 0, s29
	s_ashr_i32 s38, s3, 31
	s_cvt_u32_f32 s5, s5
	s_abs_i32 s34, s33
	s_mov_b32 s11, s35
	s_ashr_i32 s39, s37, 1
	s_mul_i32 s10, s10, s5
	s_load_b64 s[36:37], s[0:1], 0xa8
	s_mul_hi_u32 s3, s5, s10
	s_ashr_i32 s21, s33, 31
	s_add_co_i32 s10, s5, s3
	s_ashr_i32 s3, s2, 31
	s_mul_u64 s[10:11], s[34:35], s[10:11]
	s_xor_b32 s21, s21, s38
	s_mul_i32 s5, s11, s29
	v_dual_mov_b32 v71, 0 :: v_dual_bitop2_b32 v0, 28, v81 bitop3:0x40
	s_sub_co_i32 s5, s34, s5
	s_wait_kmcnt 0x0
	s_ashr_i32 s10, s26, 2
	s_ashr_i32 s14, s14, 2
	s_add_co_i32 s26, s11, 1
	s_sub_co_i32 s34, s5, s29
	s_cmp_ge_u32 s5, s29
	v_dual_lshrrev_b32 v1, 3, v65 :: v_dual_lshlrev_b32 v3, 2, v0
	s_cselect_b32 s11, s26, s11
	s_cselect_b32 s5, s34, s5
	v_mul_lo_u32 v4, s10, v6
	s_add_co_i32 s26, s11, 1
	s_cmp_ge_u32 s5, s29
	v_lshl_add_u32 v1, v6, 2, v1
	s_cselect_b32 s5, s26, s11
	s_mul_u64 s[24:25], s[24:25], s[2:3]
	s_xor_b32 s5, s5, s21
	s_add_nc_u64 s[6:7], s[6:7], s[24:25]
	v_mul_lo_u32 v68, s14, v1
	s_sub_co_i32 s5, s5, s21
	s_load_b32 s21, s[0:1], 0x54
	s_mul_u64 s[24:25], s[36:37], s[2:3]
	s_mul_i32 s26, s5, s27
	v_dual_mov_b32 v8, v71 :: v_dual_ashrrev_i32 v5, 31, v4
	s_add_nc_u64 s[8:9], s[8:9], s[24:25]
	s_ashr_i32 s27, s26, 31
	v_mad_u32_u24 v1, 0x90, v1, v3
	s_delay_alu instid0(VALU_DEP_3)
	v_dual_lshlrev_b32 v70, 2, v81 :: v_dual_ashrrev_i32 v69, 31, v68
	s_add_nc_u64 s[8:9], s[8:9], s[26:27]
	v_mad_u32 v88, v2, s39, v65
	v_lshl_add_u64 v[2:3], v[4:5], 2, s[8:9]
	v_dual_mov_b32 v84, 32 :: v_dual_add_nc_u32 v85, 0x4800, v1
	v_lshl_add_u32 v72, s14, 5, v68
	v_dual_mov_b32 v9, v71 :: v_dual_add_nc_u32 v86, 0x5a00, v1
	v_lshl_add_u32 v1, v6, 10, v70
	s_movk_i32 s3, 0x4800
	v_add_nc_u64_e32 v[74:75], v[2:3], v[70:71]
	s_mul_i32 s34, s5, s15
	v_dual_mov_b32 v10, v71 :: v_dual_ashrrev_i32 v73, 31, v72
	v_mad_u32_u24 v87, 0x90, v65, s3
	v_lshl_add_u32 v89, v6, 8, 0x6c00
	v_dual_mov_b32 v11, v71 :: v_dual_add_nc_u32 v90, 0x4800, v1
	v_dual_mov_b32 v12, v71 :: v_dual_add_nc_u32 v91, 0x4a00, v1
	;; [unrolled: 1-line block ×3, first 2 shown]
	v_dual_mov_b32 v23, 0xfeffffff :: v_dual_lshlrev_b32 v70, 2, v0
	v_dual_mov_b32 v14, v71 :: v_dual_mov_b32 v62, v71
	v_dual_mov_b32 v15, v71 :: v_dual_mov_b32 v16, v71
	;; [unrolled: 1-line block ×6, first 2 shown]
	v_mov_b32_e32 v66, v71
	s_ashr_i32 s35, s34, 31
	s_ashr_i32 s15, s14, 31
	s_add_nc_u64 s[6:7], s[6:7], s[34:35]
	s_ashr_i32 s11, s10, 31
	s_add_nc_u64 s[8:9], s[0:1], 0xd0
	s_mov_b32 s3, 0xbbbac73d
.LBB26_13:                              ; =>This Inner Loop Header: Depth=1
	s_ashr_i32 s5, s4, 31
	v_mov_b32_e32 v37, 0
	s_mul_u64 s[24:25], s[4:5], s[14:15]
	v_mov_b32_e32 v38, 0
	s_lshl_b64 s[24:25], s[24:25], 2
	s_delay_alu instid0(SALU_CYCLE_1) | instskip(NEXT) | instid1(SALU_CYCLE_1)
	s_add_nc_u64 s[24:25], s[6:7], s[24:25]
	v_lshl_add_u64 v[0:1], v[68:69], 2, s[24:25]
	v_lshl_add_u64 v[2:3], v[72:73], 2, s[24:25]
	s_delay_alu instid0(VALU_DEP_2) | instskip(NEXT) | instid1(VALU_DEP_2)
	v_add_nc_u64_e32 v[0:1], v[0:1], v[70:71]
	v_add_nc_u64_e32 v[2:3], v[2:3], v[70:71]
	s_clause 0x1
	global_load_b128 v[4:7], v[0:1], off
	global_load_b128 v[24:27], v[2:3], off
	s_wait_loadcnt 0x1
	ds_store_b128 v85, v[4:7]
	s_wait_loadcnt 0x0
	ds_store_b128 v86, v[24:27]
	s_wait_dscnt 0x0
	s_barrier_signal -1
	s_barrier_wait -1
	ds_load_b128 v[24:27], v87
	ds_load_b128 v[28:31], v82
	ds_load_b128 v[32:35], v82 offset:1152
	ds_load_b128 v[40:43], v87 offset:4608
	v_dual_mov_b32 v4, 0 :: v_dual_mov_b32 v5, 0
	s_wait_dscnt 0x2
	;;#ASMSTART
	v_dot2_f32_f16 v4, v24, v28, v4
	;;#ASMEND
	;;#ASMSTART
	v_dot2_f32_f16 v4, v25, v29, v4
	;;#ASMEND
	;;#ASMSTART
	v_dot2_f32_f16 v4, v26, v30, v4
	;;#ASMEND
	;;#ASMSTART
	v_dot2_f32_f16 v4, v27, v31, v4
	;;#ASMEND
	s_wait_dscnt 0x1
	;;#ASMSTART
	v_dot2_f32_f16 v37, v24, v32, v37
	;;#ASMEND
	;;#ASMSTART
	v_dot2_f32_f16 v37, v25, v33, v37
	;;#ASMEND
	;;#ASMSTART
	v_dot2_f32_f16 v37, v26, v34, v37
	;;#ASMEND
	;;#ASMSTART
	v_dot2_f32_f16 v37, v27, v35, v37
	;;#ASMEND
	s_wait_dscnt 0x0
	;;#ASMSTART
	v_dot2_f32_f16 v5, v40, v28, v5
	;;#ASMEND
	;;#ASMSTART
	v_dot2_f32_f16 v5, v41, v29, v5
	;;#ASMEND
	;;#ASMSTART
	v_dot2_f32_f16 v5, v42, v30, v5
	;;#ASMEND
	;;#ASMSTART
	v_dot2_f32_f16 v5, v43, v31, v5
	;;#ASMEND
	;;#ASMSTART
	v_dot2_f32_f16 v38, v40, v32, v38
	;;#ASMEND
	;;#ASMSTART
	v_dot2_f32_f16 v38, v41, v33, v38
	;;#ASMEND
	;;#ASMSTART
	v_dot2_f32_f16 v38, v42, v34, v38
	;;#ASMEND
	;;#ASMSTART
	v_dot2_f32_f16 v38, v43, v35, v38
	;;#ASMEND
	ds_load_b128 v[24:27], v87 offset:16
	ds_load_b128 v[28:31], v82 offset:16
	ds_load_b128 v[32:35], v82 offset:1168
	ds_load_b128 v[40:43], v87 offset:4624
	s_wait_dscnt 0x2
	;;#ASMSTART
	v_dot2_f32_f16 v4, v24, v28, v4
	;;#ASMEND
	;;#ASMSTART
	v_dot2_f32_f16 v4, v25, v29, v4
	;;#ASMEND
	;;#ASMSTART
	v_dot2_f32_f16 v4, v26, v30, v4
	;;#ASMEND
	;;#ASMSTART
	v_dot2_f32_f16 v4, v27, v31, v4
	;;#ASMEND
	s_wait_dscnt 0x1
	;;#ASMSTART
	v_dot2_f32_f16 v37, v24, v32, v37
	;;#ASMEND
	;;#ASMSTART
	v_dot2_f32_f16 v37, v25, v33, v37
	;;#ASMEND
	;;#ASMSTART
	v_dot2_f32_f16 v37, v26, v34, v37
	;;#ASMEND
	;;#ASMSTART
	v_dot2_f32_f16 v37, v27, v35, v37
	;;#ASMEND
	s_wait_dscnt 0x0
	;;#ASMSTART
	v_dot2_f32_f16 v5, v40, v28, v5
	;;#ASMEND
	;;#ASMSTART
	v_dot2_f32_f16 v5, v41, v29, v5
	;;#ASMEND
	;;#ASMSTART
	v_dot2_f32_f16 v5, v42, v30, v5
	;;#ASMEND
	;;#ASMSTART
	v_dot2_f32_f16 v5, v43, v31, v5
	;;#ASMEND
	;;#ASMSTART
	v_dot2_f32_f16 v38, v40, v32, v38
	;;#ASMEND
	;;#ASMSTART
	v_dot2_f32_f16 v38, v41, v33, v38
	;;#ASMEND
	;;#ASMSTART
	v_dot2_f32_f16 v38, v42, v34, v38
	;;#ASMEND
	;;#ASMSTART
	v_dot2_f32_f16 v38, v43, v35, v38
	;;#ASMEND
	ds_load_b128 v[24:27], v87 offset:32
	ds_load_b128 v[28:31], v82 offset:32
	ds_load_b128 v[32:35], v82 offset:1184
	ds_load_b128 v[40:43], v87 offset:4640
	;; [unrolled: 55-line block ×7, first 2 shown]
	s_wait_dscnt 0x2
	;;#ASMSTART
	v_dot2_f32_f16 v4, v24, v28, v4
	;;#ASMEND
	;;#ASMSTART
	v_dot2_f32_f16 v4, v25, v29, v4
	;;#ASMEND
	;;#ASMSTART
	v_dot2_f32_f16 v4, v26, v30, v4
	;;#ASMEND
	;;#ASMSTART
	v_dot2_f32_f16 v4, v27, v31, v4
	;;#ASMEND
	s_wait_dscnt 0x1
	;;#ASMSTART
	v_dot2_f32_f16 v37, v24, v32, v37
	;;#ASMEND
	;;#ASMSTART
	v_dot2_f32_f16 v37, v25, v33, v37
	;;#ASMEND
	;;#ASMSTART
	v_dot2_f32_f16 v37, v26, v34, v37
	;;#ASMEND
	;;#ASMSTART
	v_dot2_f32_f16 v37, v27, v35, v37
	;;#ASMEND
	;; [unrolled: 13-line block ×3, first 2 shown]
	;;#ASMSTART
	v_dot2_f32_f16 v38, v40, v32, v38
	;;#ASMEND
	;;#ASMSTART
	v_dot2_f32_f16 v38, v41, v33, v38
	;;#ASMEND
	;; [unrolled: 3-line block ×4, first 2 shown]
	s_barrier_signal -1
	s_barrier_wait -1
	s_clause 0x1
	global_load_b128 v[24:27], v[0:1], off offset:128
	global_load_b128 v[28:31], v[2:3], off offset:128
	s_wait_loadcnt 0x1
	ds_store_b128 v85, v[24:27]
	s_wait_loadcnt 0x0
	ds_store_b128 v86, v[28:31]
	s_wait_dscnt 0x0
	s_barrier_signal -1
	s_barrier_wait -1
	ds_load_b128 v[24:27], v87
	ds_load_b128 v[28:31], v82 offset:128
	ds_load_b128 v[32:35], v82 offset:1280
	ds_load_b128 v[40:43], v87 offset:4608
	s_wait_dscnt 0x2
	;;#ASMSTART
	v_dot2_f32_f16 v4, v24, v28, v4
	;;#ASMEND
	;;#ASMSTART
	v_dot2_f32_f16 v4, v25, v29, v4
	;;#ASMEND
	;;#ASMSTART
	v_dot2_f32_f16 v4, v26, v30, v4
	;;#ASMEND
	;;#ASMSTART
	v_dot2_f32_f16 v4, v27, v31, v4
	;;#ASMEND
	s_wait_dscnt 0x1
	;;#ASMSTART
	v_dot2_f32_f16 v37, v24, v32, v37
	;;#ASMEND
	;;#ASMSTART
	v_dot2_f32_f16 v37, v25, v33, v37
	;;#ASMEND
	;;#ASMSTART
	v_dot2_f32_f16 v37, v26, v34, v37
	;;#ASMEND
	;;#ASMSTART
	v_dot2_f32_f16 v37, v27, v35, v37
	;;#ASMEND
	s_wait_dscnt 0x0
	;;#ASMSTART
	v_dot2_f32_f16 v5, v40, v28, v5
	;;#ASMEND
	;;#ASMSTART
	v_dot2_f32_f16 v5, v41, v29, v5
	;;#ASMEND
	;;#ASMSTART
	v_dot2_f32_f16 v5, v42, v30, v5
	;;#ASMEND
	;;#ASMSTART
	v_dot2_f32_f16 v5, v43, v31, v5
	;;#ASMEND
	;;#ASMSTART
	v_dot2_f32_f16 v38, v40, v32, v38
	;;#ASMEND
	;;#ASMSTART
	v_dot2_f32_f16 v38, v41, v33, v38
	;;#ASMEND
	;;#ASMSTART
	v_dot2_f32_f16 v38, v42, v34, v38
	;;#ASMEND
	;;#ASMSTART
	v_dot2_f32_f16 v38, v43, v35, v38
	;;#ASMEND
	ds_load_b128 v[24:27], v87 offset:16
	ds_load_b128 v[28:31], v82 offset:144
	ds_load_b128 v[32:35], v82 offset:1296
	ds_load_b128 v[40:43], v87 offset:4624
	s_wait_dscnt 0x2
	;;#ASMSTART
	v_dot2_f32_f16 v4, v24, v28, v4
	;;#ASMEND
	;;#ASMSTART
	v_dot2_f32_f16 v4, v25, v29, v4
	;;#ASMEND
	;;#ASMSTART
	v_dot2_f32_f16 v4, v26, v30, v4
	;;#ASMEND
	;;#ASMSTART
	v_dot2_f32_f16 v4, v27, v31, v4
	;;#ASMEND
	s_wait_dscnt 0x1
	;;#ASMSTART
	v_dot2_f32_f16 v37, v24, v32, v37
	;;#ASMEND
	;;#ASMSTART
	v_dot2_f32_f16 v37, v25, v33, v37
	;;#ASMEND
	;;#ASMSTART
	v_dot2_f32_f16 v37, v26, v34, v37
	;;#ASMEND
	;;#ASMSTART
	v_dot2_f32_f16 v37, v27, v35, v37
	;;#ASMEND
	s_wait_dscnt 0x0
	;;#ASMSTART
	v_dot2_f32_f16 v5, v40, v28, v5
	;;#ASMEND
	;;#ASMSTART
	v_dot2_f32_f16 v5, v41, v29, v5
	;;#ASMEND
	;;#ASMSTART
	v_dot2_f32_f16 v5, v42, v30, v5
	;;#ASMEND
	;;#ASMSTART
	v_dot2_f32_f16 v5, v43, v31, v5
	;;#ASMEND
	;;#ASMSTART
	v_dot2_f32_f16 v38, v40, v32, v38
	;;#ASMEND
	;;#ASMSTART
	v_dot2_f32_f16 v38, v41, v33, v38
	;;#ASMEND
	;;#ASMSTART
	v_dot2_f32_f16 v38, v42, v34, v38
	;;#ASMEND
	;;#ASMSTART
	v_dot2_f32_f16 v38, v43, v35, v38
	;;#ASMEND
	ds_load_b128 v[24:27], v87 offset:32
	ds_load_b128 v[28:31], v82 offset:160
	ds_load_b128 v[32:35], v82 offset:1312
	ds_load_b128 v[40:43], v87 offset:4640
	s_wait_dscnt 0x2
	;;#ASMSTART
	v_dot2_f32_f16 v4, v24, v28, v4
	;;#ASMEND
	;;#ASMSTART
	v_dot2_f32_f16 v4, v25, v29, v4
	;;#ASMEND
	;;#ASMSTART
	v_dot2_f32_f16 v4, v26, v30, v4
	;;#ASMEND
	;;#ASMSTART
	v_dot2_f32_f16 v4, v27, v31, v4
	;;#ASMEND
	s_wait_dscnt 0x1
	;;#ASMSTART
	v_dot2_f32_f16 v37, v24, v32, v37
	;;#ASMEND
	;;#ASMSTART
	v_dot2_f32_f16 v37, v25, v33, v37
	;;#ASMEND
	;;#ASMSTART
	v_dot2_f32_f16 v37, v26, v34, v37
	;;#ASMEND
	;;#ASMSTART
	v_dot2_f32_f16 v37, v27, v35, v37
	;;#ASMEND
	s_wait_dscnt 0x0
	;;#ASMSTART
	v_dot2_f32_f16 v5, v40, v28, v5
	;;#ASMEND
	;;#ASMSTART
	v_dot2_f32_f16 v5, v41, v29, v5
	;;#ASMEND
	;;#ASMSTART
	v_dot2_f32_f16 v5, v42, v30, v5
	;;#ASMEND
	;;#ASMSTART
	v_dot2_f32_f16 v5, v43, v31, v5
	;;#ASMEND
	;;#ASMSTART
	v_dot2_f32_f16 v38, v40, v32, v38
	;;#ASMEND
	;;#ASMSTART
	v_dot2_f32_f16 v38, v41, v33, v38
	;;#ASMEND
	;;#ASMSTART
	v_dot2_f32_f16 v38, v42, v34, v38
	;;#ASMEND
	;;#ASMSTART
	v_dot2_f32_f16 v38, v43, v35, v38
	;;#ASMEND
	ds_load_b128 v[24:27], v87 offset:48
	ds_load_b128 v[28:31], v82 offset:176
	ds_load_b128 v[32:35], v82 offset:1328
	ds_load_b128 v[40:43], v87 offset:4656
	s_wait_dscnt 0x2
	;;#ASMSTART
	v_dot2_f32_f16 v4, v24, v28, v4
	;;#ASMEND
	;;#ASMSTART
	v_dot2_f32_f16 v4, v25, v29, v4
	;;#ASMEND
	;;#ASMSTART
	v_dot2_f32_f16 v4, v26, v30, v4
	;;#ASMEND
	;;#ASMSTART
	v_dot2_f32_f16 v4, v27, v31, v4
	;;#ASMEND
	s_wait_dscnt 0x1
	;;#ASMSTART
	v_dot2_f32_f16 v37, v24, v32, v37
	;;#ASMEND
	;;#ASMSTART
	v_dot2_f32_f16 v37, v25, v33, v37
	;;#ASMEND
	;;#ASMSTART
	v_dot2_f32_f16 v37, v26, v34, v37
	;;#ASMEND
	;;#ASMSTART
	v_dot2_f32_f16 v37, v27, v35, v37
	;;#ASMEND
	s_wait_dscnt 0x0
	;;#ASMSTART
	v_dot2_f32_f16 v5, v40, v28, v5
	;;#ASMEND
	;;#ASMSTART
	v_dot2_f32_f16 v5, v41, v29, v5
	;;#ASMEND
	;;#ASMSTART
	v_dot2_f32_f16 v5, v42, v30, v5
	;;#ASMEND
	;;#ASMSTART
	v_dot2_f32_f16 v5, v43, v31, v5
	;;#ASMEND
	;;#ASMSTART
	v_dot2_f32_f16 v38, v40, v32, v38
	;;#ASMEND
	;;#ASMSTART
	v_dot2_f32_f16 v38, v41, v33, v38
	;;#ASMEND
	;;#ASMSTART
	v_dot2_f32_f16 v38, v42, v34, v38
	;;#ASMEND
	;;#ASMSTART
	v_dot2_f32_f16 v38, v43, v35, v38
	;;#ASMEND
	ds_load_b128 v[24:27], v87 offset:64
	ds_load_b128 v[28:31], v82 offset:192
	ds_load_b128 v[32:35], v82 offset:1344
	ds_load_b128 v[40:43], v87 offset:4672
	s_wait_dscnt 0x2
	;;#ASMSTART
	v_dot2_f32_f16 v4, v24, v28, v4
	;;#ASMEND
	;;#ASMSTART
	v_dot2_f32_f16 v4, v25, v29, v4
	;;#ASMEND
	;;#ASMSTART
	v_dot2_f32_f16 v4, v26, v30, v4
	;;#ASMEND
	;;#ASMSTART
	v_dot2_f32_f16 v4, v27, v31, v4
	;;#ASMEND
	s_wait_dscnt 0x1
	;;#ASMSTART
	v_dot2_f32_f16 v37, v24, v32, v37
	;;#ASMEND
	;;#ASMSTART
	v_dot2_f32_f16 v37, v25, v33, v37
	;;#ASMEND
	;;#ASMSTART
	v_dot2_f32_f16 v37, v26, v34, v37
	;;#ASMEND
	;;#ASMSTART
	v_dot2_f32_f16 v37, v27, v35, v37
	;;#ASMEND
	s_wait_dscnt 0x0
	;;#ASMSTART
	v_dot2_f32_f16 v5, v40, v28, v5
	;;#ASMEND
	;;#ASMSTART
	v_dot2_f32_f16 v5, v41, v29, v5
	;;#ASMEND
	;;#ASMSTART
	v_dot2_f32_f16 v5, v42, v30, v5
	;;#ASMEND
	;;#ASMSTART
	v_dot2_f32_f16 v5, v43, v31, v5
	;;#ASMEND
	;;#ASMSTART
	v_dot2_f32_f16 v38, v40, v32, v38
	;;#ASMEND
	;;#ASMSTART
	v_dot2_f32_f16 v38, v41, v33, v38
	;;#ASMEND
	;;#ASMSTART
	v_dot2_f32_f16 v38, v42, v34, v38
	;;#ASMEND
	;;#ASMSTART
	v_dot2_f32_f16 v38, v43, v35, v38
	;;#ASMEND
	ds_load_b128 v[24:27], v87 offset:80
	ds_load_b128 v[28:31], v82 offset:208
	ds_load_b128 v[32:35], v82 offset:1360
	ds_load_b128 v[40:43], v87 offset:4688
	s_wait_dscnt 0x2
	;;#ASMSTART
	v_dot2_f32_f16 v4, v24, v28, v4
	;;#ASMEND
	;;#ASMSTART
	v_dot2_f32_f16 v4, v25, v29, v4
	;;#ASMEND
	;;#ASMSTART
	v_dot2_f32_f16 v4, v26, v30, v4
	;;#ASMEND
	;;#ASMSTART
	v_dot2_f32_f16 v4, v27, v31, v4
	;;#ASMEND
	s_wait_dscnt 0x1
	;;#ASMSTART
	v_dot2_f32_f16 v37, v24, v32, v37
	;;#ASMEND
	;;#ASMSTART
	v_dot2_f32_f16 v37, v25, v33, v37
	;;#ASMEND
	;;#ASMSTART
	v_dot2_f32_f16 v37, v26, v34, v37
	;;#ASMEND
	;;#ASMSTART
	v_dot2_f32_f16 v37, v27, v35, v37
	;;#ASMEND
	s_wait_dscnt 0x0
	;;#ASMSTART
	v_dot2_f32_f16 v5, v40, v28, v5
	;;#ASMEND
	;;#ASMSTART
	v_dot2_f32_f16 v5, v41, v29, v5
	;;#ASMEND
	;;#ASMSTART
	v_dot2_f32_f16 v5, v42, v30, v5
	;;#ASMEND
	;;#ASMSTART
	v_dot2_f32_f16 v5, v43, v31, v5
	;;#ASMEND
	;;#ASMSTART
	v_dot2_f32_f16 v38, v40, v32, v38
	;;#ASMEND
	;;#ASMSTART
	v_dot2_f32_f16 v38, v41, v33, v38
	;;#ASMEND
	;;#ASMSTART
	v_dot2_f32_f16 v38, v42, v34, v38
	;;#ASMEND
	;;#ASMSTART
	v_dot2_f32_f16 v38, v43, v35, v38
	;;#ASMEND
	ds_load_b128 v[24:27], v87 offset:96
	ds_load_b128 v[28:31], v82 offset:224
	ds_load_b128 v[32:35], v82 offset:1376
	ds_load_b128 v[40:43], v87 offset:4704
	s_wait_dscnt 0x2
	;;#ASMSTART
	v_dot2_f32_f16 v4, v24, v28, v4
	;;#ASMEND
	;;#ASMSTART
	v_dot2_f32_f16 v4, v25, v29, v4
	;;#ASMEND
	;;#ASMSTART
	v_dot2_f32_f16 v4, v26, v30, v4
	;;#ASMEND
	;;#ASMSTART
	v_dot2_f32_f16 v4, v27, v31, v4
	;;#ASMEND
	s_wait_dscnt 0x1
	;;#ASMSTART
	v_dot2_f32_f16 v37, v24, v32, v37
	;;#ASMEND
	;;#ASMSTART
	v_dot2_f32_f16 v37, v25, v33, v37
	;;#ASMEND
	;;#ASMSTART
	v_dot2_f32_f16 v37, v26, v34, v37
	;;#ASMEND
	;;#ASMSTART
	v_dot2_f32_f16 v37, v27, v35, v37
	;;#ASMEND
	s_wait_dscnt 0x0
	;;#ASMSTART
	v_dot2_f32_f16 v5, v40, v28, v5
	;;#ASMEND
	;;#ASMSTART
	v_dot2_f32_f16 v5, v41, v29, v5
	;;#ASMEND
	;;#ASMSTART
	v_dot2_f32_f16 v5, v42, v30, v5
	;;#ASMEND
	;;#ASMSTART
	v_dot2_f32_f16 v5, v43, v31, v5
	;;#ASMEND
	;;#ASMSTART
	v_dot2_f32_f16 v38, v40, v32, v38
	;;#ASMEND
	;;#ASMSTART
	v_dot2_f32_f16 v38, v41, v33, v38
	;;#ASMEND
	;;#ASMSTART
	v_dot2_f32_f16 v38, v42, v34, v38
	;;#ASMEND
	;;#ASMSTART
	v_dot2_f32_f16 v38, v43, v35, v38
	;;#ASMEND
	ds_load_b128 v[24:27], v87 offset:112
	ds_load_b128 v[28:31], v82 offset:240
	ds_load_b128 v[32:35], v82 offset:1392
	;; [unrolled: 1-line block ×3, first 2 shown]
	s_wait_dscnt 0x2
	;;#ASMSTART
	v_dot2_f32_f16 v4, v24, v28, v4
	;;#ASMEND
	;;#ASMSTART
	v_dot2_f32_f16 v4, v25, v29, v4
	;;#ASMEND
	;;#ASMSTART
	v_dot2_f32_f16 v4, v26, v30, v4
	;;#ASMEND
	;;#ASMSTART
	v_dot2_f32_f16 v4, v27, v31, v4
	;;#ASMEND
	s_wait_dscnt 0x1
	;;#ASMSTART
	v_dot2_f32_f16 v37, v24, v32, v37
	;;#ASMEND
	;;#ASMSTART
	v_dot2_f32_f16 v37, v25, v33, v37
	;;#ASMEND
	;;#ASMSTART
	v_dot2_f32_f16 v37, v26, v34, v37
	;;#ASMEND
	;;#ASMSTART
	v_dot2_f32_f16 v37, v27, v35, v37
	;;#ASMEND
	;; [unrolled: 13-line block ×3, first 2 shown]
	;;#ASMSTART
	v_dot2_f32_f16 v38, v40, v32, v38
	;;#ASMEND
	;;#ASMSTART
	v_dot2_f32_f16 v38, v41, v33, v38
	;;#ASMEND
	;; [unrolled: 3-line block ×4, first 2 shown]
	s_barrier_signal -1
	s_barrier_wait -1
	s_clause 0x1
	global_load_b128 v[24:27], v[0:1], off offset:256
	global_load_b128 v[28:31], v[2:3], off offset:256
	s_wait_loadcnt 0x1
	ds_store_b128 v85, v[24:27]
	s_wait_loadcnt 0x0
	ds_store_b128 v86, v[28:31]
	s_wait_dscnt 0x0
	s_barrier_signal -1
	s_barrier_wait -1
	ds_load_b128 v[24:27], v87
	ds_load_b128 v[28:31], v82 offset:256
	ds_load_b128 v[32:35], v82 offset:1408
	ds_load_b128 v[40:43], v87 offset:4608
	s_wait_dscnt 0x2
	;;#ASMSTART
	v_dot2_f32_f16 v4, v24, v28, v4
	;;#ASMEND
	;;#ASMSTART
	v_dot2_f32_f16 v4, v25, v29, v4
	;;#ASMEND
	;;#ASMSTART
	v_dot2_f32_f16 v4, v26, v30, v4
	;;#ASMEND
	;;#ASMSTART
	v_dot2_f32_f16 v4, v27, v31, v4
	;;#ASMEND
	s_wait_dscnt 0x1
	;;#ASMSTART
	v_dot2_f32_f16 v37, v24, v32, v37
	;;#ASMEND
	;;#ASMSTART
	v_dot2_f32_f16 v37, v25, v33, v37
	;;#ASMEND
	;;#ASMSTART
	v_dot2_f32_f16 v37, v26, v34, v37
	;;#ASMEND
	;;#ASMSTART
	v_dot2_f32_f16 v37, v27, v35, v37
	;;#ASMEND
	s_wait_dscnt 0x0
	;;#ASMSTART
	v_dot2_f32_f16 v5, v40, v28, v5
	;;#ASMEND
	;;#ASMSTART
	v_dot2_f32_f16 v5, v41, v29, v5
	;;#ASMEND
	;;#ASMSTART
	v_dot2_f32_f16 v5, v42, v30, v5
	;;#ASMEND
	;;#ASMSTART
	v_dot2_f32_f16 v5, v43, v31, v5
	;;#ASMEND
	;;#ASMSTART
	v_dot2_f32_f16 v38, v40, v32, v38
	;;#ASMEND
	;;#ASMSTART
	v_dot2_f32_f16 v38, v41, v33, v38
	;;#ASMEND
	;;#ASMSTART
	v_dot2_f32_f16 v38, v42, v34, v38
	;;#ASMEND
	;;#ASMSTART
	v_dot2_f32_f16 v38, v43, v35, v38
	;;#ASMEND
	ds_load_b128 v[24:27], v87 offset:16
	ds_load_b128 v[28:31], v82 offset:272
	ds_load_b128 v[32:35], v82 offset:1424
	ds_load_b128 v[40:43], v87 offset:4624
	s_wait_dscnt 0x2
	;;#ASMSTART
	v_dot2_f32_f16 v4, v24, v28, v4
	;;#ASMEND
	;;#ASMSTART
	v_dot2_f32_f16 v4, v25, v29, v4
	;;#ASMEND
	;;#ASMSTART
	v_dot2_f32_f16 v4, v26, v30, v4
	;;#ASMEND
	;;#ASMSTART
	v_dot2_f32_f16 v4, v27, v31, v4
	;;#ASMEND
	s_wait_dscnt 0x1
	;;#ASMSTART
	v_dot2_f32_f16 v37, v24, v32, v37
	;;#ASMEND
	;;#ASMSTART
	v_dot2_f32_f16 v37, v25, v33, v37
	;;#ASMEND
	;;#ASMSTART
	v_dot2_f32_f16 v37, v26, v34, v37
	;;#ASMEND
	;;#ASMSTART
	v_dot2_f32_f16 v37, v27, v35, v37
	;;#ASMEND
	s_wait_dscnt 0x0
	;;#ASMSTART
	v_dot2_f32_f16 v5, v40, v28, v5
	;;#ASMEND
	;;#ASMSTART
	v_dot2_f32_f16 v5, v41, v29, v5
	;;#ASMEND
	;;#ASMSTART
	v_dot2_f32_f16 v5, v42, v30, v5
	;;#ASMEND
	;;#ASMSTART
	v_dot2_f32_f16 v5, v43, v31, v5
	;;#ASMEND
	;;#ASMSTART
	v_dot2_f32_f16 v38, v40, v32, v38
	;;#ASMEND
	;;#ASMSTART
	v_dot2_f32_f16 v38, v41, v33, v38
	;;#ASMEND
	;;#ASMSTART
	v_dot2_f32_f16 v38, v42, v34, v38
	;;#ASMEND
	;;#ASMSTART
	v_dot2_f32_f16 v38, v43, v35, v38
	;;#ASMEND
	ds_load_b128 v[24:27], v87 offset:32
	;; [unrolled: 55-line block ×7, first 2 shown]
	ds_load_b128 v[28:31], v82 offset:368
	ds_load_b128 v[32:35], v82 offset:1520
	;; [unrolled: 1-line block ×3, first 2 shown]
	s_wait_dscnt 0x2
	;;#ASMSTART
	v_dot2_f32_f16 v4, v24, v28, v4
	;;#ASMEND
	;;#ASMSTART
	v_dot2_f32_f16 v4, v25, v29, v4
	;;#ASMEND
	;;#ASMSTART
	v_dot2_f32_f16 v4, v26, v30, v4
	;;#ASMEND
	;;#ASMSTART
	v_dot2_f32_f16 v4, v27, v31, v4
	;;#ASMEND
	s_wait_dscnt 0x1
	;;#ASMSTART
	v_dot2_f32_f16 v37, v24, v32, v37
	;;#ASMEND
	;;#ASMSTART
	v_dot2_f32_f16 v37, v25, v33, v37
	;;#ASMEND
	;;#ASMSTART
	v_dot2_f32_f16 v37, v26, v34, v37
	;;#ASMEND
	;;#ASMSTART
	v_dot2_f32_f16 v37, v27, v35, v37
	;;#ASMEND
	;; [unrolled: 13-line block ×3, first 2 shown]
	;;#ASMSTART
	v_dot2_f32_f16 v38, v40, v32, v38
	;;#ASMEND
	;;#ASMSTART
	v_dot2_f32_f16 v38, v41, v33, v38
	;;#ASMEND
	;; [unrolled: 3-line block ×4, first 2 shown]
	s_barrier_signal -1
	s_barrier_wait -1
	s_clause 0x1
	global_load_b128 v[24:27], v[0:1], off offset:384
	global_load_b128 v[28:31], v[2:3], off offset:384
	s_wait_loadcnt 0x1
	ds_store_b128 v85, v[24:27]
	s_wait_loadcnt 0x0
	ds_store_b128 v86, v[28:31]
	s_wait_dscnt 0x0
	s_barrier_signal -1
	s_barrier_wait -1
	ds_load_b128 v[24:27], v87
	ds_load_b128 v[28:31], v82 offset:384
	ds_load_b128 v[32:35], v82 offset:1536
	ds_load_b128 v[40:43], v87 offset:4608
	s_wait_dscnt 0x2
	;;#ASMSTART
	v_dot2_f32_f16 v4, v24, v28, v4
	;;#ASMEND
	;;#ASMSTART
	v_dot2_f32_f16 v4, v25, v29, v4
	;;#ASMEND
	;;#ASMSTART
	v_dot2_f32_f16 v4, v26, v30, v4
	;;#ASMEND
	;;#ASMSTART
	v_dot2_f32_f16 v4, v27, v31, v4
	;;#ASMEND
	s_wait_dscnt 0x1
	;;#ASMSTART
	v_dot2_f32_f16 v37, v24, v32, v37
	;;#ASMEND
	;;#ASMSTART
	v_dot2_f32_f16 v37, v25, v33, v37
	;;#ASMEND
	;;#ASMSTART
	v_dot2_f32_f16 v37, v26, v34, v37
	;;#ASMEND
	;;#ASMSTART
	v_dot2_f32_f16 v37, v27, v35, v37
	;;#ASMEND
	s_wait_dscnt 0x0
	;;#ASMSTART
	v_dot2_f32_f16 v5, v40, v28, v5
	;;#ASMEND
	;;#ASMSTART
	v_dot2_f32_f16 v5, v41, v29, v5
	;;#ASMEND
	;;#ASMSTART
	v_dot2_f32_f16 v5, v42, v30, v5
	;;#ASMEND
	;;#ASMSTART
	v_dot2_f32_f16 v5, v43, v31, v5
	;;#ASMEND
	;;#ASMSTART
	v_dot2_f32_f16 v38, v40, v32, v38
	;;#ASMEND
	;;#ASMSTART
	v_dot2_f32_f16 v38, v41, v33, v38
	;;#ASMEND
	;;#ASMSTART
	v_dot2_f32_f16 v38, v42, v34, v38
	;;#ASMEND
	;;#ASMSTART
	v_dot2_f32_f16 v38, v43, v35, v38
	;;#ASMEND
	ds_load_b128 v[24:27], v87 offset:16
	ds_load_b128 v[28:31], v82 offset:400
	ds_load_b128 v[32:35], v82 offset:1552
	ds_load_b128 v[40:43], v87 offset:4624
	s_wait_dscnt 0x2
	;;#ASMSTART
	v_dot2_f32_f16 v4, v24, v28, v4
	;;#ASMEND
	;;#ASMSTART
	v_dot2_f32_f16 v4, v25, v29, v4
	;;#ASMEND
	;;#ASMSTART
	v_dot2_f32_f16 v4, v26, v30, v4
	;;#ASMEND
	;;#ASMSTART
	v_dot2_f32_f16 v4, v27, v31, v4
	;;#ASMEND
	s_wait_dscnt 0x1
	;;#ASMSTART
	v_dot2_f32_f16 v37, v24, v32, v37
	;;#ASMEND
	;;#ASMSTART
	v_dot2_f32_f16 v37, v25, v33, v37
	;;#ASMEND
	;;#ASMSTART
	v_dot2_f32_f16 v37, v26, v34, v37
	;;#ASMEND
	;;#ASMSTART
	v_dot2_f32_f16 v37, v27, v35, v37
	;;#ASMEND
	s_wait_dscnt 0x0
	;;#ASMSTART
	v_dot2_f32_f16 v5, v40, v28, v5
	;;#ASMEND
	;;#ASMSTART
	v_dot2_f32_f16 v5, v41, v29, v5
	;;#ASMEND
	;;#ASMSTART
	v_dot2_f32_f16 v5, v42, v30, v5
	;;#ASMEND
	;;#ASMSTART
	v_dot2_f32_f16 v5, v43, v31, v5
	;;#ASMEND
	;;#ASMSTART
	v_dot2_f32_f16 v38, v40, v32, v38
	;;#ASMEND
	;;#ASMSTART
	v_dot2_f32_f16 v38, v41, v33, v38
	;;#ASMEND
	;;#ASMSTART
	v_dot2_f32_f16 v38, v42, v34, v38
	;;#ASMEND
	;;#ASMSTART
	v_dot2_f32_f16 v38, v43, v35, v38
	;;#ASMEND
	ds_load_b128 v[24:27], v87 offset:32
	ds_load_b128 v[28:31], v82 offset:416
	ds_load_b128 v[32:35], v82 offset:1568
	ds_load_b128 v[40:43], v87 offset:4640
	s_wait_dscnt 0x2
	;;#ASMSTART
	v_dot2_f32_f16 v4, v24, v28, v4
	;;#ASMEND
	;;#ASMSTART
	v_dot2_f32_f16 v4, v25, v29, v4
	;;#ASMEND
	;;#ASMSTART
	v_dot2_f32_f16 v4, v26, v30, v4
	;;#ASMEND
	;;#ASMSTART
	v_dot2_f32_f16 v4, v27, v31, v4
	;;#ASMEND
	s_wait_dscnt 0x1
	;;#ASMSTART
	v_dot2_f32_f16 v37, v24, v32, v37
	;;#ASMEND
	;;#ASMSTART
	v_dot2_f32_f16 v37, v25, v33, v37
	;;#ASMEND
	;;#ASMSTART
	v_dot2_f32_f16 v37, v26, v34, v37
	;;#ASMEND
	;;#ASMSTART
	v_dot2_f32_f16 v37, v27, v35, v37
	;;#ASMEND
	s_wait_dscnt 0x0
	;;#ASMSTART
	v_dot2_f32_f16 v5, v40, v28, v5
	;;#ASMEND
	;;#ASMSTART
	v_dot2_f32_f16 v5, v41, v29, v5
	;;#ASMEND
	;;#ASMSTART
	v_dot2_f32_f16 v5, v42, v30, v5
	;;#ASMEND
	;;#ASMSTART
	v_dot2_f32_f16 v5, v43, v31, v5
	;;#ASMEND
	;;#ASMSTART
	v_dot2_f32_f16 v38, v40, v32, v38
	;;#ASMEND
	;;#ASMSTART
	v_dot2_f32_f16 v38, v41, v33, v38
	;;#ASMEND
	;;#ASMSTART
	v_dot2_f32_f16 v38, v42, v34, v38
	;;#ASMEND
	;;#ASMSTART
	v_dot2_f32_f16 v38, v43, v35, v38
	;;#ASMEND
	ds_load_b128 v[24:27], v87 offset:48
	ds_load_b128 v[28:31], v82 offset:432
	ds_load_b128 v[32:35], v82 offset:1584
	ds_load_b128 v[40:43], v87 offset:4656
	s_wait_dscnt 0x2
	;;#ASMSTART
	v_dot2_f32_f16 v4, v24, v28, v4
	;;#ASMEND
	;;#ASMSTART
	v_dot2_f32_f16 v4, v25, v29, v4
	;;#ASMEND
	;;#ASMSTART
	v_dot2_f32_f16 v4, v26, v30, v4
	;;#ASMEND
	;;#ASMSTART
	v_dot2_f32_f16 v4, v27, v31, v4
	;;#ASMEND
	s_wait_dscnt 0x1
	;;#ASMSTART
	v_dot2_f32_f16 v37, v24, v32, v37
	;;#ASMEND
	;;#ASMSTART
	v_dot2_f32_f16 v37, v25, v33, v37
	;;#ASMEND
	;;#ASMSTART
	v_dot2_f32_f16 v37, v26, v34, v37
	;;#ASMEND
	;;#ASMSTART
	v_dot2_f32_f16 v37, v27, v35, v37
	;;#ASMEND
	s_wait_dscnt 0x0
	;;#ASMSTART
	v_dot2_f32_f16 v5, v40, v28, v5
	;;#ASMEND
	;;#ASMSTART
	v_dot2_f32_f16 v5, v41, v29, v5
	;;#ASMEND
	;;#ASMSTART
	v_dot2_f32_f16 v5, v42, v30, v5
	;;#ASMEND
	;;#ASMSTART
	v_dot2_f32_f16 v5, v43, v31, v5
	;;#ASMEND
	;;#ASMSTART
	v_dot2_f32_f16 v38, v40, v32, v38
	;;#ASMEND
	;;#ASMSTART
	v_dot2_f32_f16 v38, v41, v33, v38
	;;#ASMEND
	;;#ASMSTART
	v_dot2_f32_f16 v38, v42, v34, v38
	;;#ASMEND
	;;#ASMSTART
	v_dot2_f32_f16 v38, v43, v35, v38
	;;#ASMEND
	ds_load_b128 v[24:27], v87 offset:64
	ds_load_b128 v[28:31], v82 offset:448
	ds_load_b128 v[32:35], v82 offset:1600
	ds_load_b128 v[40:43], v87 offset:4672
	s_wait_dscnt 0x2
	;;#ASMSTART
	v_dot2_f32_f16 v4, v24, v28, v4
	;;#ASMEND
	;;#ASMSTART
	v_dot2_f32_f16 v4, v25, v29, v4
	;;#ASMEND
	;;#ASMSTART
	v_dot2_f32_f16 v4, v26, v30, v4
	;;#ASMEND
	;;#ASMSTART
	v_dot2_f32_f16 v4, v27, v31, v4
	;;#ASMEND
	s_wait_dscnt 0x1
	;;#ASMSTART
	v_dot2_f32_f16 v37, v24, v32, v37
	;;#ASMEND
	;;#ASMSTART
	v_dot2_f32_f16 v37, v25, v33, v37
	;;#ASMEND
	;;#ASMSTART
	v_dot2_f32_f16 v37, v26, v34, v37
	;;#ASMEND
	;;#ASMSTART
	v_dot2_f32_f16 v37, v27, v35, v37
	;;#ASMEND
	s_wait_dscnt 0x0
	;;#ASMSTART
	v_dot2_f32_f16 v5, v40, v28, v5
	;;#ASMEND
	;;#ASMSTART
	v_dot2_f32_f16 v5, v41, v29, v5
	;;#ASMEND
	;;#ASMSTART
	v_dot2_f32_f16 v5, v42, v30, v5
	;;#ASMEND
	;;#ASMSTART
	v_dot2_f32_f16 v5, v43, v31, v5
	;;#ASMEND
	;;#ASMSTART
	v_dot2_f32_f16 v38, v40, v32, v38
	;;#ASMEND
	;;#ASMSTART
	v_dot2_f32_f16 v38, v41, v33, v38
	;;#ASMEND
	;;#ASMSTART
	v_dot2_f32_f16 v38, v42, v34, v38
	;;#ASMEND
	;;#ASMSTART
	v_dot2_f32_f16 v38, v43, v35, v38
	;;#ASMEND
	ds_load_b128 v[24:27], v87 offset:80
	ds_load_b128 v[28:31], v82 offset:464
	ds_load_b128 v[32:35], v82 offset:1616
	ds_load_b128 v[40:43], v87 offset:4688
	s_wait_dscnt 0x2
	;;#ASMSTART
	v_dot2_f32_f16 v4, v24, v28, v4
	;;#ASMEND
	;;#ASMSTART
	v_dot2_f32_f16 v4, v25, v29, v4
	;;#ASMEND
	;;#ASMSTART
	v_dot2_f32_f16 v4, v26, v30, v4
	;;#ASMEND
	;;#ASMSTART
	v_dot2_f32_f16 v4, v27, v31, v4
	;;#ASMEND
	s_wait_dscnt 0x1
	;;#ASMSTART
	v_dot2_f32_f16 v37, v24, v32, v37
	;;#ASMEND
	;;#ASMSTART
	v_dot2_f32_f16 v37, v25, v33, v37
	;;#ASMEND
	;;#ASMSTART
	v_dot2_f32_f16 v37, v26, v34, v37
	;;#ASMEND
	;;#ASMSTART
	v_dot2_f32_f16 v37, v27, v35, v37
	;;#ASMEND
	s_wait_dscnt 0x0
	;;#ASMSTART
	v_dot2_f32_f16 v5, v40, v28, v5
	;;#ASMEND
	;;#ASMSTART
	v_dot2_f32_f16 v5, v41, v29, v5
	;;#ASMEND
	;;#ASMSTART
	v_dot2_f32_f16 v5, v42, v30, v5
	;;#ASMEND
	;;#ASMSTART
	v_dot2_f32_f16 v5, v43, v31, v5
	;;#ASMEND
	;;#ASMSTART
	v_dot2_f32_f16 v38, v40, v32, v38
	;;#ASMEND
	;;#ASMSTART
	v_dot2_f32_f16 v38, v41, v33, v38
	;;#ASMEND
	;;#ASMSTART
	v_dot2_f32_f16 v38, v42, v34, v38
	;;#ASMEND
	;;#ASMSTART
	v_dot2_f32_f16 v38, v43, v35, v38
	;;#ASMEND
	ds_load_b128 v[24:27], v87 offset:96
	ds_load_b128 v[28:31], v82 offset:480
	ds_load_b128 v[32:35], v82 offset:1632
	ds_load_b128 v[40:43], v87 offset:4704
	s_wait_dscnt 0x2
	;;#ASMSTART
	v_dot2_f32_f16 v4, v24, v28, v4
	;;#ASMEND
	;;#ASMSTART
	v_dot2_f32_f16 v4, v25, v29, v4
	;;#ASMEND
	;;#ASMSTART
	v_dot2_f32_f16 v4, v26, v30, v4
	;;#ASMEND
	;;#ASMSTART
	v_dot2_f32_f16 v4, v27, v31, v4
	;;#ASMEND
	s_wait_dscnt 0x1
	;;#ASMSTART
	v_dot2_f32_f16 v37, v24, v32, v37
	;;#ASMEND
	;;#ASMSTART
	v_dot2_f32_f16 v37, v25, v33, v37
	;;#ASMEND
	;;#ASMSTART
	v_dot2_f32_f16 v37, v26, v34, v37
	;;#ASMEND
	;;#ASMSTART
	v_dot2_f32_f16 v37, v27, v35, v37
	;;#ASMEND
	s_wait_dscnt 0x0
	;;#ASMSTART
	v_dot2_f32_f16 v5, v40, v28, v5
	;;#ASMEND
	;;#ASMSTART
	v_dot2_f32_f16 v5, v41, v29, v5
	;;#ASMEND
	;;#ASMSTART
	v_dot2_f32_f16 v5, v42, v30, v5
	;;#ASMEND
	;;#ASMSTART
	v_dot2_f32_f16 v5, v43, v31, v5
	;;#ASMEND
	;;#ASMSTART
	v_dot2_f32_f16 v38, v40, v32, v38
	;;#ASMEND
	;;#ASMSTART
	v_dot2_f32_f16 v38, v41, v33, v38
	;;#ASMEND
	;;#ASMSTART
	v_dot2_f32_f16 v38, v42, v34, v38
	;;#ASMEND
	;;#ASMSTART
	v_dot2_f32_f16 v38, v43, v35, v38
	;;#ASMEND
	ds_load_b128 v[24:27], v87 offset:112
	ds_load_b128 v[28:31], v82 offset:496
	ds_load_b128 v[32:35], v82 offset:1648
	;; [unrolled: 1-line block ×3, first 2 shown]
	s_wait_dscnt 0x2
	;;#ASMSTART
	v_dot2_f32_f16 v4, v24, v28, v4
	;;#ASMEND
	;;#ASMSTART
	v_dot2_f32_f16 v4, v25, v29, v4
	;;#ASMEND
	;;#ASMSTART
	v_dot2_f32_f16 v4, v26, v30, v4
	;;#ASMEND
	;;#ASMSTART
	v_dot2_f32_f16 v4, v27, v31, v4
	;;#ASMEND
	s_wait_dscnt 0x1
	;;#ASMSTART
	v_dot2_f32_f16 v37, v24, v32, v37
	;;#ASMEND
	;;#ASMSTART
	v_dot2_f32_f16 v37, v25, v33, v37
	;;#ASMEND
	;;#ASMSTART
	v_dot2_f32_f16 v37, v26, v34, v37
	;;#ASMEND
	;;#ASMSTART
	v_dot2_f32_f16 v37, v27, v35, v37
	;;#ASMEND
	;; [unrolled: 13-line block ×3, first 2 shown]
	;;#ASMSTART
	v_dot2_f32_f16 v38, v40, v32, v38
	;;#ASMEND
	;;#ASMSTART
	v_dot2_f32_f16 v38, v41, v33, v38
	;;#ASMEND
	;; [unrolled: 3-line block ×4, first 2 shown]
	s_barrier_signal -1
	s_barrier_wait -1
	s_clause 0x1
	global_load_b128 v[24:27], v[0:1], off offset:512
	global_load_b128 v[28:31], v[2:3], off offset:512
	s_wait_loadcnt 0x1
	ds_store_b128 v85, v[24:27]
	s_wait_loadcnt 0x0
	ds_store_b128 v86, v[28:31]
	s_wait_dscnt 0x0
	s_barrier_signal -1
	s_barrier_wait -1
	ds_load_b128 v[24:27], v87
	ds_load_b128 v[28:31], v82 offset:512
	ds_load_b128 v[32:35], v82 offset:1664
	ds_load_b128 v[40:43], v87 offset:4608
	s_wait_dscnt 0x2
	;;#ASMSTART
	v_dot2_f32_f16 v4, v24, v28, v4
	;;#ASMEND
	;;#ASMSTART
	v_dot2_f32_f16 v4, v25, v29, v4
	;;#ASMEND
	;;#ASMSTART
	v_dot2_f32_f16 v4, v26, v30, v4
	;;#ASMEND
	;;#ASMSTART
	v_dot2_f32_f16 v4, v27, v31, v4
	;;#ASMEND
	s_wait_dscnt 0x1
	;;#ASMSTART
	v_dot2_f32_f16 v37, v24, v32, v37
	;;#ASMEND
	;;#ASMSTART
	v_dot2_f32_f16 v37, v25, v33, v37
	;;#ASMEND
	;;#ASMSTART
	v_dot2_f32_f16 v37, v26, v34, v37
	;;#ASMEND
	;;#ASMSTART
	v_dot2_f32_f16 v37, v27, v35, v37
	;;#ASMEND
	s_wait_dscnt 0x0
	;;#ASMSTART
	v_dot2_f32_f16 v5, v40, v28, v5
	;;#ASMEND
	;;#ASMSTART
	v_dot2_f32_f16 v5, v41, v29, v5
	;;#ASMEND
	;;#ASMSTART
	v_dot2_f32_f16 v5, v42, v30, v5
	;;#ASMEND
	;;#ASMSTART
	v_dot2_f32_f16 v5, v43, v31, v5
	;;#ASMEND
	;;#ASMSTART
	v_dot2_f32_f16 v38, v40, v32, v38
	;;#ASMEND
	;;#ASMSTART
	v_dot2_f32_f16 v38, v41, v33, v38
	;;#ASMEND
	;;#ASMSTART
	v_dot2_f32_f16 v38, v42, v34, v38
	;;#ASMEND
	;;#ASMSTART
	v_dot2_f32_f16 v38, v43, v35, v38
	;;#ASMEND
	ds_load_b128 v[24:27], v87 offset:16
	ds_load_b128 v[28:31], v82 offset:528
	ds_load_b128 v[32:35], v82 offset:1680
	ds_load_b128 v[40:43], v87 offset:4624
	s_wait_dscnt 0x2
	;;#ASMSTART
	v_dot2_f32_f16 v4, v24, v28, v4
	;;#ASMEND
	;;#ASMSTART
	v_dot2_f32_f16 v4, v25, v29, v4
	;;#ASMEND
	;;#ASMSTART
	v_dot2_f32_f16 v4, v26, v30, v4
	;;#ASMEND
	;;#ASMSTART
	v_dot2_f32_f16 v4, v27, v31, v4
	;;#ASMEND
	s_wait_dscnt 0x1
	;;#ASMSTART
	v_dot2_f32_f16 v37, v24, v32, v37
	;;#ASMEND
	;;#ASMSTART
	v_dot2_f32_f16 v37, v25, v33, v37
	;;#ASMEND
	;;#ASMSTART
	v_dot2_f32_f16 v37, v26, v34, v37
	;;#ASMEND
	;;#ASMSTART
	v_dot2_f32_f16 v37, v27, v35, v37
	;;#ASMEND
	s_wait_dscnt 0x0
	;;#ASMSTART
	v_dot2_f32_f16 v5, v40, v28, v5
	;;#ASMEND
	;;#ASMSTART
	v_dot2_f32_f16 v5, v41, v29, v5
	;;#ASMEND
	;;#ASMSTART
	v_dot2_f32_f16 v5, v42, v30, v5
	;;#ASMEND
	;;#ASMSTART
	v_dot2_f32_f16 v5, v43, v31, v5
	;;#ASMEND
	;;#ASMSTART
	v_dot2_f32_f16 v38, v40, v32, v38
	;;#ASMEND
	;;#ASMSTART
	v_dot2_f32_f16 v38, v41, v33, v38
	;;#ASMEND
	;;#ASMSTART
	v_dot2_f32_f16 v38, v42, v34, v38
	;;#ASMEND
	;;#ASMSTART
	v_dot2_f32_f16 v38, v43, v35, v38
	;;#ASMEND
	ds_load_b128 v[24:27], v87 offset:32
	;; [unrolled: 55-line block ×7, first 2 shown]
	ds_load_b128 v[28:31], v82 offset:624
	ds_load_b128 v[32:35], v82 offset:1776
	;; [unrolled: 1-line block ×3, first 2 shown]
	s_wait_dscnt 0x2
	;;#ASMSTART
	v_dot2_f32_f16 v4, v24, v28, v4
	;;#ASMEND
	;;#ASMSTART
	v_dot2_f32_f16 v4, v25, v29, v4
	;;#ASMEND
	;;#ASMSTART
	v_dot2_f32_f16 v4, v26, v30, v4
	;;#ASMEND
	;;#ASMSTART
	v_dot2_f32_f16 v4, v27, v31, v4
	;;#ASMEND
	s_wait_dscnt 0x1
	;;#ASMSTART
	v_dot2_f32_f16 v37, v24, v32, v37
	;;#ASMEND
	;;#ASMSTART
	v_dot2_f32_f16 v37, v25, v33, v37
	;;#ASMEND
	;;#ASMSTART
	v_dot2_f32_f16 v37, v26, v34, v37
	;;#ASMEND
	;;#ASMSTART
	v_dot2_f32_f16 v37, v27, v35, v37
	;;#ASMEND
	;; [unrolled: 13-line block ×3, first 2 shown]
	;;#ASMSTART
	v_dot2_f32_f16 v38, v40, v32, v38
	;;#ASMEND
	;;#ASMSTART
	v_dot2_f32_f16 v38, v41, v33, v38
	;;#ASMEND
	;;#ASMSTART
	v_dot2_f32_f16 v38, v42, v34, v38
	;;#ASMEND
	;;#ASMSTART
	v_dot2_f32_f16 v38, v43, v35, v38
	;;#ASMEND
	s_barrier_signal -1
	s_barrier_wait -1
	s_clause 0x1
	global_load_b128 v[24:27], v[0:1], off offset:640
	global_load_b128 v[28:31], v[2:3], off offset:640
	s_wait_loadcnt 0x1
	ds_store_b128 v85, v[24:27]
	s_wait_loadcnt 0x0
	ds_store_b128 v86, v[28:31]
	s_wait_dscnt 0x0
	s_barrier_signal -1
	s_barrier_wait -1
	ds_load_b128 v[24:27], v87
	ds_load_b128 v[28:31], v82 offset:640
	ds_load_b128 v[32:35], v82 offset:1792
	ds_load_b128 v[40:43], v87 offset:4608
	s_wait_dscnt 0x2
	;;#ASMSTART
	v_dot2_f32_f16 v4, v24, v28, v4
	;;#ASMEND
	;;#ASMSTART
	v_dot2_f32_f16 v4, v25, v29, v4
	;;#ASMEND
	;;#ASMSTART
	v_dot2_f32_f16 v4, v26, v30, v4
	;;#ASMEND
	;;#ASMSTART
	v_dot2_f32_f16 v4, v27, v31, v4
	;;#ASMEND
	s_wait_dscnt 0x1
	;;#ASMSTART
	v_dot2_f32_f16 v37, v24, v32, v37
	;;#ASMEND
	;;#ASMSTART
	v_dot2_f32_f16 v37, v25, v33, v37
	;;#ASMEND
	;;#ASMSTART
	v_dot2_f32_f16 v37, v26, v34, v37
	;;#ASMEND
	;;#ASMSTART
	v_dot2_f32_f16 v37, v27, v35, v37
	;;#ASMEND
	s_wait_dscnt 0x0
	;;#ASMSTART
	v_dot2_f32_f16 v5, v40, v28, v5
	;;#ASMEND
	;;#ASMSTART
	v_dot2_f32_f16 v5, v41, v29, v5
	;;#ASMEND
	;;#ASMSTART
	v_dot2_f32_f16 v5, v42, v30, v5
	;;#ASMEND
	;;#ASMSTART
	v_dot2_f32_f16 v5, v43, v31, v5
	;;#ASMEND
	;;#ASMSTART
	v_dot2_f32_f16 v38, v40, v32, v38
	;;#ASMEND
	;;#ASMSTART
	v_dot2_f32_f16 v38, v41, v33, v38
	;;#ASMEND
	;;#ASMSTART
	v_dot2_f32_f16 v38, v42, v34, v38
	;;#ASMEND
	;;#ASMSTART
	v_dot2_f32_f16 v38, v43, v35, v38
	;;#ASMEND
	ds_load_b128 v[24:27], v87 offset:16
	ds_load_b128 v[28:31], v82 offset:656
	ds_load_b128 v[32:35], v82 offset:1808
	ds_load_b128 v[40:43], v87 offset:4624
	s_wait_dscnt 0x2
	;;#ASMSTART
	v_dot2_f32_f16 v4, v24, v28, v4
	;;#ASMEND
	;;#ASMSTART
	v_dot2_f32_f16 v4, v25, v29, v4
	;;#ASMEND
	;;#ASMSTART
	v_dot2_f32_f16 v4, v26, v30, v4
	;;#ASMEND
	;;#ASMSTART
	v_dot2_f32_f16 v4, v27, v31, v4
	;;#ASMEND
	s_wait_dscnt 0x1
	;;#ASMSTART
	v_dot2_f32_f16 v37, v24, v32, v37
	;;#ASMEND
	;;#ASMSTART
	v_dot2_f32_f16 v37, v25, v33, v37
	;;#ASMEND
	;;#ASMSTART
	v_dot2_f32_f16 v37, v26, v34, v37
	;;#ASMEND
	;;#ASMSTART
	v_dot2_f32_f16 v37, v27, v35, v37
	;;#ASMEND
	s_wait_dscnt 0x0
	;;#ASMSTART
	v_dot2_f32_f16 v5, v40, v28, v5
	;;#ASMEND
	;;#ASMSTART
	v_dot2_f32_f16 v5, v41, v29, v5
	;;#ASMEND
	;;#ASMSTART
	v_dot2_f32_f16 v5, v42, v30, v5
	;;#ASMEND
	;;#ASMSTART
	v_dot2_f32_f16 v5, v43, v31, v5
	;;#ASMEND
	;;#ASMSTART
	v_dot2_f32_f16 v38, v40, v32, v38
	;;#ASMEND
	;;#ASMSTART
	v_dot2_f32_f16 v38, v41, v33, v38
	;;#ASMEND
	;;#ASMSTART
	v_dot2_f32_f16 v38, v42, v34, v38
	;;#ASMEND
	;;#ASMSTART
	v_dot2_f32_f16 v38, v43, v35, v38
	;;#ASMEND
	ds_load_b128 v[24:27], v87 offset:32
	ds_load_b128 v[28:31], v82 offset:672
	ds_load_b128 v[32:35], v82 offset:1824
	ds_load_b128 v[40:43], v87 offset:4640
	s_wait_dscnt 0x2
	;;#ASMSTART
	v_dot2_f32_f16 v4, v24, v28, v4
	;;#ASMEND
	;;#ASMSTART
	v_dot2_f32_f16 v4, v25, v29, v4
	;;#ASMEND
	;;#ASMSTART
	v_dot2_f32_f16 v4, v26, v30, v4
	;;#ASMEND
	;;#ASMSTART
	v_dot2_f32_f16 v4, v27, v31, v4
	;;#ASMEND
	s_wait_dscnt 0x1
	;;#ASMSTART
	v_dot2_f32_f16 v37, v24, v32, v37
	;;#ASMEND
	;;#ASMSTART
	v_dot2_f32_f16 v37, v25, v33, v37
	;;#ASMEND
	;;#ASMSTART
	v_dot2_f32_f16 v37, v26, v34, v37
	;;#ASMEND
	;;#ASMSTART
	v_dot2_f32_f16 v37, v27, v35, v37
	;;#ASMEND
	s_wait_dscnt 0x0
	;;#ASMSTART
	v_dot2_f32_f16 v5, v40, v28, v5
	;;#ASMEND
	;;#ASMSTART
	v_dot2_f32_f16 v5, v41, v29, v5
	;;#ASMEND
	;;#ASMSTART
	v_dot2_f32_f16 v5, v42, v30, v5
	;;#ASMEND
	;;#ASMSTART
	v_dot2_f32_f16 v5, v43, v31, v5
	;;#ASMEND
	;;#ASMSTART
	v_dot2_f32_f16 v38, v40, v32, v38
	;;#ASMEND
	;;#ASMSTART
	v_dot2_f32_f16 v38, v41, v33, v38
	;;#ASMEND
	;;#ASMSTART
	v_dot2_f32_f16 v38, v42, v34, v38
	;;#ASMEND
	;;#ASMSTART
	v_dot2_f32_f16 v38, v43, v35, v38
	;;#ASMEND
	ds_load_b128 v[24:27], v87 offset:48
	ds_load_b128 v[28:31], v82 offset:688
	ds_load_b128 v[32:35], v82 offset:1840
	ds_load_b128 v[40:43], v87 offset:4656
	s_wait_dscnt 0x2
	;;#ASMSTART
	v_dot2_f32_f16 v4, v24, v28, v4
	;;#ASMEND
	;;#ASMSTART
	v_dot2_f32_f16 v4, v25, v29, v4
	;;#ASMEND
	;;#ASMSTART
	v_dot2_f32_f16 v4, v26, v30, v4
	;;#ASMEND
	;;#ASMSTART
	v_dot2_f32_f16 v4, v27, v31, v4
	;;#ASMEND
	s_wait_dscnt 0x1
	;;#ASMSTART
	v_dot2_f32_f16 v37, v24, v32, v37
	;;#ASMEND
	;;#ASMSTART
	v_dot2_f32_f16 v37, v25, v33, v37
	;;#ASMEND
	;;#ASMSTART
	v_dot2_f32_f16 v37, v26, v34, v37
	;;#ASMEND
	;;#ASMSTART
	v_dot2_f32_f16 v37, v27, v35, v37
	;;#ASMEND
	s_wait_dscnt 0x0
	;;#ASMSTART
	v_dot2_f32_f16 v5, v40, v28, v5
	;;#ASMEND
	;;#ASMSTART
	v_dot2_f32_f16 v5, v41, v29, v5
	;;#ASMEND
	;;#ASMSTART
	v_dot2_f32_f16 v5, v42, v30, v5
	;;#ASMEND
	;;#ASMSTART
	v_dot2_f32_f16 v5, v43, v31, v5
	;;#ASMEND
	;;#ASMSTART
	v_dot2_f32_f16 v38, v40, v32, v38
	;;#ASMEND
	;;#ASMSTART
	v_dot2_f32_f16 v38, v41, v33, v38
	;;#ASMEND
	;;#ASMSTART
	v_dot2_f32_f16 v38, v42, v34, v38
	;;#ASMEND
	;;#ASMSTART
	v_dot2_f32_f16 v38, v43, v35, v38
	;;#ASMEND
	ds_load_b128 v[24:27], v87 offset:64
	ds_load_b128 v[28:31], v82 offset:704
	ds_load_b128 v[32:35], v82 offset:1856
	ds_load_b128 v[40:43], v87 offset:4672
	s_wait_dscnt 0x2
	;;#ASMSTART
	v_dot2_f32_f16 v4, v24, v28, v4
	;;#ASMEND
	;;#ASMSTART
	v_dot2_f32_f16 v4, v25, v29, v4
	;;#ASMEND
	;;#ASMSTART
	v_dot2_f32_f16 v4, v26, v30, v4
	;;#ASMEND
	;;#ASMSTART
	v_dot2_f32_f16 v4, v27, v31, v4
	;;#ASMEND
	s_wait_dscnt 0x1
	;;#ASMSTART
	v_dot2_f32_f16 v37, v24, v32, v37
	;;#ASMEND
	;;#ASMSTART
	v_dot2_f32_f16 v37, v25, v33, v37
	;;#ASMEND
	;;#ASMSTART
	v_dot2_f32_f16 v37, v26, v34, v37
	;;#ASMEND
	;;#ASMSTART
	v_dot2_f32_f16 v37, v27, v35, v37
	;;#ASMEND
	s_wait_dscnt 0x0
	;;#ASMSTART
	v_dot2_f32_f16 v5, v40, v28, v5
	;;#ASMEND
	;;#ASMSTART
	v_dot2_f32_f16 v5, v41, v29, v5
	;;#ASMEND
	;;#ASMSTART
	v_dot2_f32_f16 v5, v42, v30, v5
	;;#ASMEND
	;;#ASMSTART
	v_dot2_f32_f16 v5, v43, v31, v5
	;;#ASMEND
	;;#ASMSTART
	v_dot2_f32_f16 v38, v40, v32, v38
	;;#ASMEND
	;;#ASMSTART
	v_dot2_f32_f16 v38, v41, v33, v38
	;;#ASMEND
	;;#ASMSTART
	v_dot2_f32_f16 v38, v42, v34, v38
	;;#ASMEND
	;;#ASMSTART
	v_dot2_f32_f16 v38, v43, v35, v38
	;;#ASMEND
	ds_load_b128 v[24:27], v87 offset:80
	ds_load_b128 v[28:31], v82 offset:720
	ds_load_b128 v[32:35], v82 offset:1872
	ds_load_b128 v[40:43], v87 offset:4688
	s_wait_dscnt 0x2
	;;#ASMSTART
	v_dot2_f32_f16 v4, v24, v28, v4
	;;#ASMEND
	;;#ASMSTART
	v_dot2_f32_f16 v4, v25, v29, v4
	;;#ASMEND
	;;#ASMSTART
	v_dot2_f32_f16 v4, v26, v30, v4
	;;#ASMEND
	;;#ASMSTART
	v_dot2_f32_f16 v4, v27, v31, v4
	;;#ASMEND
	s_wait_dscnt 0x1
	;;#ASMSTART
	v_dot2_f32_f16 v37, v24, v32, v37
	;;#ASMEND
	;;#ASMSTART
	v_dot2_f32_f16 v37, v25, v33, v37
	;;#ASMEND
	;;#ASMSTART
	v_dot2_f32_f16 v37, v26, v34, v37
	;;#ASMEND
	;;#ASMSTART
	v_dot2_f32_f16 v37, v27, v35, v37
	;;#ASMEND
	s_wait_dscnt 0x0
	;;#ASMSTART
	v_dot2_f32_f16 v5, v40, v28, v5
	;;#ASMEND
	;;#ASMSTART
	v_dot2_f32_f16 v5, v41, v29, v5
	;;#ASMEND
	;;#ASMSTART
	v_dot2_f32_f16 v5, v42, v30, v5
	;;#ASMEND
	;;#ASMSTART
	v_dot2_f32_f16 v5, v43, v31, v5
	;;#ASMEND
	;;#ASMSTART
	v_dot2_f32_f16 v38, v40, v32, v38
	;;#ASMEND
	;;#ASMSTART
	v_dot2_f32_f16 v38, v41, v33, v38
	;;#ASMEND
	;;#ASMSTART
	v_dot2_f32_f16 v38, v42, v34, v38
	;;#ASMEND
	;;#ASMSTART
	v_dot2_f32_f16 v38, v43, v35, v38
	;;#ASMEND
	ds_load_b128 v[24:27], v87 offset:96
	ds_load_b128 v[28:31], v82 offset:736
	ds_load_b128 v[32:35], v82 offset:1888
	ds_load_b128 v[40:43], v87 offset:4704
	s_wait_dscnt 0x2
	;;#ASMSTART
	v_dot2_f32_f16 v4, v24, v28, v4
	;;#ASMEND
	;;#ASMSTART
	v_dot2_f32_f16 v4, v25, v29, v4
	;;#ASMEND
	;;#ASMSTART
	v_dot2_f32_f16 v4, v26, v30, v4
	;;#ASMEND
	;;#ASMSTART
	v_dot2_f32_f16 v4, v27, v31, v4
	;;#ASMEND
	s_wait_dscnt 0x1
	;;#ASMSTART
	v_dot2_f32_f16 v37, v24, v32, v37
	;;#ASMEND
	;;#ASMSTART
	v_dot2_f32_f16 v37, v25, v33, v37
	;;#ASMEND
	;;#ASMSTART
	v_dot2_f32_f16 v37, v26, v34, v37
	;;#ASMEND
	;;#ASMSTART
	v_dot2_f32_f16 v37, v27, v35, v37
	;;#ASMEND
	s_wait_dscnt 0x0
	;;#ASMSTART
	v_dot2_f32_f16 v5, v40, v28, v5
	;;#ASMEND
	;;#ASMSTART
	v_dot2_f32_f16 v5, v41, v29, v5
	;;#ASMEND
	;;#ASMSTART
	v_dot2_f32_f16 v5, v42, v30, v5
	;;#ASMEND
	;;#ASMSTART
	v_dot2_f32_f16 v5, v43, v31, v5
	;;#ASMEND
	;;#ASMSTART
	v_dot2_f32_f16 v38, v40, v32, v38
	;;#ASMEND
	;;#ASMSTART
	v_dot2_f32_f16 v38, v41, v33, v38
	;;#ASMEND
	;;#ASMSTART
	v_dot2_f32_f16 v38, v42, v34, v38
	;;#ASMEND
	;;#ASMSTART
	v_dot2_f32_f16 v38, v43, v35, v38
	;;#ASMEND
	ds_load_b128 v[24:27], v87 offset:112
	ds_load_b128 v[28:31], v82 offset:752
	ds_load_b128 v[32:35], v82 offset:1904
	ds_load_b128 v[40:43], v87 offset:4720
	s_wait_dscnt 0x2
	;;#ASMSTART
	v_dot2_f32_f16 v4, v24, v28, v4
	;;#ASMEND
	;;#ASMSTART
	v_dot2_f32_f16 v4, v25, v29, v4
	;;#ASMEND
	;;#ASMSTART
	v_dot2_f32_f16 v4, v26, v30, v4
	;;#ASMEND
	;;#ASMSTART
	v_dot2_f32_f16 v4, v27, v31, v4
	;;#ASMEND
	s_wait_dscnt 0x1
	;;#ASMSTART
	v_dot2_f32_f16 v37, v24, v32, v37
	;;#ASMEND
	;;#ASMSTART
	v_dot2_f32_f16 v37, v25, v33, v37
	;;#ASMEND
	;;#ASMSTART
	v_dot2_f32_f16 v37, v26, v34, v37
	;;#ASMEND
	;;#ASMSTART
	v_dot2_f32_f16 v37, v27, v35, v37
	;;#ASMEND
	;; [unrolled: 13-line block ×3, first 2 shown]
	;;#ASMSTART
	v_dot2_f32_f16 v38, v40, v32, v38
	;;#ASMEND
	;;#ASMSTART
	v_dot2_f32_f16 v38, v41, v33, v38
	;;#ASMEND
	;; [unrolled: 3-line block ×4, first 2 shown]
	s_barrier_signal -1
	s_barrier_wait -1
	s_clause 0x1
	global_load_b128 v[24:27], v[0:1], off offset:768
	global_load_b128 v[28:31], v[2:3], off offset:768
	s_wait_loadcnt 0x1
	ds_store_b128 v85, v[24:27]
	s_wait_loadcnt 0x0
	ds_store_b128 v86, v[28:31]
	s_wait_dscnt 0x0
	s_barrier_signal -1
	s_barrier_wait -1
	ds_load_b128 v[24:27], v87
	ds_load_b128 v[28:31], v82 offset:768
	ds_load_b128 v[32:35], v82 offset:1920
	ds_load_b128 v[40:43], v87 offset:4608
	s_wait_dscnt 0x2
	;;#ASMSTART
	v_dot2_f32_f16 v4, v24, v28, v4
	;;#ASMEND
	;;#ASMSTART
	v_dot2_f32_f16 v4, v25, v29, v4
	;;#ASMEND
	;;#ASMSTART
	v_dot2_f32_f16 v4, v26, v30, v4
	;;#ASMEND
	;;#ASMSTART
	v_dot2_f32_f16 v4, v27, v31, v4
	;;#ASMEND
	s_wait_dscnt 0x1
	;;#ASMSTART
	v_dot2_f32_f16 v37, v24, v32, v37
	;;#ASMEND
	;;#ASMSTART
	v_dot2_f32_f16 v37, v25, v33, v37
	;;#ASMEND
	;;#ASMSTART
	v_dot2_f32_f16 v37, v26, v34, v37
	;;#ASMEND
	;;#ASMSTART
	v_dot2_f32_f16 v37, v27, v35, v37
	;;#ASMEND
	s_wait_dscnt 0x0
	;;#ASMSTART
	v_dot2_f32_f16 v5, v40, v28, v5
	;;#ASMEND
	;;#ASMSTART
	v_dot2_f32_f16 v5, v41, v29, v5
	;;#ASMEND
	;;#ASMSTART
	v_dot2_f32_f16 v5, v42, v30, v5
	;;#ASMEND
	;;#ASMSTART
	v_dot2_f32_f16 v5, v43, v31, v5
	;;#ASMEND
	;;#ASMSTART
	v_dot2_f32_f16 v38, v40, v32, v38
	;;#ASMEND
	;;#ASMSTART
	v_dot2_f32_f16 v38, v41, v33, v38
	;;#ASMEND
	;;#ASMSTART
	v_dot2_f32_f16 v38, v42, v34, v38
	;;#ASMEND
	;;#ASMSTART
	v_dot2_f32_f16 v38, v43, v35, v38
	;;#ASMEND
	ds_load_b128 v[24:27], v87 offset:16
	ds_load_b128 v[28:31], v82 offset:784
	ds_load_b128 v[32:35], v82 offset:1936
	ds_load_b128 v[40:43], v87 offset:4624
	s_wait_dscnt 0x2
	;;#ASMSTART
	v_dot2_f32_f16 v4, v24, v28, v4
	;;#ASMEND
	;;#ASMSTART
	v_dot2_f32_f16 v4, v25, v29, v4
	;;#ASMEND
	;;#ASMSTART
	v_dot2_f32_f16 v4, v26, v30, v4
	;;#ASMEND
	;;#ASMSTART
	v_dot2_f32_f16 v4, v27, v31, v4
	;;#ASMEND
	s_wait_dscnt 0x1
	;;#ASMSTART
	v_dot2_f32_f16 v37, v24, v32, v37
	;;#ASMEND
	;;#ASMSTART
	v_dot2_f32_f16 v37, v25, v33, v37
	;;#ASMEND
	;;#ASMSTART
	v_dot2_f32_f16 v37, v26, v34, v37
	;;#ASMEND
	;;#ASMSTART
	v_dot2_f32_f16 v37, v27, v35, v37
	;;#ASMEND
	s_wait_dscnt 0x0
	;;#ASMSTART
	v_dot2_f32_f16 v5, v40, v28, v5
	;;#ASMEND
	;;#ASMSTART
	v_dot2_f32_f16 v5, v41, v29, v5
	;;#ASMEND
	;;#ASMSTART
	v_dot2_f32_f16 v5, v42, v30, v5
	;;#ASMEND
	;;#ASMSTART
	v_dot2_f32_f16 v5, v43, v31, v5
	;;#ASMEND
	;;#ASMSTART
	v_dot2_f32_f16 v38, v40, v32, v38
	;;#ASMEND
	;;#ASMSTART
	v_dot2_f32_f16 v38, v41, v33, v38
	;;#ASMEND
	;;#ASMSTART
	v_dot2_f32_f16 v38, v42, v34, v38
	;;#ASMEND
	;;#ASMSTART
	v_dot2_f32_f16 v38, v43, v35, v38
	;;#ASMEND
	ds_load_b128 v[24:27], v87 offset:32
	;; [unrolled: 55-line block ×7, first 2 shown]
	ds_load_b128 v[28:31], v82 offset:880
	ds_load_b128 v[32:35], v82 offset:2032
	;; [unrolled: 1-line block ×3, first 2 shown]
	s_wait_dscnt 0x2
	;;#ASMSTART
	v_dot2_f32_f16 v4, v24, v28, v4
	;;#ASMEND
	;;#ASMSTART
	v_dot2_f32_f16 v4, v25, v29, v4
	;;#ASMEND
	;;#ASMSTART
	v_dot2_f32_f16 v4, v26, v30, v4
	;;#ASMEND
	;;#ASMSTART
	v_dot2_f32_f16 v4, v27, v31, v4
	;;#ASMEND
	s_wait_dscnt 0x1
	;;#ASMSTART
	v_dot2_f32_f16 v37, v24, v32, v37
	;;#ASMEND
	;;#ASMSTART
	v_dot2_f32_f16 v37, v25, v33, v37
	;;#ASMEND
	;;#ASMSTART
	v_dot2_f32_f16 v37, v26, v34, v37
	;;#ASMEND
	;;#ASMSTART
	v_dot2_f32_f16 v37, v27, v35, v37
	;;#ASMEND
	;; [unrolled: 13-line block ×3, first 2 shown]
	;;#ASMSTART
	v_dot2_f32_f16 v38, v40, v32, v38
	;;#ASMEND
	;;#ASMSTART
	v_dot2_f32_f16 v38, v41, v33, v38
	;;#ASMEND
	;; [unrolled: 3-line block ×4, first 2 shown]
	s_barrier_signal -1
	s_barrier_wait -1
	s_clause 0x1
	global_load_b128 v[24:27], v[0:1], off offset:896
	global_load_b128 v[28:31], v[2:3], off offset:896
	s_wait_loadcnt 0x1
	ds_store_b128 v85, v[24:27]
	s_wait_loadcnt 0x0
	ds_store_b128 v86, v[28:31]
	s_wait_dscnt 0x0
	s_barrier_signal -1
	s_barrier_wait -1
	ds_load_b128 v[24:27], v87
	ds_load_b128 v[28:31], v82 offset:896
	ds_load_b128 v[32:35], v82 offset:2048
	ds_load_b128 v[40:43], v87 offset:4608
	s_wait_dscnt 0x2
	;;#ASMSTART
	v_dot2_f32_f16 v4, v24, v28, v4
	;;#ASMEND
	;;#ASMSTART
	v_dot2_f32_f16 v4, v25, v29, v4
	;;#ASMEND
	;;#ASMSTART
	v_dot2_f32_f16 v4, v26, v30, v4
	;;#ASMEND
	;;#ASMSTART
	v_dot2_f32_f16 v4, v27, v31, v4
	;;#ASMEND
	s_wait_dscnt 0x1
	;;#ASMSTART
	v_dot2_f32_f16 v37, v24, v32, v37
	;;#ASMEND
	;;#ASMSTART
	v_dot2_f32_f16 v37, v25, v33, v37
	;;#ASMEND
	;;#ASMSTART
	v_dot2_f32_f16 v37, v26, v34, v37
	;;#ASMEND
	;;#ASMSTART
	v_dot2_f32_f16 v37, v27, v35, v37
	;;#ASMEND
	s_wait_dscnt 0x0
	;;#ASMSTART
	v_dot2_f32_f16 v5, v40, v28, v5
	;;#ASMEND
	;;#ASMSTART
	v_dot2_f32_f16 v5, v41, v29, v5
	;;#ASMEND
	;;#ASMSTART
	v_dot2_f32_f16 v5, v42, v30, v5
	;;#ASMEND
	;;#ASMSTART
	v_dot2_f32_f16 v5, v43, v31, v5
	;;#ASMEND
	;;#ASMSTART
	v_dot2_f32_f16 v38, v40, v32, v38
	;;#ASMEND
	;;#ASMSTART
	v_dot2_f32_f16 v38, v41, v33, v38
	;;#ASMEND
	;;#ASMSTART
	v_dot2_f32_f16 v38, v42, v34, v38
	;;#ASMEND
	;;#ASMSTART
	v_dot2_f32_f16 v38, v43, v35, v38
	;;#ASMEND
	ds_load_b128 v[24:27], v87 offset:16
	ds_load_b128 v[28:31], v82 offset:912
	ds_load_b128 v[32:35], v82 offset:2064
	ds_load_b128 v[40:43], v87 offset:4624
	s_wait_dscnt 0x2
	;;#ASMSTART
	v_dot2_f32_f16 v4, v24, v28, v4
	;;#ASMEND
	;;#ASMSTART
	v_dot2_f32_f16 v4, v25, v29, v4
	;;#ASMEND
	;;#ASMSTART
	v_dot2_f32_f16 v4, v26, v30, v4
	;;#ASMEND
	;;#ASMSTART
	v_dot2_f32_f16 v4, v27, v31, v4
	;;#ASMEND
	s_wait_dscnt 0x1
	;;#ASMSTART
	v_dot2_f32_f16 v37, v24, v32, v37
	;;#ASMEND
	;;#ASMSTART
	v_dot2_f32_f16 v37, v25, v33, v37
	;;#ASMEND
	;;#ASMSTART
	v_dot2_f32_f16 v37, v26, v34, v37
	;;#ASMEND
	;;#ASMSTART
	v_dot2_f32_f16 v37, v27, v35, v37
	;;#ASMEND
	s_wait_dscnt 0x0
	;;#ASMSTART
	v_dot2_f32_f16 v5, v40, v28, v5
	;;#ASMEND
	;;#ASMSTART
	v_dot2_f32_f16 v5, v41, v29, v5
	;;#ASMEND
	;;#ASMSTART
	v_dot2_f32_f16 v5, v42, v30, v5
	;;#ASMEND
	;;#ASMSTART
	v_dot2_f32_f16 v5, v43, v31, v5
	;;#ASMEND
	;;#ASMSTART
	v_dot2_f32_f16 v38, v40, v32, v38
	;;#ASMEND
	;;#ASMSTART
	v_dot2_f32_f16 v38, v41, v33, v38
	;;#ASMEND
	;;#ASMSTART
	v_dot2_f32_f16 v38, v42, v34, v38
	;;#ASMEND
	;;#ASMSTART
	v_dot2_f32_f16 v38, v43, v35, v38
	;;#ASMEND
	ds_load_b128 v[24:27], v87 offset:32
	;; [unrolled: 55-line block ×7, first 2 shown]
	ds_load_b128 v[28:31], v82 offset:1008
	ds_load_b128 v[32:35], v82 offset:2160
	;; [unrolled: 1-line block ×3, first 2 shown]
	s_wait_dscnt 0x2
	;;#ASMSTART
	v_dot2_f32_f16 v4, v24, v28, v4
	;;#ASMEND
	;;#ASMSTART
	v_dot2_f32_f16 v4, v25, v29, v4
	;;#ASMEND
	;;#ASMSTART
	v_dot2_f32_f16 v4, v26, v30, v4
	;;#ASMEND
	;;#ASMSTART
	v_dot2_f32_f16 v4, v27, v31, v4
	;;#ASMEND
	s_wait_dscnt 0x1
	;;#ASMSTART
	v_dot2_f32_f16 v37, v24, v32, v37
	;;#ASMEND
	;;#ASMSTART
	v_dot2_f32_f16 v37, v25, v33, v37
	;;#ASMEND
	;;#ASMSTART
	v_dot2_f32_f16 v37, v26, v34, v37
	;;#ASMEND
	;;#ASMSTART
	v_dot2_f32_f16 v37, v27, v35, v37
	;;#ASMEND
	;; [unrolled: 13-line block ×3, first 2 shown]
	;;#ASMSTART
	v_dot2_f32_f16 v38, v40, v32, v38
	;;#ASMEND
	;;#ASMSTART
	v_dot2_f32_f16 v38, v41, v33, v38
	;;#ASMEND
	;; [unrolled: 3-line block ×4, first 2 shown]
	s_barrier_signal -1
	s_barrier_wait -1
	s_clause 0x1
	global_load_b128 v[24:27], v[0:1], off offset:1024
	global_load_b128 v[28:31], v[2:3], off offset:1024
	s_wait_loadcnt 0x1
	ds_store_b128 v85, v[24:27]
	s_wait_loadcnt 0x0
	ds_store_b128 v86, v[28:31]
	s_wait_dscnt 0x0
	s_barrier_signal -1
	s_barrier_wait -1
	ds_load_b128 v[0:3], v87
	ds_load_b128 v[24:27], v82 offset:1024
	ds_load_b128 v[28:31], v82 offset:2176
	ds_load_b128 v[32:35], v87 offset:4608
	s_wait_dscnt 0x2
	;;#ASMSTART
	v_dot2_f32_f16 v4, v0, v24, v4
	;;#ASMEND
	;;#ASMSTART
	v_dot2_f32_f16 v4, v1, v25, v4
	;;#ASMEND
	;;#ASMSTART
	v_dot2_f32_f16 v4, v2, v26, v4
	;;#ASMEND
	;;#ASMSTART
	v_dot2_f32_f16 v4, v3, v27, v4
	;;#ASMEND
	s_wait_dscnt 0x1
	;;#ASMSTART
	v_dot2_f32_f16 v37, v0, v28, v37
	;;#ASMEND
	;;#ASMSTART
	v_dot2_f32_f16 v37, v1, v29, v37
	;;#ASMEND
	;;#ASMSTART
	v_dot2_f32_f16 v37, v2, v30, v37
	;;#ASMEND
	;;#ASMSTART
	v_dot2_f32_f16 v37, v3, v31, v37
	;;#ASMEND
	s_wait_dscnt 0x0
	;;#ASMSTART
	v_dot2_f32_f16 v5, v32, v24, v5
	;;#ASMEND
	;;#ASMSTART
	v_dot2_f32_f16 v5, v33, v25, v5
	;;#ASMEND
	;;#ASMSTART
	v_dot2_f32_f16 v5, v34, v26, v5
	;;#ASMEND
	;;#ASMSTART
	v_dot2_f32_f16 v5, v35, v27, v5
	;;#ASMEND
	;;#ASMSTART
	v_dot2_f32_f16 v38, v32, v28, v38
	;;#ASMEND
	;;#ASMSTART
	v_dot2_f32_f16 v38, v33, v29, v38
	;;#ASMEND
	;;#ASMSTART
	v_dot2_f32_f16 v38, v34, v30, v38
	;;#ASMEND
	;;#ASMSTART
	v_dot2_f32_f16 v38, v35, v31, v38
	;;#ASMEND
	ds_load_b128 v[0:3], v87 offset:16
	ds_load_b128 v[24:27], v82 offset:1040
	ds_load_b128 v[28:31], v82 offset:2192
	ds_load_b128 v[32:35], v87 offset:4624
	s_wait_dscnt 0x2
	;;#ASMSTART
	v_dot2_f32_f16 v4, v0, v24, v4
	;;#ASMEND
	;;#ASMSTART
	v_dot2_f32_f16 v4, v1, v25, v4
	;;#ASMEND
	;;#ASMSTART
	v_dot2_f32_f16 v4, v2, v26, v4
	;;#ASMEND
	;;#ASMSTART
	v_dot2_f32_f16 v4, v3, v27, v4
	;;#ASMEND
	s_wait_dscnt 0x1
	;;#ASMSTART
	v_dot2_f32_f16 v37, v0, v28, v37
	;;#ASMEND
	;;#ASMSTART
	v_dot2_f32_f16 v37, v1, v29, v37
	;;#ASMEND
	;;#ASMSTART
	v_dot2_f32_f16 v37, v2, v30, v37
	;;#ASMEND
	;;#ASMSTART
	v_dot2_f32_f16 v37, v3, v31, v37
	;;#ASMEND
	s_wait_dscnt 0x0
	;;#ASMSTART
	v_dot2_f32_f16 v5, v32, v24, v5
	;;#ASMEND
	;;#ASMSTART
	v_dot2_f32_f16 v5, v33, v25, v5
	;;#ASMEND
	;;#ASMSTART
	v_dot2_f32_f16 v5, v34, v26, v5
	;;#ASMEND
	;;#ASMSTART
	v_dot2_f32_f16 v5, v35, v27, v5
	;;#ASMEND
	;;#ASMSTART
	v_dot2_f32_f16 v38, v32, v28, v38
	;;#ASMEND
	;;#ASMSTART
	v_dot2_f32_f16 v38, v33, v29, v38
	;;#ASMEND
	;;#ASMSTART
	v_dot2_f32_f16 v38, v34, v30, v38
	;;#ASMEND
	;;#ASMSTART
	v_dot2_f32_f16 v38, v35, v31, v38
	;;#ASMEND
	ds_load_b128 v[0:3], v87 offset:32
	;; [unrolled: 55-line block ×7, first 2 shown]
	ds_load_b128 v[24:27], v82 offset:1136
	ds_load_b128 v[28:31], v82 offset:2288
	;; [unrolled: 1-line block ×3, first 2 shown]
	s_wait_dscnt 0x2
	;;#ASMSTART
	v_dot2_f32_f16 v4, v0, v24, v4
	;;#ASMEND
	;;#ASMSTART
	v_dot2_f32_f16 v4, v1, v25, v4
	;;#ASMEND
	;; [unrolled: 3-line block ×4, first 2 shown]
	s_wait_dscnt 0x1
	;;#ASMSTART
	v_dot2_f32_f16 v37, v0, v28, v37
	;;#ASMEND
	;;#ASMSTART
	v_dot2_f32_f16 v37, v1, v29, v37
	;;#ASMEND
	;; [unrolled: 3-line block ×4, first 2 shown]
	s_wait_dscnt 0x0
	;;#ASMSTART
	v_dot2_f32_f16 v5, v32, v24, v5
	;;#ASMEND
	v_cmp_ngt_f32_e64 s24, 0x3f200000, |v4|
	;;#ASMSTART
	v_dot2_f32_f16 v5, v33, v25, v5
	;;#ASMEND
	;;#ASMSTART
	v_dot2_f32_f16 v5, v34, v26, v5
	;;#ASMEND
	;; [unrolled: 3-line block ×7, first 2 shown]
                                        ; implicit-def: $vgpr2
	s_and_saveexec_b32 s25, s24
	s_delay_alu instid0(SALU_CYCLE_1)
	s_xor_b32 s24, exec_lo, s25
	s_cbranch_execz .LBB26_15
; %bb.14:                               ;   in Loop: Header=BB26_13 Depth=1
	v_add_f32_e64 v0, |v4|, |v4|
	s_delay_alu instid0(VALU_DEP_1) | instskip(SKIP_1) | instid1(VALU_DEP_2)
	v_mul_f32_e32 v1, 0x3fb8aa3b, v0
	v_cmp_ngt_f32_e32 vcc_lo, 0xc2ce8ed0, v0
	v_rndne_f32_e32 v2, v1
	v_fma_f32 v3, 0x3fb8aa3b, v0, -v1
	s_delay_alu instid0(VALU_DEP_2) | instskip(NEXT) | instid1(VALU_DEP_2)
	v_sub_f32_e32 v1, v1, v2
	v_fmac_f32_e32 v3, 0x32a5705f, v0
	v_cvt_i32_f32_e32 v2, v2
	s_delay_alu instid0(VALU_DEP_2) | instskip(NEXT) | instid1(VALU_DEP_1)
	v_add_f32_e32 v1, v1, v3
	v_exp_f32_e32 v1, v1
	v_nop
	s_delay_alu instid0(TRANS32_DEP_1) | instskip(NEXT) | instid1(VALU_DEP_1)
	v_ldexp_f32 v1, v1, v2
	v_cndmask_b32_e32 v1, 0, v1, vcc_lo
	v_cmp_nlt_f32_e32 vcc_lo, 0x42b17218, v0
	s_delay_alu instid0(VALU_DEP_2) | instskip(NEXT) | instid1(VALU_DEP_1)
	v_cndmask_b32_e32 v0, 0x7f800000, v1, vcc_lo
	v_add_f32_e32 v0, 1.0, v0
	s_delay_alu instid0(VALU_DEP_1) | instskip(SKIP_1) | instid1(TRANS32_DEP_1)
	v_rcp_f32_e32 v0, v0
	v_nop
	v_fma_f32 v2, v0, -2.0, 1.0
.LBB26_15:                              ;   in Loop: Header=BB26_13 Depth=1
	s_and_not1_saveexec_b32 s24, s24
	s_cbranch_execz .LBB26_17
; %bb.16:                               ;   in Loop: Header=BB26_13 Depth=1
	v_mul_f32_e32 v0, v4, v4
	s_delay_alu instid0(VALU_DEP_1) | instskip(NEXT) | instid1(VALU_DEP_1)
	v_fmaak_f32 v1, s3, v0, 0x3ca908c9
	v_fmaak_f32 v1, v0, v1, 0xbd5c1c4e
	s_delay_alu instid0(VALU_DEP_1) | instskip(NEXT) | instid1(VALU_DEP_1)
	v_fmaak_f32 v1, v0, v1, 0x3e088382
	v_fmaak_f32 v1, v0, v1, 0xbeaaaa99
	s_delay_alu instid0(VALU_DEP_1) | instskip(NEXT) | instid1(VALU_DEP_1)
	v_mul_f32_e64 v1, |v4|, v1
	v_fma_f32 v2, v0, v1, |v4|
.LBB26_17:                              ;   in Loop: Header=BB26_13 Depth=1
	s_or_b32 exec_lo, exec_lo, s24
	v_add_nc_u32_e32 v0, s4, v88
	v_cmp_ngt_f32_e64 s24, 0x3f200000, |v5|
                                        ; implicit-def: $vgpr3
	global_load_u16 v27, v0, s[30:31] scale_offset
	s_wait_xcnt 0x0
	s_and_saveexec_b32 s25, s24
	s_delay_alu instid0(SALU_CYCLE_1)
	s_xor_b32 s24, exec_lo, s25
	s_cbranch_execz .LBB26_19
; %bb.18:                               ;   in Loop: Header=BB26_13 Depth=1
	v_add_f32_e64 v1, |v5|, |v5|
	s_delay_alu instid0(VALU_DEP_1) | instskip(SKIP_1) | instid1(VALU_DEP_2)
	v_mul_f32_e32 v3, 0x3fb8aa3b, v1
	v_cmp_ngt_f32_e32 vcc_lo, 0xc2ce8ed0, v1
	v_rndne_f32_e32 v6, v3
	v_fma_f32 v7, 0x3fb8aa3b, v1, -v3
	s_delay_alu instid0(VALU_DEP_2) | instskip(NEXT) | instid1(VALU_DEP_2)
	v_sub_f32_e32 v3, v3, v6
	v_fmac_f32_e32 v7, 0x32a5705f, v1
	v_cvt_i32_f32_e32 v6, v6
	s_delay_alu instid0(VALU_DEP_2) | instskip(NEXT) | instid1(VALU_DEP_1)
	v_add_f32_e32 v3, v3, v7
	v_exp_f32_e32 v3, v3
	v_nop
	s_delay_alu instid0(TRANS32_DEP_1) | instskip(NEXT) | instid1(VALU_DEP_1)
	v_ldexp_f32 v3, v3, v6
	v_cndmask_b32_e32 v3, 0, v3, vcc_lo
	v_cmp_nlt_f32_e32 vcc_lo, 0x42b17218, v1
	s_delay_alu instid0(VALU_DEP_2) | instskip(NEXT) | instid1(VALU_DEP_1)
	v_cndmask_b32_e32 v1, 0x7f800000, v3, vcc_lo
	v_add_f32_e32 v1, 1.0, v1
	s_delay_alu instid0(VALU_DEP_1) | instskip(SKIP_1) | instid1(TRANS32_DEP_1)
	v_rcp_f32_e32 v1, v1
	v_nop
	v_fma_f32 v3, v1, -2.0, 1.0
.LBB26_19:                              ;   in Loop: Header=BB26_13 Depth=1
	s_and_not1_saveexec_b32 s24, s24
	s_cbranch_execz .LBB26_21
; %bb.20:                               ;   in Loop: Header=BB26_13 Depth=1
	v_mul_f32_e32 v1, v5, v5
	s_delay_alu instid0(VALU_DEP_1) | instskip(NEXT) | instid1(VALU_DEP_1)
	v_fmaak_f32 v3, s3, v1, 0x3ca908c9
	v_fmaak_f32 v3, v1, v3, 0xbd5c1c4e
	s_delay_alu instid0(VALU_DEP_1) | instskip(NEXT) | instid1(VALU_DEP_1)
	v_fmaak_f32 v3, v1, v3, 0x3e088382
	v_fmaak_f32 v3, v1, v3, 0xbeaaaa99
	s_delay_alu instid0(VALU_DEP_1) | instskip(NEXT) | instid1(VALU_DEP_1)
	v_mul_f32_e64 v3, |v5|, v3
	v_fma_f32 v3, v1, v3, |v5|
.LBB26_21:                              ;   in Loop: Header=BB26_13 Depth=1
	s_or_b32 exec_lo, exec_lo, s24
	v_dual_ashrrev_i32 v1, 31, v0 :: v_dual_bitop2_b32 v97, 16, v83 bitop3:0x14
	v_cmp_ngt_f32_e64 s24, 0x3f200000, |v37|
                                        ; implicit-def: $vgpr35
	v_xor_b32_e32 v93, 8, v83
	v_xor_b32_e32 v94, 4, v83
	s_delay_alu instid0(VALU_DEP_4)
	v_lshl_add_u64 v[0:1], v[0:1], 1, s[30:31]
	v_cmp_gt_i32_e32 vcc_lo, 32, v97
	v_xor_b32_e32 v95, 2, v83
	v_xor_b32_e32 v96, 1, v83
	global_load_u16 v28, v[0:1], off offset:64
	s_wait_xcnt 0x0
	v_bfi_b32 v0, 0x7fffffff, v2, v4
	v_bfi_b32 v1, 0x7fffffff, v3, v5
	s_wait_loadcnt 0x1
	s_wait_kmcnt 0x0
	s_delay_alu instid0(VALU_DEP_2) | instskip(NEXT) | instid1(VALU_DEP_1)
	v_fma_mix_f32 v25, s21, v0, v27 op_sel_hi:[0,0,1]
	v_add_f32_e32 v0, 0x40051340, v25
	s_wait_loadcnt 0x0
	v_fma_mix_f32 v26, s21, v1, v28 op_sel_hi:[0,0,1]
	v_cndmask_b32_e32 v1, v83, v97, vcc_lo
	v_cmp_gt_i32_e32 vcc_lo, 32, v93
	s_delay_alu instid0(VALU_DEP_2) | instskip(NEXT) | instid1(VALU_DEP_1)
	v_dual_add_f32 v2, 0x40051340, v26 :: v_dual_lshlrev_b32 v29, 2, v1
	v_max3_num_f32 v0, v23, v0, v2
	v_cndmask_b32_e32 v2, v83, v93, vcc_lo
	v_cmp_gt_i32_e32 vcc_lo, 32, v94
	ds_bpermute_b32 v1, v29, v0
	v_lshlrev_b32_e32 v30, 2, v2
	v_cndmask_b32_e32 v2, v83, v94, vcc_lo
	v_cmp_gt_i32_e32 vcc_lo, 32, v95
	s_delay_alu instid0(VALU_DEP_2) | instskip(SKIP_2) | instid1(VALU_DEP_2)
	v_dual_cndmask_b32 v2, v83, v95 :: v_dual_lshlrev_b32 v31, 2, v2
	v_cmp_gt_i32_e32 vcc_lo, 32, v96
	s_wait_dscnt 0x0
	v_dual_max_num_f32 v1, v1, v1 :: v_dual_lshlrev_b32 v32, 2, v2
	s_delay_alu instid0(VALU_DEP_1) | instskip(SKIP_3) | instid1(VALU_DEP_1)
	v_max_num_f32_e32 v0, v0, v1
	ds_bpermute_b32 v1, v30, v0
	s_wait_dscnt 0x0
	v_max_num_f32_e32 v1, v1, v1
	v_max_num_f32_e32 v0, v0, v1
	ds_bpermute_b32 v1, v31, v0
	s_wait_dscnt 0x0
	v_max_num_f32_e32 v1, v1, v1
	s_delay_alu instid0(VALU_DEP_1) | instskip(SKIP_3) | instid1(VALU_DEP_1)
	v_max_num_f32_e32 v0, v0, v1
	ds_bpermute_b32 v1, v32, v0
	s_wait_dscnt 0x0
	v_dual_cndmask_b32 v2, v83, v96 :: v_dual_max_num_f32 v1, v1, v1
	v_dual_max_num_f32 v33, v0, v1 :: v_dual_lshlrev_b32 v24, 2, v2
	ds_bpermute_b32 v34, v24, v33
	s_and_saveexec_b32 s25, s24
	s_delay_alu instid0(SALU_CYCLE_1)
	s_xor_b32 s24, exec_lo, s25
	s_cbranch_execz .LBB26_23
; %bb.22:                               ;   in Loop: Header=BB26_13 Depth=1
	v_add_f32_e64 v0, |v37|, |v37|
	s_delay_alu instid0(VALU_DEP_1) | instskip(SKIP_1) | instid1(VALU_DEP_2)
	v_mul_f32_e32 v1, 0x3fb8aa3b, v0
	v_cmp_ngt_f32_e32 vcc_lo, 0xc2ce8ed0, v0
	v_rndne_f32_e32 v2, v1
	v_fma_f32 v3, 0x3fb8aa3b, v0, -v1
	s_delay_alu instid0(VALU_DEP_2) | instskip(NEXT) | instid1(VALU_DEP_2)
	v_sub_f32_e32 v1, v1, v2
	v_fmac_f32_e32 v3, 0x32a5705f, v0
	v_cvt_i32_f32_e32 v2, v2
	s_delay_alu instid0(VALU_DEP_2) | instskip(NEXT) | instid1(VALU_DEP_1)
	v_add_f32_e32 v1, v1, v3
	v_exp_f32_e32 v1, v1
	v_nop
	s_delay_alu instid0(TRANS32_DEP_1) | instskip(NEXT) | instid1(VALU_DEP_1)
	v_ldexp_f32 v1, v1, v2
	v_cndmask_b32_e32 v1, 0, v1, vcc_lo
	v_cmp_nlt_f32_e32 vcc_lo, 0x42b17218, v0
	s_delay_alu instid0(VALU_DEP_2) | instskip(NEXT) | instid1(VALU_DEP_1)
	v_cndmask_b32_e32 v0, 0x7f800000, v1, vcc_lo
	v_add_f32_e32 v0, 1.0, v0
	s_delay_alu instid0(VALU_DEP_1) | instskip(SKIP_1) | instid1(TRANS32_DEP_1)
	v_rcp_f32_e32 v0, v0
	v_nop
	v_fma_f32 v35, v0, -2.0, 1.0
.LBB26_23:                              ;   in Loop: Header=BB26_13 Depth=1
	s_and_not1_saveexec_b32 s24, s24
	s_cbranch_execz .LBB26_25
; %bb.24:                               ;   in Loop: Header=BB26_13 Depth=1
	v_mul_f32_e32 v0, v37, v37
	s_delay_alu instid0(VALU_DEP_1) | instskip(NEXT) | instid1(VALU_DEP_1)
	v_fmaak_f32 v1, s3, v0, 0x3ca908c9
	v_fmaak_f32 v1, v0, v1, 0xbd5c1c4e
	s_delay_alu instid0(VALU_DEP_1) | instskip(NEXT) | instid1(VALU_DEP_1)
	v_fmaak_f32 v1, v0, v1, 0x3e088382
	v_fmaak_f32 v1, v0, v1, 0xbeaaaa99
	s_delay_alu instid0(VALU_DEP_1) | instskip(NEXT) | instid1(VALU_DEP_1)
	v_mul_f32_e64 v1, |v37|, v1
	v_fma_f32 v35, v0, v1, |v37|
.LBB26_25:                              ;   in Loop: Header=BB26_13 Depth=1
	s_or_b32 exec_lo, exec_lo, s24
	v_cmp_ngt_f32_e64 s24, 0x3f200000, |v38|
                                        ; implicit-def: $vgpr36
	s_and_saveexec_b32 s25, s24
	s_delay_alu instid0(SALU_CYCLE_1)
	s_xor_b32 s24, exec_lo, s25
	s_cbranch_execz .LBB26_27
; %bb.26:                               ;   in Loop: Header=BB26_13 Depth=1
	v_add_f32_e64 v0, |v38|, |v38|
	s_delay_alu instid0(VALU_DEP_1) | instskip(SKIP_1) | instid1(VALU_DEP_2)
	v_mul_f32_e32 v1, 0x3fb8aa3b, v0
	v_cmp_ngt_f32_e32 vcc_lo, 0xc2ce8ed0, v0
	v_rndne_f32_e32 v2, v1
	v_fma_f32 v3, 0x3fb8aa3b, v0, -v1
	s_delay_alu instid0(VALU_DEP_2) | instskip(NEXT) | instid1(VALU_DEP_2)
	v_sub_f32_e32 v1, v1, v2
	v_fmac_f32_e32 v3, 0x32a5705f, v0
	v_cvt_i32_f32_e32 v2, v2
	s_delay_alu instid0(VALU_DEP_2) | instskip(NEXT) | instid1(VALU_DEP_1)
	v_add_f32_e32 v1, v1, v3
	v_exp_f32_e32 v1, v1
	v_nop
	s_delay_alu instid0(TRANS32_DEP_1) | instskip(NEXT) | instid1(VALU_DEP_1)
	v_ldexp_f32 v1, v1, v2
	v_cndmask_b32_e32 v1, 0, v1, vcc_lo
	v_cmp_nlt_f32_e32 vcc_lo, 0x42b17218, v0
	s_delay_alu instid0(VALU_DEP_2) | instskip(NEXT) | instid1(VALU_DEP_1)
	v_cndmask_b32_e32 v0, 0x7f800000, v1, vcc_lo
	v_add_f32_e32 v0, 1.0, v0
	s_delay_alu instid0(VALU_DEP_1) | instskip(SKIP_1) | instid1(TRANS32_DEP_1)
	v_rcp_f32_e32 v0, v0
	v_nop
	v_fma_f32 v36, v0, -2.0, 1.0
.LBB26_27:                              ;   in Loop: Header=BB26_13 Depth=1
	s_and_not1_saveexec_b32 s24, s24
	s_cbranch_execz .LBB26_29
; %bb.28:                               ;   in Loop: Header=BB26_13 Depth=1
	v_mul_f32_e32 v0, v38, v38
	s_delay_alu instid0(VALU_DEP_1) | instskip(NEXT) | instid1(VALU_DEP_1)
	v_fmaak_f32 v1, s3, v0, 0x3ca908c9
	v_fmaak_f32 v1, v0, v1, 0xbd5c1c4e
	s_delay_alu instid0(VALU_DEP_1) | instskip(NEXT) | instid1(VALU_DEP_1)
	v_fmaak_f32 v1, v0, v1, 0x3e088382
	v_fmaak_f32 v1, v0, v1, 0xbeaaaa99
	s_delay_alu instid0(VALU_DEP_1) | instskip(NEXT) | instid1(VALU_DEP_1)
	v_mul_f32_e64 v1, |v38|, v1
	v_fma_f32 v36, v0, v1, |v38|
.LBB26_29:                              ;   in Loop: Header=BB26_13 Depth=1
	s_or_b32 exec_lo, exec_lo, s24
	s_mul_u64 s[24:25], s[4:5], s[10:11]
	s_wait_dscnt 0x0
	v_lshl_add_u64 v[40:41], s[24:25], 2, v[74:75]
	s_barrier_signal -1
	s_barrier_wait -1
	v_cvt_f32_f16_e32 v27, v27
	s_clause 0x1
	global_load_b128 v[0:3], v[40:41], off
	global_load_b128 v[4:7], v[40:41], off offset:512
	v_cvt_f32_f16_e32 v28, v28
	v_bfi_b32 v35, 0x7fffffff, v35, v37
	v_bfi_b32 v36, 0x7fffffff, v36, v38
	s_or_b32 s24, s4, 8
	v_add_nc_u32_e32 v100, 0x800, v92
	s_ashr_i32 s25, s24, 31
	s_delay_alu instid0(VALU_DEP_2) | instskip(SKIP_1) | instid1(SALU_CYCLE_1)
	v_dual_fmac_f32 v27, s21, v35 :: v_dual_fmac_f32 v28, s21, v36
	s_mul_u64 s[24:25], s[24:25], s[10:11]
	v_lshl_add_u64 v[56:57], s[24:25], 2, v[74:75]
	s_delay_alu instid0(VALU_DEP_2) | instskip(SKIP_1) | instid1(SALU_CYCLE_1)
	v_dual_add_f32 v35, 0x40051340, v27 :: v_dual_add_f32 v36, 0x40051340, v28
	s_or_b32 s24, s4, 16
	s_ashr_i32 s25, s24, 31
	s_delay_alu instid0(VALU_DEP_1) | instskip(SKIP_4) | instid1(VALU_DEP_1)
	v_max3_num_f32 v35, v22, v35, v36
	s_mul_u64 s[24:25], s[24:25], s[10:11]
	ds_bpermute_b32 v29, v29, v35
	s_wait_dscnt 0x0
	v_max_num_f32_e32 v29, v29, v29
	v_max_num_f32_e32 v29, v35, v29
	ds_bpermute_b32 v30, v30, v29
	s_wait_dscnt 0x0
	v_max_num_f32_e32 v30, v30, v30
	s_delay_alu instid0(VALU_DEP_1) | instskip(SKIP_4) | instid1(VALU_DEP_1)
	v_max_num_f32_e32 v29, v29, v30
	ds_bpermute_b32 v30, v31, v29
	v_max_num_f32_e32 v31, v34, v34
	s_wait_dscnt 0x0
	v_max_num_f32_e32 v30, v30, v30
	v_max_num_f32_e32 v29, v29, v30
	ds_bpermute_b32 v30, v32, v29
	v_dual_max_num_f32 v32, v33, v33 :: v_dual_add_nc_u32 v99, 0x1000, v92
	s_delay_alu instid0(VALU_DEP_1) | instskip(NEXT) | instid1(VALU_DEP_1)
	v_dual_max_num_f32 v76, v32, v31 :: v_dual_add_nc_u32 v31, v89, v81
	v_dual_sub_f32 v26, v26, v76 :: v_dual_sub_f32 v25, v25, v76
	v_sub_f32_e32 v23, v23, v76
	s_delay_alu instid0(VALU_DEP_2)
	v_dual_mul_f32 v33, 0x3fb8aa3b, v26 :: v_dual_mul_f32 v32, 0x3fb8aa3b, v25
	v_cmp_ngt_f32_e32 vcc_lo, 0xc2ce8ed0, v25
	s_wait_dscnt 0x0
	v_max_num_f32_e32 v30, v30, v30
	v_mul_f32_e32 v34, 0x3fb8aa3b, v23
	v_fma_f32 v35, 0x3fb8aa3b, v25, -v32
	v_rndne_f32_e32 v36, v32
	v_fma_f32 v37, 0x3fb8aa3b, v26, -v33
	v_max_num_f32_e32 v29, v29, v30
	v_fma_f32 v30, 0x3fb8aa3b, v23, -v34
	v_rndne_f32_e32 v38, v34
	v_rndne_f32_e32 v39, v33
	v_dual_fmac_f32 v35, 0x32a5705f, v25 :: v_dual_sub_f32 v32, v32, v36
	ds_bpermute_b32 v24, v24, v29
	v_dual_fmac_f32 v30, 0x32a5705f, v23 :: v_dual_fmac_f32 v37, 0x32a5705f, v26
	v_dual_sub_f32 v34, v34, v38 :: v_dual_sub_f32 v33, v33, v39
	v_add_f32_e32 v32, v32, v35
	v_add_nc_u32_e32 v98, 0x1800, v92
	v_cvt_i32_f32_e32 v35, v38
	s_delay_alu instid0(VALU_DEP_4) | instskip(NEXT) | instid1(VALU_DEP_4)
	v_dual_add_f32 v30, v34, v30 :: v_dual_add_f32 v33, v33, v37
	v_exp_f32_e32 v32, v32
	v_cvt_i32_f32_e32 v34, v36
	v_cvt_i32_f32_e32 v36, v39
	s_delay_alu instid0(VALU_DEP_3)
	v_exp_f32_e32 v30, v30
	v_exp_f32_e32 v33, v33
	s_delay_alu instid0(TRANS32_DEP_3) | instid1(VALU_DEP_2)
	v_ldexp_f32 v32, v32, v34
	s_delay_alu instid0(TRANS32_DEP_2) | instskip(NEXT) | instid1(TRANS32_DEP_1)
	v_ldexp_f32 v30, v30, v35
	v_ldexp_f32 v33, v33, v36
	s_wait_dscnt 0x0
	v_max_num_f32_e32 v24, v24, v24
	v_cndmask_b32_e32 v32, 0, v32, vcc_lo
	v_cmp_ngt_f32_e32 vcc_lo, 0xc2ce8ed0, v23
	s_delay_alu instid0(VALU_DEP_3) | instskip(SKIP_1) | instid1(VALU_DEP_2)
	v_dual_max_num_f32 v77, v29, v24 :: v_dual_cndmask_b32 v24, 0, v30
	v_cmp_ngt_f32_e32 vcc_lo, 0xc2ce8ed0, v26
	v_sub_f32_e32 v30, v22, v77
	v_cndmask_b32_e32 v29, 0, v33, vcc_lo
	v_cmp_nlt_f32_e32 vcc_lo, 0x42b17218, v23
	v_cndmask_b32_e32 v22, 0x7f800000, v24, vcc_lo
	v_cmp_nlt_f32_e32 vcc_lo, 0x42b17218, v25
	v_sub_f32_e32 v25, v27, v77
	v_dual_mul_f32 v23, 0x3fb8aa3b, v30 :: v_dual_sub_f32 v28, v28, v77
	s_delay_alu instid0(VALU_DEP_4) | instskip(NEXT) | instid1(VALU_DEP_2)
	v_cvt_f16_f32_e32 v27, v22
	v_rndne_f32_e32 v33, v23
	v_cndmask_b32_e32 v24, 0x7f800000, v32, vcc_lo
	v_cmp_nlt_f32_e32 vcc_lo, 0x42b17218, v26
	v_fma_f32 v32, 0x3fb8aa3b, v30, -v23
	s_delay_alu instid0(VALU_DEP_4) | instskip(SKIP_1) | instid1(VALU_DEP_3)
	v_dual_mul_f32 v34, 0x3fb8aa3b, v28 :: v_dual_sub_f32 v23, v23, v33
	v_and_b32_e32 v27, 0xffff, v27
	v_fmac_f32_e32 v32, 0x32a5705f, v30
	v_cndmask_b32_e32 v26, 0x7f800000, v29, vcc_lo
	v_mul_f32_e32 v29, 0x3fb8aa3b, v25
	v_fma_f32 v37, 0x3fb8aa3b, v28, -v34
	v_rndne_f32_e32 v38, v34
	v_mul_u32_u24_e32 v61, 0x10001, v27
	v_cmp_ngt_f32_e32 vcc_lo, 0xc2ce8ed0, v30
	v_fma_f32 v35, 0x3fb8aa3b, v25, -v29
	v_rndne_f32_e32 v36, v29
	v_fmac_f32_e32 v37, 0x32a5705f, v28
	v_pk_mul_f16 v59, v20, v61
	v_pk_mul_f16 v58, v21, v61
	v_fmac_f32_e32 v35, 0x32a5705f, v25
	v_add_f32_e32 v23, v23, v32
	v_dual_sub_f32 v29, v29, v36 :: v_dual_sub_f32 v32, v34, v38
	v_pk_mul_f16 v78, v19, v61
	v_pk_mul_f16 v101, v17, v61
	s_delay_alu instid0(VALU_DEP_4) | instskip(NEXT) | instid1(VALU_DEP_3)
	v_exp_f32_e32 v23, v23
	v_dual_add_f32 v27, v29, v35 :: v_dual_add_f32 v32, v32, v37
	v_cvt_i32_f32_e32 v29, v33
	v_pk_mul_f16 v79, v18, v61
	v_pk_mul_f16 v106, v16, v61
	s_delay_alu instid0(VALU_DEP_4)
	v_exp_f32_e32 v20, v27
	v_nop
	v_cvt_i32_f32_e32 v27, v36
	v_ldexp_f32 v21, v23, v29
	v_exp_f32_e32 v23, v32
	v_cvt_i32_f32_e32 v29, v38
	v_pk_mul_f16 v107, v15, v61
	v_ldexp_f32 v19, v20, v27
	v_cndmask_b32_e32 v21, 0, v21, vcc_lo
	v_cmp_nlt_f32_e32 vcc_lo, 0x42b17218, v30
	s_delay_alu instid0(TRANS32_DEP_1) | instskip(NEXT) | instid1(VALU_DEP_3)
	v_ldexp_f32 v20, v23, v29
	v_cndmask_b32_e32 v23, 0x7f800000, v21, vcc_lo
	v_cmp_ngt_f32_e32 vcc_lo, 0xc2ce8ed0, v25
	s_delay_alu instid0(VALU_DEP_2) | instskip(SKIP_4) | instid1(VALU_DEP_4)
	v_cvt_f16_f32_e32 v21, v23
	v_cndmask_b32_e32 v19, 0, v19, vcc_lo
	v_cmp_ngt_f32_e32 vcc_lo, 0xc2ce8ed0, v28
	v_cndmask_b32_e32 v20, 0, v20, vcc_lo
	v_cmp_nlt_f32_e32 vcc_lo, 0x42b17218, v25
	v_cndmask_b32_e32 v25, 0x7f800000, v19, vcc_lo
	v_cmp_nlt_f32_e32 vcc_lo, 0x42b17218, v28
	s_delay_alu instid0(VALU_DEP_2) | instskip(SKIP_2) | instid1(VALU_DEP_2)
	v_cvt_pk_f16_f32 v17, v24, v25
	v_cndmask_b32_e32 v27, 0x7f800000, v20, vcc_lo
	v_and_b32_e32 v20, 0xffff, v21
	v_cvt_pk_f16_f32 v21, v26, v27
	s_delay_alu instid0(VALU_DEP_2)
	v_mul_u32_u24_e32 v63, 0x10001, v20
	ds_store_2addr_b32 v31, v17, v21 offset1:32
	v_pk_mul_f16 v108, v14, v63
	v_pk_mul_f16 v109, v13, v63
	;; [unrolled: 1-line block ×7, first 2 shown]
	s_wait_loadcnt 0x1
	ds_store_b128 v90, v[0:3]
	s_wait_loadcnt 0x0
	ds_store_b128 v91, v[4:7]
	s_wait_dscnt 0x0
	s_barrier_signal -1
	s_barrier_wait -1
	ds_load_b128 v[40:43], v89
	s_wait_dscnt 0x0
	v_lshrrev_b32_e32 v120, 16, v43
	v_pk_add_f32 v[18:19], v[24:25], v[26:27]
	v_and_b32_e32 v115, 0xffff, v40
	v_lshrrev_b32_e32 v40, 16, v40
	v_and_b32_e32 v116, 0xffff, v41
	v_lshrrev_b32_e32 v117, 16, v41
	v_pk_fma_f32 v[66:67], v[66:67], v[22:23], v[18:19]
	ds_load_2addr_b64 v[44:47], v92 offset0:64 offset1:96
	ds_load_2addr_b64 v[52:55], v92 offset1:32
	ds_load_b128 v[48:51], v89 offset:16
	ds_load_2addr_b64 v[28:31], v92 offset0:128 offset1:160
	ds_load_2addr_b64 v[102:105], v92 offset0:192 offset1:224
	ds_load_2addr_b64 v[12:15], v100 offset1:32
	ds_load_2addr_b64 v[20:23], v100 offset0:64 offset1:96
	ds_load_2addr_b64 v[0:3], v100 offset0:128 offset1:160
	;; [unrolled: 1-line block ×3, first 2 shown]
	ds_load_2addr_b64 v[4:7], v99 offset1:32
	ds_load_2addr_b64 v[16:19], v99 offset0:64 offset1:96
	ds_load_2addr_b64 v[8:11], v99 offset0:128 offset1:160
	;; [unrolled: 1-line block ×3, first 2 shown]
	ds_load_2addr_b64 v[32:35], v98 offset1:32
	v_mul_u32_u24_e32 v115, 0x10001, v115
	v_mul_u32_u24_e32 v128, 0x10001, v40
	v_lshrrev_b32_e32 v118, 16, v42
	v_and_b32_e32 v119, 0xffff, v42
	v_and_b32_e32 v121, 0xffff, v43
	ds_load_2addr_b64 v[40:43], v98 offset0:128 offset1:160
	s_wait_dscnt 0xe
	v_pk_fma_f16 v79, v44, v115, v79
	v_pk_fma_f16 v111, v44, v128, v111
	s_wait_dscnt 0xc
	v_lshrrev_b32_e32 v122, 16, v48
	v_and_b32_e32 v123, 0xffff, v48
	v_dual_lshrrev_b32 v124, 16, v49 :: v_dual_lshrrev_b32 v126, 16, v50
	v_and_b32_e32 v125, 0xffff, v49
	v_and_b32_e32 v127, 0xffff, v50
	v_lshrrev_b32_e32 v129, 16, v51
	v_and_b32_e32 v130, 0xffff, v51
	ds_load_2addr_b64 v[48:51], v98 offset0:64 offset1:96
	v_pk_fma_f16 v101, v45, v115, v101
	v_pk_fma_f16 v112, v45, v128, v112
	v_pk_fma_f16 v106, v46, v115, v106
	v_pk_fma_f16 v113, v46, v128, v113
	v_pk_fma_f16 v107, v47, v115, v107
	v_pk_fma_f16 v114, v47, v128, v114
	v_pk_fma_f16 v131, v53, v115, v58
	v_pk_fma_f16 v132, v54, v115, v59
	v_pk_fma_f16 v78, v55, v115, v78
	v_pk_mul_f16 v115, v52, v115
	v_pk_fma_f16 v108, v53, v128, v108
	v_pk_fma_f16 v109, v54, v128, v109
	;; [unrolled: 1-line block ×3, first 2 shown]
	v_pk_mul_f16 v128, v52, v128
	ds_load_2addr_b64 v[44:47], v98 offset0:192 offset1:224
	s_wait_dscnt 0x0
	s_barrier_signal -1
	s_barrier_wait -1
	s_clause 0x1
	global_load_b128 v[52:55], v[56:57], off
	global_load_b128 v[56:59], v[56:57], off offset:512
	v_mul_u32_u24_e32 v116, 0x10001, v116
	v_mul_u32_u24_e32 v117, 0x10001, v117
	v_pk_fma_f16 v62, v62, v63, v128
	s_wait_loadcnt 0x1
	ds_store_b128 v90, v[52:55]
	s_wait_loadcnt 0x0
	ds_store_b128 v91, v[56:59]
	v_pk_fma_f16 v79, v102, v116, v79
	v_pk_fma_f16 v102, v102, v117, v111
	;; [unrolled: 1-line block ×9, first 2 shown]
	v_mul_u32_u24_e32 v112, 0x10001, v119
	v_mul_u32_u24_e32 v113, 0x10001, v118
	v_mul_u32_u24_e32 v118, 0x10001, v123
	v_mul_u32_u24_e32 v123, 0x10001, v126
	v_pk_fma_f16 v63, v29, v116, v131
	v_pk_fma_f16 v126, v30, v116, v132
	;; [unrolled: 1-line block ×6, first 2 shown]
	v_mul_u32_u24_e32 v114, 0x10001, v121
	v_mul_u32_u24_e32 v115, 0x10001, v120
	v_pk_fma_f16 v108, v28, v116, v111
	v_pk_fma_f16 v28, v28, v117, v62
	;; [unrolled: 1-line block ×16, first 2 shown]
	v_mul_u32_u24_e32 v119, 0x10001, v122
	v_pk_fma_f16 v31, v12, v112, v108
	v_pk_fma_f16 v12, v12, v113, v28
	;; [unrolled: 1-line block ×16, first 2 shown]
	v_mul_u32_u24_e32 v120, 0x10001, v125
	v_mul_u32_u24_e32 v121, 0x10001, v124
	v_pk_fma_f16 v13, v0, v114, v31
	v_pk_fma_f16 v0, v0, v115, v12
	;; [unrolled: 1-line block ×16, first 2 shown]
	v_mul_u32_u24_e32 v122, 0x10001, v127
	v_pk_fma_f16 v7, v4, v118, v13
	v_pk_fma_f16 v0, v4, v119, v0
	;; [unrolled: 1-line block ×26, first 2 shown]
	s_wait_dscnt 0x0
	s_barrier_signal -1
	s_barrier_wait -1
	ds_load_b128 v[48:51], v89 offset:32
	v_mul_u32_u24_e32 v124, 0x10001, v130
	v_pk_fma_f16 v4, v33, v122, v4
	v_pk_fma_f16 v1, v33, v123, v1
	;; [unrolled: 1-line block ×16, first 2 shown]
	v_lshl_add_u64 v[60:61], s[24:25], 2, v[74:75]
	s_or_b32 s24, s4, 24
	s_wait_dscnt 0x0
	v_and_b32_e32 v117, 0xffff, v48
	v_lshrrev_b32_e32 v48, 16, v48
	v_mul_u32_u24_e32 v125, 0x10001, v129
	v_dual_lshrrev_b32 v118, 16, v49 :: v_dual_lshrrev_b32 v120, 16, v50
	s_delay_alu instid0(VALU_DEP_4) | instskip(NEXT) | instid1(VALU_DEP_4)
	v_mul_u32_u24_e32 v117, 0x10001, v117
	v_mul_u32_u24_e32 v130, 0x10001, v48
	s_delay_alu instid0(VALU_DEP_4)
	v_pk_fma_f16 v63, v41, v125, v1
	v_pk_fma_f16 v79, v42, v125, v2
	;; [unrolled: 1-line block ×8, first 2 shown]
	ds_load_2addr_b64 v[56:59], v92 offset1:32
	ds_load_2addr_b64 v[102:105], v92 offset0:64 offset1:96
	ds_load_b128 v[52:55], v89 offset:48
	ds_load_2addr_b64 v[40:43], v92 offset0:128 offset1:160
	ds_load_2addr_b64 v[28:31], v92 offset0:192 offset1:224
	ds_load_2addr_b64 v[20:23], v100 offset1:32
	ds_load_2addr_b64 v[16:19], v100 offset0:64 offset1:96
	ds_load_2addr_b64 v[8:11], v100 offset0:128 offset1:160
	ds_load_2addr_b64 v[0:3], v100 offset0:192 offset1:224
	ds_load_2addr_b64 v[4:7], v99 offset1:32
	ds_load_2addr_b64 v[12:15], v99 offset0:64 offset1:96
	;; [unrolled: 4-line block ×3, first 2 shown]
	v_and_b32_e32 v119, 0xffff, v49
	v_and_b32_e32 v121, 0xffff, v50
	v_lshrrev_b32_e32 v122, 16, v51
	v_and_b32_e32 v123, 0xffff, v51
	ds_load_2addr_b64 v[48:51], v98 offset0:192 offset1:224
	s_wait_dscnt 0xf
	v_pk_fma_f16 v115, v56, v117, v115
	v_pk_fma_f16 v116, v56, v130, v116
	s_wait_dscnt 0xd
	v_lshrrev_b32_e32 v124, 16, v52
	v_and_b32_e32 v125, 0xffff, v52
	v_dual_lshrrev_b32 v126, 16, v53 :: v_dual_lshrrev_b32 v128, 16, v54
	v_and_b32_e32 v127, 0xffff, v53
	v_and_b32_e32 v129, 0xffff, v54
	v_lshrrev_b32_e32 v131, 16, v55
	v_and_b32_e32 v132, 0xffff, v55
	ds_load_2addr_b64 v[52:55], v98 offset0:128 offset1:160
	v_pk_fma_f16 v133, v57, v117, v62
	v_pk_fma_f16 v134, v57, v130, v63
	;; [unrolled: 1-line block ×6, first 2 shown]
	s_wait_dscnt 0x0
	s_barrier_signal -1
	s_barrier_wait -1
	s_clause 0x1
	global_load_b128 v[56:59], v[60:61], off
	global_load_b128 v[60:63], v[60:61], off offset:512
	v_pk_fma_f16 v107, v102, v117, v107
	v_pk_fma_f16 v102, v102, v130, v108
	;; [unrolled: 1-line block ×5, first 2 shown]
	v_mul_u32_u24_e32 v111, 0x10001, v119
	v_mul_u32_u24_e32 v112, 0x10001, v118
	v_pk_fma_f16 v103, v103, v130, v110
	v_pk_fma_f16 v110, v105, v117, v113
	;; [unrolled: 1-line block ×11, first 2 shown]
	v_mul_u32_u24_e32 v106, 0x10001, v121
	v_mul_u32_u24_e32 v116, 0x10001, v120
	;; [unrolled: 1-line block ×4, first 2 shown]
	v_pk_fma_f16 v107, v28, v111, v107
	v_pk_fma_f16 v108, v29, v111, v108
	v_pk_fma_f16 v109, v30, v111, v109
	v_pk_fma_f16 v110, v31, v111, v110
	v_pk_fma_f16 v28, v28, v112, v102
	v_pk_fma_f16 v29, v29, v112, v103
	v_pk_fma_f16 v30, v30, v112, v104
	v_pk_fma_f16 v31, v31, v112, v105
	v_pk_fma_f16 v102, v20, v106, v113
	v_pk_fma_f16 v20, v20, v116, v40
	v_pk_fma_f16 v40, v21, v106, v114
	v_pk_fma_f16 v21, v21, v116, v41
	v_pk_fma_f16 v41, v22, v106, v115
	v_pk_fma_f16 v22, v22, v116, v42
	v_pk_fma_f16 v42, v23, v106, v101
	v_pk_fma_f16 v23, v23, v116, v43
	v_mul_u32_u24_e32 v119, 0x10001, v125
	v_mul_u32_u24_e32 v120, 0x10001, v124
	v_pk_fma_f16 v43, v16, v106, v107
	v_pk_fma_f16 v16, v16, v116, v28
	v_pk_fma_f16 v28, v17, v106, v108
	v_pk_fma_f16 v17, v17, v116, v29
	v_pk_fma_f16 v29, v18, v106, v109
	v_pk_fma_f16 v18, v18, v116, v30
	v_pk_fma_f16 v30, v19, v106, v110
	v_pk_fma_f16 v19, v19, v116, v31
	v_pk_fma_f16 v31, v8, v117, v102
	v_pk_fma_f16 v8, v8, v118, v20
	v_pk_fma_f16 v20, v9, v117, v40
	v_pk_fma_f16 v9, v9, v118, v21
	v_pk_fma_f16 v21, v10, v117, v41
	v_pk_fma_f16 v10, v10, v118, v22
	v_pk_fma_f16 v22, v11, v117, v42
	v_pk_fma_f16 v11, v11, v118, v23
	v_mul_u32_u24_e32 v121, 0x10001, v127
	v_mul_u32_u24_e32 v122, 0x10001, v126
	;; [unrolled: 18-line block ×4, first 2 shown]
	v_pk_fma_f16 v15, v36, v123, v15
	v_pk_fma_f16 v4, v36, v124, v4
	;; [unrolled: 1-line block ×40, first 2 shown]
	s_ashr_i32 s25, s24, 31
	s_wait_loadcnt 0x1
	ds_store_b128 v90, v[56:59]
	s_wait_loadcnt 0x0
	ds_store_b128 v91, v[60:63]
	s_wait_dscnt 0x0
	s_barrier_signal -1
	s_barrier_wait -1
	ds_load_b128 v[52:55], v89 offset:64
	ds_load_2addr_b64 v[48:51], v92 offset1:32
	ds_load_2addr_b64 v[56:59], v92 offset0:64 offset1:96
	ds_load_b128 v[60:63], v89 offset:80
	ds_load_2addr_b64 v[40:43], v92 offset0:128 offset1:160
	ds_load_2addr_b64 v[28:31], v92 offset0:192 offset1:224
	ds_load_2addr_b64 v[20:23], v100 offset1:32
	ds_load_2addr_b64 v[16:19], v100 offset0:64 offset1:96
	ds_load_2addr_b64 v[8:11], v100 offset0:128 offset1:160
	ds_load_2addr_b64 v[0:3], v100 offset0:192 offset1:224
	ds_load_2addr_b64 v[4:7], v99 offset1:32
	ds_load_2addr_b64 v[12:15], v99 offset0:64 offset1:96
	;; [unrolled: 4-line block ×3, first 2 shown]
	s_mul_u64 s[24:25], s[24:25], s[10:11]
	s_delay_alu instid0(SALU_CYCLE_1) | instskip(SKIP_1) | instid1(SALU_CYCLE_1)
	v_lshl_add_u64 v[78:79], s[24:25], 2, v[74:75]
	s_or_b32 s24, s4, 32
	s_ashr_i32 s25, s24, 31
	s_wait_dscnt 0xc
	v_lshrrev_b32_e32 v124, 16, v60
	v_and_b32_e32 v125, 0xffff, v60
	v_dual_lshrrev_b32 v126, 16, v61 :: v_dual_lshrrev_b32 v128, 16, v62
	v_and_b32_e32 v127, 0xffff, v61
	v_and_b32_e32 v129, 0xffff, v62
	;; [unrolled: 1-line block ×3, first 2 shown]
	s_mul_u64 s[24:25], s[24:25], s[10:11]
	v_and_b32_e32 v117, 0xffff, v52
	v_dual_lshrrev_b32 v52, 16, v52 :: v_dual_lshrrev_b32 v122, 16, v55
	v_dual_lshrrev_b32 v118, 16, v53 :: v_dual_lshrrev_b32 v120, 16, v54
	s_delay_alu instid0(VALU_DEP_3) | instskip(NEXT) | instid1(VALU_DEP_3)
	v_mul_u32_u24_e32 v60, 0x10001, v117
	v_mul_u32_u24_e32 v61, 0x10001, v52
	v_and_b32_e32 v119, 0xffff, v53
	v_and_b32_e32 v121, 0xffff, v54
	;; [unrolled: 1-line block ×3, first 2 shown]
	v_lshrrev_b32_e32 v117, 16, v63
	ds_load_2addr_b64 v[52:55], v98 offset0:128 offset1:160
	v_pk_fma_f16 v101, v48, v60, v101
	v_pk_fma_f16 v102, v48, v61, v102
	v_pk_fma_f16 v103, v49, v60, v103
	v_pk_fma_f16 v104, v49, v61, v104
	v_pk_fma_f16 v105, v50, v60, v105
	v_pk_fma_f16 v106, v50, v61, v106
	v_pk_fma_f16 v107, v51, v60, v107
	v_pk_fma_f16 v108, v51, v61, v108
	ds_load_2addr_b64 v[48:51], v98 offset0:192 offset1:224
	s_wait_dscnt 0x0
	s_barrier_signal -1
	s_barrier_wait -1
	v_pk_fma_f16 v109, v56, v60, v109
	v_pk_fma_f16 v110, v56, v61, v110
	;; [unrolled: 1-line block ×8, first 2 shown]
	s_clause 0x1
	global_load_b128 v[56:59], v[78:79], off
	global_load_b128 v[60:63], v[78:79], off offset:512
	v_mul_u32_u24_e32 v119, 0x10001, v119
	v_mul_u32_u24_e32 v118, 0x10001, v118
	;; [unrolled: 1-line block ×3, first 2 shown]
	s_wait_xcnt 0x0
	v_lshl_add_u64 v[78:79], s[24:25], 2, v[74:75]
	s_or_b32 s24, s4, 40
	v_pk_fma_f16 v101, v40, v119, v101
	v_pk_fma_f16 v40, v40, v118, v102
	;; [unrolled: 1-line block ×8, first 2 shown]
	v_mul_u32_u24_e32 v105, 0x10001, v121
	v_mul_u32_u24_e32 v106, 0x10001, v120
	;; [unrolled: 1-line block ×4, first 2 shown]
	v_pk_fma_f16 v109, v28, v119, v109
	v_pk_fma_f16 v111, v29, v119, v111
	v_pk_fma_f16 v113, v30, v119, v113
	v_pk_fma_f16 v115, v31, v119, v115
	v_pk_fma_f16 v28, v28, v118, v110
	v_pk_fma_f16 v29, v29, v118, v112
	v_pk_fma_f16 v30, v30, v118, v114
	v_pk_fma_f16 v31, v31, v118, v116
	v_pk_fma_f16 v101, v20, v105, v101
	v_pk_fma_f16 v20, v20, v106, v40
	v_pk_fma_f16 v40, v21, v105, v102
	v_pk_fma_f16 v21, v21, v106, v41
	v_pk_fma_f16 v41, v22, v105, v103
	v_pk_fma_f16 v22, v22, v106, v42
	v_pk_fma_f16 v42, v23, v105, v104
	v_pk_fma_f16 v23, v23, v106, v43
	v_mul_u32_u24_e32 v120, 0x10001, v125
	v_mul_u32_u24_e32 v121, 0x10001, v124
	v_pk_fma_f16 v43, v16, v105, v109
	v_pk_fma_f16 v16, v16, v106, v28
	v_pk_fma_f16 v28, v17, v105, v111
	v_pk_fma_f16 v17, v17, v106, v29
	v_pk_fma_f16 v29, v18, v105, v113
	v_pk_fma_f16 v18, v18, v106, v30
	v_pk_fma_f16 v30, v19, v105, v115
	v_pk_fma_f16 v19, v19, v106, v31
	v_pk_fma_f16 v31, v8, v107, v101
	v_pk_fma_f16 v8, v8, v108, v20
	v_pk_fma_f16 v20, v9, v107, v40
	v_pk_fma_f16 v9, v9, v108, v21
	v_pk_fma_f16 v21, v10, v107, v41
	v_pk_fma_f16 v10, v10, v108, v22
	v_pk_fma_f16 v22, v11, v107, v42
	v_pk_fma_f16 v11, v11, v108, v23
	v_mul_u32_u24_e32 v122, 0x10001, v127
	v_mul_u32_u24_e32 v123, 0x10001, v126
	;; [unrolled: 18-line block ×3, first 2 shown]
	v_pk_fma_f16 v11, v12, v120, v23
	v_pk_fma_f16 v0, v12, v121, v0
	;; [unrolled: 1-line block ×16, first 2 shown]
	v_mul_u32_u24_e32 v126, 0x10001, v130
	v_pk_fma_f16 v15, v36, v124, v15
	v_pk_fma_f16 v4, v36, v125, v4
	;; [unrolled: 1-line block ×35, first 2 shown]
	s_wait_loadcnt 0x1
	ds_store_b128 v90, v[56:59]
	s_wait_loadcnt 0x0
	ds_store_b128 v91, v[60:63]
	s_wait_dscnt 0x0
	s_barrier_signal -1
	s_barrier_wait -1
	ds_load_b128 v[52:55], v89 offset:96
	v_pk_fma_f16 v112, v49, v117, v1
	v_pk_fma_f16 v113, v50, v126, v13
	;; [unrolled: 1-line block ×5, first 2 shown]
	ds_load_2addr_b64 v[48:51], v92 offset1:32
	ds_load_2addr_b64 v[56:59], v92 offset0:64 offset1:96
	ds_load_b128 v[60:63], v89 offset:112
	ds_load_2addr_b64 v[40:43], v92 offset0:128 offset1:160
	ds_load_2addr_b64 v[28:31], v92 offset0:192 offset1:224
	ds_load_2addr_b64 v[20:23], v100 offset1:32
	ds_load_2addr_b64 v[16:19], v100 offset0:64 offset1:96
	ds_load_2addr_b64 v[8:11], v100 offset0:128 offset1:160
	ds_load_2addr_b64 v[0:3], v100 offset0:192 offset1:224
	ds_load_2addr_b64 v[4:7], v99 offset1:32
	ds_load_2addr_b64 v[12:15], v99 offset0:64 offset1:96
	;; [unrolled: 4-line block ×3, first 2 shown]
	s_ashr_i32 s25, s24, 31
	s_delay_alu instid0(SALU_CYCLE_1)
	s_mul_u64 s[24:25], s[24:25], s[10:11]
	s_wait_dscnt 0xc
	v_lshrrev_b32_e32 v124, 16, v60
	v_and_b32_e32 v125, 0xffff, v60
	v_dual_lshrrev_b32 v126, 16, v61 :: v_dual_lshrrev_b32 v128, 16, v62
	v_and_b32_e32 v127, 0xffff, v61
	v_and_b32_e32 v129, 0xffff, v62
	;; [unrolled: 1-line block ×3, first 2 shown]
	v_dual_lshrrev_b32 v52, 16, v52 :: v_dual_lshrrev_b32 v122, 16, v55
	v_dual_lshrrev_b32 v118, 16, v53 :: v_dual_lshrrev_b32 v120, 16, v54
	s_delay_alu instid0(VALU_DEP_3) | instskip(NEXT) | instid1(VALU_DEP_3)
	v_mul_u32_u24_e32 v60, 0x10001, v117
	v_mul_u32_u24_e32 v61, 0x10001, v52
	v_and_b32_e32 v119, 0xffff, v53
	v_and_b32_e32 v121, 0xffff, v54
	;; [unrolled: 1-line block ×3, first 2 shown]
	v_lshrrev_b32_e32 v117, 16, v63
	v_and_b32_e32 v130, 0xffff, v63
	ds_load_2addr_b64 v[52:55], v98 offset0:128 offset1:160
	v_pk_fma_f16 v101, v48, v60, v101
	v_pk_fma_f16 v102, v48, v61, v102
	;; [unrolled: 1-line block ×8, first 2 shown]
	ds_load_2addr_b64 v[48:51], v98 offset0:192 offset1:224
	s_wait_dscnt 0x0
	s_barrier_signal -1
	s_barrier_wait -1
	v_pk_fma_f16 v109, v56, v60, v109
	v_pk_fma_f16 v110, v56, v61, v110
	;; [unrolled: 1-line block ×8, first 2 shown]
	s_clause 0x1
	global_load_b128 v[56:59], v[78:79], off
	global_load_b128 v[60:63], v[78:79], off offset:512
	v_mul_u32_u24_e32 v119, 0x10001, v119
	v_mul_u32_u24_e32 v118, 0x10001, v118
	;; [unrolled: 1-line block ×3, first 2 shown]
	s_wait_xcnt 0x0
	v_lshl_add_u64 v[78:79], s[24:25], 2, v[74:75]
	s_or_b32 s24, s4, 48
	v_pk_fma_f16 v101, v40, v119, v101
	v_pk_fma_f16 v40, v40, v118, v102
	;; [unrolled: 1-line block ×8, first 2 shown]
	v_mul_u32_u24_e32 v105, 0x10001, v121
	v_mul_u32_u24_e32 v106, 0x10001, v120
	;; [unrolled: 1-line block ×4, first 2 shown]
	v_pk_fma_f16 v109, v28, v119, v109
	v_pk_fma_f16 v111, v29, v119, v111
	v_pk_fma_f16 v113, v30, v119, v113
	v_pk_fma_f16 v115, v31, v119, v115
	v_pk_fma_f16 v28, v28, v118, v110
	v_pk_fma_f16 v29, v29, v118, v112
	v_pk_fma_f16 v30, v30, v118, v114
	v_pk_fma_f16 v31, v31, v118, v116
	v_pk_fma_f16 v101, v20, v105, v101
	v_pk_fma_f16 v20, v20, v106, v40
	v_pk_fma_f16 v40, v21, v105, v102
	v_pk_fma_f16 v21, v21, v106, v41
	v_pk_fma_f16 v41, v22, v105, v103
	v_pk_fma_f16 v22, v22, v106, v42
	v_pk_fma_f16 v42, v23, v105, v104
	v_pk_fma_f16 v23, v23, v106, v43
	v_mul_u32_u24_e32 v120, 0x10001, v125
	v_mul_u32_u24_e32 v121, 0x10001, v124
	v_pk_fma_f16 v43, v16, v105, v109
	v_pk_fma_f16 v16, v16, v106, v28
	v_pk_fma_f16 v28, v17, v105, v111
	v_pk_fma_f16 v17, v17, v106, v29
	v_pk_fma_f16 v29, v18, v105, v113
	v_pk_fma_f16 v18, v18, v106, v30
	v_pk_fma_f16 v30, v19, v105, v115
	v_pk_fma_f16 v19, v19, v106, v31
	v_pk_fma_f16 v31, v8, v107, v101
	v_pk_fma_f16 v8, v8, v108, v20
	v_pk_fma_f16 v20, v9, v107, v40
	v_pk_fma_f16 v9, v9, v108, v21
	v_pk_fma_f16 v21, v10, v107, v41
	v_pk_fma_f16 v10, v10, v108, v22
	v_pk_fma_f16 v22, v11, v107, v42
	v_pk_fma_f16 v11, v11, v108, v23
	v_mul_u32_u24_e32 v122, 0x10001, v127
	v_mul_u32_u24_e32 v123, 0x10001, v126
	;; [unrolled: 18-line block ×3, first 2 shown]
	v_pk_fma_f16 v11, v12, v120, v23
	v_pk_fma_f16 v0, v12, v121, v0
	;; [unrolled: 1-line block ×16, first 2 shown]
	v_mul_u32_u24_e32 v126, 0x10001, v130
	v_pk_fma_f16 v15, v36, v124, v15
	v_pk_fma_f16 v4, v36, v125, v4
	;; [unrolled: 1-line block ×16, first 2 shown]
	s_wait_loadcnt 0x1
	ds_store_b128 v90, v[56:59]
	s_wait_loadcnt 0x0
	ds_store_b128 v91, v[60:63]
	s_wait_dscnt 0x0
	s_barrier_signal -1
	s_barrier_wait -1
	ds_load_b128 v[52:55], v89 offset:128
	v_pk_fma_f16 v11, v32, v122, v11
	v_pk_fma_f16 v0, v32, v123, v0
	;; [unrolled: 1-line block ×24, first 2 shown]
	ds_load_2addr_b64 v[48:51], v92 offset1:32
	ds_load_2addr_b64 v[56:59], v92 offset0:64 offset1:96
	ds_load_b128 v[60:63], v89 offset:144
	ds_load_2addr_b64 v[40:43], v92 offset0:128 offset1:160
	ds_load_2addr_b64 v[28:31], v92 offset0:192 offset1:224
	ds_load_2addr_b64 v[20:23], v100 offset1:32
	ds_load_2addr_b64 v[16:19], v100 offset0:64 offset1:96
	ds_load_2addr_b64 v[8:11], v100 offset0:128 offset1:160
	ds_load_2addr_b64 v[0:3], v100 offset0:192 offset1:224
	ds_load_2addr_b64 v[4:7], v99 offset1:32
	ds_load_2addr_b64 v[12:15], v99 offset0:64 offset1:96
	;; [unrolled: 4-line block ×3, first 2 shown]
	s_wait_dscnt 0xf
	v_and_b32_e32 v117, 0xffff, v52
	v_dual_lshrrev_b32 v52, 16, v52 :: v_dual_lshrrev_b32 v122, 16, v55
	v_dual_lshrrev_b32 v118, 16, v53 :: v_dual_lshrrev_b32 v120, 16, v54
	v_and_b32_e32 v119, 0xffff, v53
	v_and_b32_e32 v121, 0xffff, v54
	s_wait_dscnt 0xc
	v_lshrrev_b32_e32 v124, 16, v60
	v_and_b32_e32 v125, 0xffff, v60
	v_dual_lshrrev_b32 v126, 16, v61 :: v_dual_lshrrev_b32 v128, 16, v62
	v_and_b32_e32 v127, 0xffff, v61
	v_mul_u32_u24_e32 v60, 0x10001, v117
	v_mul_u32_u24_e32 v61, 0x10001, v52
	v_and_b32_e32 v123, 0xffff, v55
	v_and_b32_e32 v129, 0xffff, v62
	v_lshrrev_b32_e32 v117, 16, v63
	v_and_b32_e32 v130, 0xffff, v63
	ds_load_2addr_b64 v[52:55], v98 offset0:128 offset1:160
	v_pk_fma_f16 v101, v48, v60, v101
	v_pk_fma_f16 v102, v48, v61, v102
	;; [unrolled: 1-line block ×8, first 2 shown]
	ds_load_2addr_b64 v[48:51], v98 offset0:192 offset1:224
	s_wait_dscnt 0x0
	s_barrier_signal -1
	s_barrier_wait -1
	v_pk_fma_f16 v109, v56, v60, v109
	v_pk_fma_f16 v110, v56, v61, v110
	;; [unrolled: 1-line block ×8, first 2 shown]
	s_clause 0x1
	global_load_b128 v[56:59], v[78:79], off
	global_load_b128 v[60:63], v[78:79], off offset:512
	v_mul_u32_u24_e32 v119, 0x10001, v119
	v_mul_u32_u24_e32 v118, 0x10001, v118
	;; [unrolled: 1-line block ×3, first 2 shown]
	s_ashr_i32 s25, s24, 31
	s_wait_loadcnt 0x1
	ds_store_b128 v90, v[56:59]
	s_wait_loadcnt 0x0
	ds_store_b128 v91, v[60:63]
	v_pk_fma_f16 v101, v40, v119, v101
	v_pk_fma_f16 v40, v40, v118, v102
	;; [unrolled: 1-line block ×8, first 2 shown]
	v_mul_u32_u24_e32 v105, 0x10001, v121
	v_mul_u32_u24_e32 v106, 0x10001, v120
	;; [unrolled: 1-line block ×4, first 2 shown]
	v_pk_fma_f16 v109, v28, v119, v109
	v_pk_fma_f16 v111, v29, v119, v111
	v_pk_fma_f16 v113, v30, v119, v113
	v_pk_fma_f16 v115, v31, v119, v115
	v_pk_fma_f16 v28, v28, v118, v110
	v_pk_fma_f16 v29, v29, v118, v112
	v_pk_fma_f16 v30, v30, v118, v114
	v_pk_fma_f16 v31, v31, v118, v116
	v_pk_fma_f16 v101, v20, v105, v101
	v_pk_fma_f16 v20, v20, v106, v40
	v_pk_fma_f16 v40, v21, v105, v102
	v_pk_fma_f16 v21, v21, v106, v41
	v_pk_fma_f16 v41, v22, v105, v103
	v_pk_fma_f16 v22, v22, v106, v42
	v_pk_fma_f16 v42, v23, v105, v104
	v_pk_fma_f16 v23, v23, v106, v43
	v_mul_u32_u24_e32 v120, 0x10001, v125
	v_mul_u32_u24_e32 v121, 0x10001, v124
	v_pk_fma_f16 v43, v16, v105, v109
	v_pk_fma_f16 v16, v16, v106, v28
	v_pk_fma_f16 v28, v17, v105, v111
	v_pk_fma_f16 v17, v17, v106, v29
	v_pk_fma_f16 v29, v18, v105, v113
	v_pk_fma_f16 v18, v18, v106, v30
	v_pk_fma_f16 v30, v19, v105, v115
	v_pk_fma_f16 v19, v19, v106, v31
	v_pk_fma_f16 v31, v8, v107, v101
	v_pk_fma_f16 v8, v8, v108, v20
	v_pk_fma_f16 v20, v9, v107, v40
	v_pk_fma_f16 v9, v9, v108, v21
	v_pk_fma_f16 v21, v10, v107, v41
	v_pk_fma_f16 v10, v10, v108, v22
	v_pk_fma_f16 v22, v11, v107, v42
	v_pk_fma_f16 v11, v11, v108, v23
	v_mul_u32_u24_e32 v122, 0x10001, v127
	v_mul_u32_u24_e32 v123, 0x10001, v126
	;; [unrolled: 18-line block ×3, first 2 shown]
	v_pk_fma_f16 v11, v12, v120, v23
	v_pk_fma_f16 v0, v12, v121, v0
	;; [unrolled: 1-line block ×16, first 2 shown]
	v_mul_u32_u24_e32 v126, 0x10001, v130
	v_pk_fma_f16 v15, v36, v124, v15
	v_pk_fma_f16 v4, v36, v125, v4
	;; [unrolled: 1-line block ×16, first 2 shown]
	s_wait_dscnt 0x0
	s_barrier_signal -1
	s_barrier_wait -1
	ds_load_b128 v[52:55], v89 offset:160
	v_pk_fma_f16 v11, v32, v122, v11
	v_pk_fma_f16 v0, v32, v123, v0
	;; [unrolled: 1-line block ×24, first 2 shown]
	ds_load_2addr_b64 v[48:51], v92 offset1:32
	ds_load_2addr_b64 v[56:59], v92 offset0:64 offset1:96
	ds_load_b128 v[60:63], v89 offset:176
	ds_load_2addr_b64 v[40:43], v92 offset0:128 offset1:160
	ds_load_2addr_b64 v[28:31], v92 offset0:192 offset1:224
	ds_load_2addr_b64 v[20:23], v100 offset1:32
	ds_load_2addr_b64 v[16:19], v100 offset0:64 offset1:96
	ds_load_2addr_b64 v[8:11], v100 offset0:128 offset1:160
	ds_load_2addr_b64 v[0:3], v100 offset0:192 offset1:224
	ds_load_2addr_b64 v[4:7], v99 offset1:32
	ds_load_2addr_b64 v[12:15], v99 offset0:64 offset1:96
	;; [unrolled: 4-line block ×3, first 2 shown]
	s_wait_dscnt 0xf
	v_and_b32_e32 v117, 0xffff, v52
	v_lshrrev_b32_e32 v52, 16, v52
	s_mul_u64 s[24:25], s[24:25], s[10:11]
	v_lshrrev_b32_e32 v122, 16, v55
	v_lshl_add_u64 v[78:79], s[24:25], 2, v[74:75]
	v_dual_lshrrev_b32 v118, 16, v53 :: v_dual_lshrrev_b32 v120, 16, v54
	s_wait_dscnt 0xc
	v_lshrrev_b32_e32 v124, 16, v60
	v_and_b32_e32 v125, 0xffff, v60
	v_dual_lshrrev_b32 v126, 16, v61 :: v_dual_lshrrev_b32 v128, 16, v62
	v_and_b32_e32 v127, 0xffff, v61
	v_mul_u32_u24_e32 v60, 0x10001, v117
	v_mul_u32_u24_e32 v61, 0x10001, v52
	v_and_b32_e32 v119, 0xffff, v53
	v_and_b32_e32 v121, 0xffff, v54
	;; [unrolled: 1-line block ×4, first 2 shown]
	v_lshrrev_b32_e32 v117, 16, v63
	v_and_b32_e32 v130, 0xffff, v63
	ds_load_2addr_b64 v[52:55], v98 offset0:128 offset1:160
	v_pk_fma_f16 v101, v48, v60, v101
	v_pk_fma_f16 v102, v48, v61, v102
	;; [unrolled: 1-line block ×8, first 2 shown]
	ds_load_2addr_b64 v[48:51], v98 offset0:192 offset1:224
	s_wait_dscnt 0x0
	s_barrier_signal -1
	s_barrier_wait -1
	v_pk_fma_f16 v109, v56, v60, v109
	v_pk_fma_f16 v110, v56, v61, v110
	;; [unrolled: 1-line block ×8, first 2 shown]
	s_clause 0x1
	global_load_b128 v[56:59], v[78:79], off
	global_load_b128 v[60:63], v[78:79], off offset:512
	s_wait_xcnt 0x0
	v_mul_u32_u24_e32 v78, 0x10001, v119
	v_mul_u32_u24_e32 v79, 0x10001, v118
	;; [unrolled: 1-line block ×5, first 2 shown]
	v_pk_fma_f16 v101, v40, v78, v101
	v_pk_fma_f16 v102, v40, v79, v102
	;; [unrolled: 1-line block ×8, first 2 shown]
	v_mul_u32_u24_e32 v107, 0x10001, v121
	v_mul_u32_u24_e32 v108, 0x10001, v120
	v_pk_fma_f16 v109, v28, v78, v109
	v_pk_fma_f16 v111, v29, v78, v111
	v_pk_fma_f16 v113, v30, v78, v113
	v_pk_fma_f16 v78, v31, v78, v115
	v_pk_fma_f16 v28, v28, v79, v110
	v_pk_fma_f16 v29, v29, v79, v112
	v_pk_fma_f16 v30, v30, v79, v114
	v_pk_fma_f16 v31, v31, v79, v116
	v_pk_fma_f16 v79, v20, v107, v101
	v_pk_fma_f16 v20, v20, v108, v102
	v_pk_fma_f16 v101, v21, v107, v103
	v_pk_fma_f16 v21, v21, v108, v104
	v_pk_fma_f16 v102, v22, v107, v105
	v_pk_fma_f16 v22, v22, v108, v42
	v_pk_fma_f16 v42, v23, v107, v106
	v_pk_fma_f16 v23, v23, v108, v43
	v_pk_fma_f16 v43, v16, v107, v109
	v_pk_fma_f16 v16, v16, v108, v28
	v_pk_fma_f16 v28, v17, v107, v111
	v_pk_fma_f16 v17, v17, v108, v29
	v_pk_fma_f16 v29, v18, v107, v113
	v_pk_fma_f16 v18, v18, v108, v30
	v_pk_fma_f16 v30, v19, v107, v78
	v_pk_fma_f16 v19, v19, v108, v31
	v_mul_u32_u24_e32 v120, 0x10001, v125
	v_mul_u32_u24_e32 v121, 0x10001, v124
	v_pk_fma_f16 v31, v8, v118, v79
	v_pk_fma_f16 v8, v8, v119, v20
	;; [unrolled: 1-line block ×16, first 2 shown]
	v_mul_u32_u24_e32 v123, 0x10001, v126
	v_pk_fma_f16 v16, v4, v120, v31
	v_pk_fma_f16 v4, v4, v121, v8
	;; [unrolled: 1-line block ×24, first 2 shown]
	s_wait_loadcnt 0x1
	ds_store_b128 v90, v[56:59]
	s_wait_loadcnt 0x0
	ds_store_b128 v91, v[60:63]
	s_wait_dscnt 0x0
	s_barrier_signal -1
	s_barrier_wait -1
	ds_load_b128 v[32:35], v89 offset:192
	v_mul_u32_u24_e32 v125, 0x10001, v128
	v_pk_fma_f16 v4, v24, v123, v4
	v_pk_fma_f16 v5, v25, v123, v5
	v_pk_fma_f16 v6, v26, v123, v6
	v_pk_fma_f16 v7, v27, v123, v7
	v_mul_u32_u24_e32 v124, 0x10001, v129
	v_pk_fma_f16 v15, v24, v122, v16
	v_pk_fma_f16 v8, v25, v122, v8
	v_pk_fma_f16 v9, v26, v122, v9
	v_pk_fma_f16 v10, v27, v122, v10
	;; [unrolled: 5-line block ×3, first 2 shown]
	v_pk_fma_f16 v0, v44, v125, v0
	v_pk_fma_f16 v1, v45, v125, v1
	;; [unrolled: 1-line block ×4, first 2 shown]
	v_mul_u32_u24_e32 v126, 0x10001, v130
	v_pk_fma_f16 v15, v36, v124, v15
	v_pk_fma_f16 v8, v37, v124, v8
	;; [unrolled: 1-line block ×8, first 2 shown]
	s_or_b32 s24, s4, 56
	v_pk_fma_f16 v79, v52, v117, v4
	v_pk_fma_f16 v106, v53, v117, v5
	;; [unrolled: 1-line block ×8, first 2 shown]
	s_wait_dscnt 0x0
	v_and_b32_e32 v117, 0xffff, v32
	v_lshrrev_b32_e32 v32, 16, v32
	s_ashr_i32 s25, s24, 31
	v_pk_fma_f16 v78, v52, v126, v15
	v_pk_fma_f16 v101, v53, v126, v8
	;; [unrolled: 1-line block ×8, first 2 shown]
	ds_load_2addr_b64 v[36:39], v92 offset1:32
	ds_load_2addr_b64 v[42:45], v92 offset0:64 offset1:96
	ds_load_b128 v[46:49], v89 offset:208
	ds_load_2addr_b64 v[50:53], v92 offset0:128 offset1:160
	ds_load_2addr_b64 v[28:31], v92 offset0:192 offset1:224
	ds_load_2addr_b64 v[20:23], v100 offset1:32
	ds_load_2addr_b64 v[16:19], v100 offset0:64 offset1:96
	ds_load_2addr_b64 v[8:11], v100 offset0:128 offset1:160
	ds_load_2addr_b64 v[0:3], v100 offset0:192 offset1:224
	ds_load_2addr_b64 v[4:7], v99 offset1:32
	ds_load_2addr_b64 v[12:15], v99 offset0:64 offset1:96
	;; [unrolled: 4-line block ×3, first 2 shown]
	s_mul_u64 s[24:25], s[24:25], s[10:11]
	v_mul_u32_u24_e32 v117, 0x10001, v117
	v_lshl_add_u64 v[40:41], s[24:25], 2, v[74:75]
	v_mul_u32_u24_e32 v130, 0x10001, v32
	v_dual_lshrrev_b32 v118, 16, v33 :: v_dual_lshrrev_b32 v120, 16, v34
	v_and_b32_e32 v119, 0xffff, v33
	v_and_b32_e32 v121, 0xffff, v34
	s_wait_dscnt 0xc
	v_dual_lshrrev_b32 v122, 16, v35 :: v_dual_lshrrev_b32 v124, 16, v46
	v_and_b32_e32 v123, 0xffff, v35
	v_and_b32_e32 v125, 0xffff, v46
	v_dual_lshrrev_b32 v126, 16, v47 :: v_dual_lshrrev_b32 v128, 16, v48
	v_and_b32_e32 v127, 0xffff, v47
	v_and_b32_e32 v129, 0xffff, v48
	v_lshrrev_b32_e32 v131, 16, v49
	v_and_b32_e32 v132, 0xffff, v49
	ds_load_2addr_b64 v[32:35], v98 offset0:128 offset1:160
	v_pk_fma_f16 v78, v36, v117, v78
	v_pk_fma_f16 v79, v36, v130, v79
	v_pk_fma_f16 v101, v37, v117, v101
	v_pk_fma_f16 v106, v37, v130, v106
	v_pk_fma_f16 v107, v38, v117, v107
	v_pk_fma_f16 v108, v38, v130, v108
	v_pk_fma_f16 v109, v39, v117, v109
	v_pk_fma_f16 v110, v39, v130, v110
	ds_load_2addr_b64 v[46:49], v98 offset0:192 offset1:224
	s_wait_dscnt 0x0
	s_barrier_signal -1
	s_barrier_wait -1
	v_pk_fma_f16 v111, v42, v117, v111
	v_pk_fma_f16 v112, v42, v130, v112
	;; [unrolled: 1-line block ×4, first 2 shown]
	s_clause 0x1
	global_load_b128 v[36:39], v[40:41], off
	global_load_b128 v[40:43], v[40:41], off offset:512
	v_pk_fma_f16 v62, v44, v117, v62
	v_pk_fma_f16 v44, v44, v130, v63
	;; [unrolled: 1-line block ×4, first 2 shown]
	v_mul_u32_u24_e32 v115, 0x10001, v119
	v_mul_u32_u24_e32 v116, 0x10001, v118
	v_mul_u32_u24_e32 v117, 0x10001, v121
	v_mul_u32_u24_e32 v118, 0x10001, v120
	v_mul_u32_u24_e32 v119, 0x10001, v123
	v_pk_fma_f16 v78, v50, v115, v78
	v_pk_fma_f16 v50, v50, v116, v79
	v_pk_fma_f16 v79, v51, v115, v101
	v_pk_fma_f16 v51, v51, v116, v106
	v_pk_fma_f16 v101, v52, v115, v107
	v_pk_fma_f16 v52, v52, v116, v108
	v_pk_fma_f16 v106, v53, v115, v109
	v_pk_fma_f16 v53, v53, v116, v110
	v_pk_fma_f16 v107, v28, v115, v111
	v_pk_fma_f16 v108, v29, v115, v113
	v_pk_fma_f16 v62, v30, v115, v62
	v_pk_fma_f16 v63, v31, v115, v63
	v_pk_fma_f16 v28, v28, v116, v112
	v_pk_fma_f16 v29, v29, v116, v114
	v_pk_fma_f16 v30, v30, v116, v44
	v_pk_fma_f16 v31, v31, v116, v45
	v_mul_u32_u24_e32 v120, 0x10001, v122
	v_pk_fma_f16 v44, v20, v117, v78
	v_pk_fma_f16 v20, v20, v118, v50
	;; [unrolled: 1-line block ×16, first 2 shown]
	v_mul_u32_u24_e32 v121, 0x10001, v125
	v_mul_u32_u24_e32 v122, 0x10001, v124
	v_pk_fma_f16 v31, v8, v119, v44
	v_pk_fma_f16 v8, v8, v120, v20
	;; [unrolled: 1-line block ×16, first 2 shown]
	s_wait_loadcnt 0x1
	ds_store_b128 v90, v[36:39]
	s_wait_loadcnt 0x0
	ds_store_b128 v91, v[40:43]
	s_wait_dscnt 0x0
	s_barrier_signal -1
	s_barrier_wait -1
	ds_load_b128 v[36:39], v89 offset:224
	v_mul_u32_u24_e32 v123, 0x10001, v127
	v_mul_u32_u24_e32 v124, 0x10001, v126
	v_pk_fma_f16 v16, v4, v121, v31
	v_pk_fma_f16 v4, v4, v122, v8
	v_pk_fma_f16 v8, v5, v121, v20
	v_pk_fma_f16 v5, v5, v122, v9
	v_pk_fma_f16 v9, v6, v121, v21
	v_pk_fma_f16 v6, v6, v122, v10
	v_pk_fma_f16 v10, v7, v121, v22
	v_pk_fma_f16 v7, v7, v122, v11
	v_pk_fma_f16 v11, v12, v121, v23
	v_pk_fma_f16 v0, v12, v122, v0
	v_pk_fma_f16 v12, v13, v121, v28
	v_pk_fma_f16 v1, v13, v122, v1
	v_pk_fma_f16 v13, v14, v121, v29
	v_pk_fma_f16 v2, v14, v122, v2
	v_pk_fma_f16 v14, v15, v121, v30
	v_pk_fma_f16 v3, v15, v122, v3
	v_mul_u32_u24_e32 v125, 0x10001, v129
	v_mul_u32_u24_e32 v126, 0x10001, v128
	v_pk_fma_f16 v15, v24, v123, v16
	v_pk_fma_f16 v4, v24, v124, v4
	v_pk_fma_f16 v8, v25, v123, v8
	v_pk_fma_f16 v5, v25, v124, v5
	v_pk_fma_f16 v9, v26, v123, v9
	v_pk_fma_f16 v6, v26, v124, v6
	v_pk_fma_f16 v10, v27, v123, v10
	v_pk_fma_f16 v7, v27, v124, v7
	v_pk_fma_f16 v11, v54, v123, v11
	v_pk_fma_f16 v0, v54, v124, v0
	v_pk_fma_f16 v12, v55, v123, v12
	v_pk_fma_f16 v1, v55, v124, v1
	v_pk_fma_f16 v13, v56, v123, v13
	v_pk_fma_f16 v2, v56, v124, v2
	v_pk_fma_f16 v14, v57, v123, v14
	v_pk_fma_f16 v3, v57, v124, v3
	;; [unrolled: 18-line block ×3, first 2 shown]
	v_pk_fma_f16 v78, v32, v127, v15
	v_pk_fma_f16 v79, v32, v128, v4
	;; [unrolled: 1-line block ×16, first 2 shown]
	ds_load_2addr_b64 v[4:7], v92 offset1:32
	ds_load_2addr_b64 v[0:3], v92 offset0:64 offset1:96
	ds_load_b128 v[32:35], v89 offset:240
	ds_load_2addr_b64 v[12:15], v92 offset0:128 offset1:160
	ds_load_2addr_b64 v[8:11], v92 offset0:192 offset1:224
	ds_load_2addr_b64 v[20:23], v100 offset1:32
	ds_load_2addr_b64 v[16:19], v100 offset0:64 offset1:96
	ds_load_2addr_b64 v[28:31], v100 offset0:128 offset1:160
	ds_load_2addr_b64 v[24:27], v100 offset0:192 offset1:224
	ds_load_2addr_b64 v[40:43], v99 offset1:32
	ds_load_2addr_b64 v[44:47], v99 offset0:64 offset1:96
	;; [unrolled: 4-line block ×3, first 2 shown]
	ds_load_2addr_b64 v[100:103], v98 offset0:128 offset1:160
	s_wait_dscnt 0x10
	v_and_b32_e32 v99, 0xffff, v36
	v_dual_lshrrev_b32 v36, 16, v36 :: v_dual_lshrrev_b32 v118, 16, v37
	v_lshrrev_b32_e32 v119, 16, v38
	v_and_b32_e32 v37, 0xffff, v37
	v_and_b32_e32 v120, 0xffff, v39
	s_wait_dscnt 0xd
	v_dual_lshrrev_b32 v39, 16, v39 :: v_dual_lshrrev_b32 v121, 16, v32
	v_and_b32_e32 v122, 0xffff, v32
	v_dual_lshrrev_b32 v123, 16, v33 :: v_dual_lshrrev_b32 v125, 16, v34
	v_and_b32_e32 v124, 0xffff, v33
	v_and_b32_e32 v126, 0xffff, v34
	v_lshrrev_b32_e32 v127, 16, v35
	v_and_b32_e32 v128, 0xffff, v35
	ds_load_2addr_b64 v[32:35], v98 offset0:192 offset1:224
	v_mul_u32_u24_e32 v98, 0x10001, v99
	v_mul_u32_u24_e32 v36, 0x10001, v36
	v_and_b32_e32 v38, 0xffff, v38
	v_mul_u32_u24_e32 v37, 0x10001, v37
	v_mul_u32_u24_e32 v99, 0x10001, v118
	v_pk_fma_f16 v78, v4, v98, v78
	v_pk_fma_f16 v4, v4, v36, v79
	;; [unrolled: 1-line block ×16, first 2 shown]
	v_mul_u32_u24_e32 v38, 0x10001, v38
	v_mul_u32_u24_e32 v118, 0x10001, v119
	s_wait_dscnt 0xd
	v_pk_fma_f16 v36, v12, v37, v78
	v_pk_fma_f16 v4, v12, v99, v4
	;; [unrolled: 1-line block ×8, first 2 shown]
	s_wait_dscnt 0xc
	v_pk_fma_f16 v15, v8, v37, v106
	v_pk_fma_f16 v78, v9, v37, v107
	;; [unrolled: 1-line block ×8, first 2 shown]
	v_mul_u32_u24_e32 v119, 0x10001, v120
	v_mul_u32_u24_e32 v39, 0x10001, v39
	s_wait_dscnt 0xb
	v_pk_fma_f16 v8, v20, v38, v36
	v_pk_fma_f16 v4, v20, v118, v4
	v_pk_fma_f16 v9, v21, v38, v12
	v_pk_fma_f16 v5, v21, v118, v5
	v_pk_fma_f16 v10, v22, v38, v13
	v_pk_fma_f16 v6, v22, v118, v6
	v_pk_fma_f16 v11, v23, v38, v14
	v_pk_fma_f16 v7, v23, v118, v7
	s_wait_dscnt 0xa
	v_pk_fma_f16 v12, v16, v38, v15
	v_pk_fma_f16 v0, v16, v118, v0
	;; [unrolled: 1-line block ×8, first 2 shown]
	s_wait_dscnt 0x0
	s_barrier_signal -1
	s_barrier_wait -1
	s_load_b32 s5, s[8:9], 0x4
	v_mul_u32_u24_e32 v120, 0x10001, v122
	v_mul_u32_u24_e32 v121, 0x10001, v121
	v_pk_fma_f16 v8, v28, v119, v8
	v_pk_fma_f16 v4, v28, v39, v4
	v_pk_fma_f16 v9, v29, v119, v9
	v_pk_fma_f16 v5, v29, v39, v5
	v_pk_fma_f16 v10, v30, v119, v10
	v_pk_fma_f16 v6, v30, v39, v6
	v_pk_fma_f16 v11, v31, v119, v11
	v_pk_fma_f16 v7, v31, v39, v7
	v_pk_fma_f16 v12, v24, v119, v12
	v_pk_fma_f16 v0, v24, v39, v0
	v_pk_fma_f16 v13, v25, v119, v13
	v_pk_fma_f16 v1, v25, v39, v1
	v_pk_fma_f16 v14, v26, v119, v14
	v_pk_fma_f16 v2, v26, v39, v2
	v_pk_fma_f16 v15, v27, v119, v15
	v_pk_fma_f16 v3, v27, v39, v3
	v_mul_u32_u24_e32 v122, 0x10001, v124
	v_mul_u32_u24_e32 v123, 0x10001, v123
	v_pk_fma_f16 v8, v40, v120, v8
	v_pk_fma_f16 v4, v40, v121, v4
	v_pk_fma_f16 v9, v41, v120, v9
	v_pk_fma_f16 v5, v41, v121, v5
	v_pk_fma_f16 v10, v42, v120, v10
	v_pk_fma_f16 v6, v42, v121, v6
	v_pk_fma_f16 v11, v43, v120, v11
	v_pk_fma_f16 v7, v43, v121, v7
	v_pk_fma_f16 v12, v44, v120, v12
	v_pk_fma_f16 v0, v44, v121, v0
	v_pk_fma_f16 v13, v45, v120, v13
	v_pk_fma_f16 v1, v45, v121, v1
	v_pk_fma_f16 v14, v46, v120, v14
	v_pk_fma_f16 v2, v46, v121, v2
	v_pk_fma_f16 v15, v47, v120, v15
	v_pk_fma_f16 v3, v47, v121, v3
	;; [unrolled: 18-line block ×4, first 2 shown]
	s_wait_kmcnt 0x0
	s_lshl_b32 s5, s5, 6
	v_pk_fma_f16 v60, v100, v126, v8
	v_pk_fma_f16 v62, v100, v127, v4
	;; [unrolled: 1-line block ×16, first 2 shown]
	s_add_co_i32 s4, s5, s4
	s_delay_alu instid0(SALU_CYCLE_1)
	s_cmp_ge_i32 s4, s28
	s_cbranch_scc1 .LBB26_31
; %bb.30:                               ;   in Loop: Header=BB26_13 Depth=1
	v_dual_mov_b32 v23, v76 :: v_dual_mov_b32 v22, v77
	s_branch .LBB26_13
.LBB26_31:
	v_mov_b32_e32 v0, v83
.LBB26_32:
	v_cmp_lt_i32_e32 vcc_lo, v97, v84
	s_cmp_lg_u64 s[12:13], 0
	s_cselect_b32 s3, -1, 0
	s_cmp_eq_u32 s20, 0
	v_cndmask_b32_e32 v1, v0, v97, vcc_lo
	v_cmp_lt_i32_e32 vcc_lo, v93, v84
	s_cselect_b32 s4, -1, 0
	s_delay_alu instid0(SALU_CYCLE_1) | instskip(NEXT) | instid1(VALU_DEP_2)
	s_and_b32 s3, s4, s3
	v_lshlrev_b32_e32 v1, 2, v1
	ds_bpermute_b32 v2, v1, v66
	ds_bpermute_b32 v3, v1, v67
	v_cndmask_b32_e32 v1, v0, v93, vcc_lo
	v_cmp_lt_i32_e32 vcc_lo, v94, v84
	s_delay_alu instid0(VALU_DEP_2)
	v_lshlrev_b32_e32 v1, 2, v1
	s_wait_dscnt 0x0
	v_pk_add_f32 v[2:3], v[66:67], v[2:3]
	ds_bpermute_b32 v4, v1, v2
	ds_bpermute_b32 v5, v1, v3
	v_cndmask_b32_e32 v1, v0, v94, vcc_lo
	v_cmp_lt_i32_e32 vcc_lo, v95, v84
	s_delay_alu instid0(VALU_DEP_2)
	v_lshlrev_b32_e32 v1, 2, v1
	s_wait_dscnt 0x0
	v_pk_add_f32 v[2:3], v[2:3], v[4:5]
	ds_bpermute_b32 v4, v1, v2
	ds_bpermute_b32 v5, v1, v3
	v_cndmask_b32_e32 v1, v0, v95, vcc_lo
	v_cmp_lt_i32_e32 vcc_lo, v96, v84
	s_delay_alu instid0(VALU_DEP_2) | instskip(SKIP_1) | instid1(VALU_DEP_1)
	v_dual_cndmask_b32 v0, v0, v96 :: v_dual_lshlrev_b32 v1, 2, v1
	s_and_b32 vcc_lo, exec_lo, s3
	v_lshlrev_b32_e32 v6, 2, v0
	s_wait_dscnt 0x0
	v_pk_add_f32 v[2:3], v[2:3], v[4:5]
	ds_bpermute_b32 v4, v1, v2
	ds_bpermute_b32 v5, v1, v3
	s_wait_dscnt 0x0
	v_pk_add_f32 v[0:1], v[2:3], v[4:5]
	ds_bpermute_b32 v2, v6, v0
	ds_bpermute_b32 v3, v6, v1
	s_wait_dscnt 0x0
	v_pk_add_f32 v[0:1], v[0:1], v[2:3]
	v_add_nc_u32_e32 v2, s33, v64
	s_cbranch_vccz .LBB26_34
; %bb.33:
	s_delay_alu instid0(VALU_DEP_1) | instskip(NEXT) | instid1(VALU_DEP_1)
	v_dual_ashrrev_i32 v3, 31, v2 :: v_dual_max_num_f32 v7, v77, v77
	v_lshl_add_u64 v[4:5], v[2:3], 2, s[12:13]
	v_max_num_f32_e32 v3, v76, v76
	global_load_b64 v[4:5], v[4:5], off
	s_wait_loadcnt 0x0
	v_dual_max_num_f32 v6, v4, v4 :: v_dual_max_num_f32 v22, v5, v5
	s_delay_alu instid0(VALU_DEP_1) | instskip(NEXT) | instid1(VALU_DEP_1)
	v_max_num_f32_e32 v6, v3, v6
	v_sub_f32_e32 v3, v76, v6
	s_delay_alu instid0(VALU_DEP_3) | instskip(SKIP_1) | instid1(VALU_DEP_3)
	v_max_num_f32_e32 v7, v7, v22
	v_sub_f32_e32 v22, v4, v6
	v_mul_f32_e32 v4, 0x3fb8aa3b, v3
	s_delay_alu instid0(VALU_DEP_3) | instskip(NEXT) | instid1(VALU_DEP_3)
	v_sub_f32_e32 v23, v77, v7
	v_dual_sub_f32 v24, v5, v7 :: v_dual_mul_f32 v5, 0x3fb8aa3b, v22
	v_cmp_ngt_f32_e32 vcc_lo, 0xc2ce8ed0, v3
	s_delay_alu instid0(VALU_DEP_4) | instskip(SKIP_1) | instid1(VALU_DEP_4)
	v_fma_f32 v27, 0x3fb8aa3b, v3, -v4
	v_rndne_f32_e32 v28, v4
	v_dual_mul_f32 v25, 0x3fb8aa3b, v23 :: v_dual_mul_f32 v26, 0x3fb8aa3b, v24
	v_fma_f32 v29, 0x3fb8aa3b, v22, -v5
	v_rndne_f32_e32 v30, v5
	s_delay_alu instid0(VALU_DEP_4) | instskip(NEXT) | instid1(VALU_DEP_4)
	v_sub_f32_e32 v4, v4, v28
	v_rndne_f32_e32 v32, v25
	v_rndne_f32_e32 v34, v26
	v_fmac_f32_e32 v27, 0x32a5705f, v3
	v_fma_f32 v31, 0x3fb8aa3b, v23, -v25
	v_fma_f32 v33, 0x3fb8aa3b, v24, -v26
	v_mov_b64_e32 v[76:77], v[6:7]
	v_dual_sub_f32 v26, v26, v34 :: v_dual_sub_f32 v25, v25, v32
	v_add_f32_e32 v4, v4, v27
	v_cvt_i32_f32_e32 v27, v28
	v_fmac_f32_e32 v33, 0x32a5705f, v24
	v_fmac_f32_e32 v31, 0x32a5705f, v23
	v_cvt_i32_f32_e32 v28, v32
	v_exp_f32_e32 v4, v4
	s_delay_alu instid0(VALU_DEP_3) | instskip(NEXT) | instid1(TRANS32_DEP_1)
	v_add_f32_e32 v26, v26, v33
	v_ldexp_f32 v4, v4, v27
	v_fmac_f32_e32 v29, 0x32a5705f, v22
	s_delay_alu instid0(VALU_DEP_3) | instskip(SKIP_1) | instid1(VALU_DEP_3)
	v_exp_f32_e32 v26, v26
	v_cvt_i32_f32_e32 v27, v34
	v_dual_cndmask_b32 v4, 0, v4 :: v_dual_add_f32 v25, v25, v31
	v_cmp_ngt_f32_e32 vcc_lo, 0xc2ce8ed0, v23
	s_delay_alu instid0(TRANS32_DEP_1) | instid1(VALU_DEP_3)
	v_ldexp_f32 v26, v26, v27
	s_delay_alu instid0(VALU_DEP_3) | instskip(SKIP_1) | instid1(TRANS32_DEP_1)
	v_exp_f32_e32 v25, v25
	v_nop
	v_ldexp_f32 v25, v25, v28
	s_delay_alu instid0(VALU_DEP_1) | instskip(NEXT) | instid1(VALU_DEP_1)
	v_dual_sub_f32 v5, v5, v30 :: v_dual_cndmask_b32 v25, 0, v25, vcc_lo
	v_add_f32_e32 v5, v5, v29
	v_cmp_nlt_f32_e32 vcc_lo, 0x42b17218, v3
	v_cvt_i32_f32_e32 v29, v30
	s_delay_alu instid0(VALU_DEP_3) | instskip(SKIP_2) | instid1(VALU_DEP_2)
	v_exp_f32_e32 v5, v5
	v_cndmask_b32_e32 v4, 0x7f800000, v4, vcc_lo
	v_cmp_nlt_f32_e32 vcc_lo, 0x42b17218, v23
	v_cvt_f16_f32_e32 v23, v4
	s_delay_alu instid0(TRANS32_DEP_1) | instskip(SKIP_2) | instid1(VALU_DEP_4)
	v_ldexp_f32 v3, v5, v29
	v_cndmask_b32_e32 v5, 0x7f800000, v25, vcc_lo
	v_cmp_ngt_f32_e32 vcc_lo, 0xc2ce8ed0, v22
	v_and_b32_e32 v27, 0xffff, v23
	s_delay_alu instid0(VALU_DEP_4)
	v_cndmask_b32_e32 v3, 0, v3, vcc_lo
	v_cmp_ngt_f32_e32 vcc_lo, 0xc2ce8ed0, v24
	v_cndmask_b32_e32 v25, 0, v26, vcc_lo
	v_cvt_f16_f32_e32 v26, v5
	v_cmp_nlt_f32_e32 vcc_lo, 0x42b17218, v22
	v_cndmask_b32_e32 v22, 0x7f800000, v3, vcc_lo
	v_cmp_nlt_f32_e32 vcc_lo, 0x42b17218, v24
	s_delay_alu instid0(VALU_DEP_4) | instskip(SKIP_2) | instid1(VALU_DEP_3)
	v_and_b32_e32 v3, 0xffff, v26
	v_mul_u32_u24_e32 v24, 0x10001, v27
	v_cndmask_b32_e32 v23, 0x7f800000, v25, vcc_lo
	v_mul_u32_u24_e32 v3, 0x10001, v3
	s_delay_alu instid0(VALU_DEP_3)
	v_pk_mul_f16 v60, v60, v24
	v_pk_mul_f16 v21, v21, v24
	;; [unrolled: 1-line block ×3, first 2 shown]
	v_pk_fma_f32 v[0:1], v[0:1], v[4:5], v[22:23]
	v_pk_mul_f16 v19, v19, v24
	v_pk_mul_f16 v18, v18, v24
	;; [unrolled: 1-line block ×13, first 2 shown]
.LBB26_34:
	s_mov_b32 s3, exec_lo
	v_cmpx_gt_i32_e64 s22, v80
	s_cbranch_execz .LBB26_43
; %bb.35:
	s_load_b32 s0, s[0:1], 0xd4
	v_mov_b32_e32 v4, 1.0
	s_wait_kmcnt 0x0
	s_cmp_lg_u32 s0, 1
	s_cselect_b32 s3, -1, 0
	s_cmp_eq_u32 s0, 1
	s_cselect_b32 s1, -1, 0
	s_and_b32 vcc_lo, exec_lo, s3
	s_cbranch_vccnz .LBB26_37
; %bb.36:
	v_div_scale_f32 v3, null, v0, v0, 1.0
	s_delay_alu instid0(VALU_DEP_1) | instskip(SKIP_1) | instid1(TRANS32_DEP_1)
	v_rcp_f32_e32 v4, v3
	v_nop
	v_fma_f32 v5, -v3, v4, 1.0
	s_delay_alu instid0(VALU_DEP_1) | instskip(SKIP_1) | instid1(VALU_DEP_1)
	v_fmac_f32_e32 v4, v5, v4
	v_div_scale_f32 v5, vcc_lo, 1.0, v0, 1.0
	v_mul_f32_e32 v6, v5, v4
	s_delay_alu instid0(VALU_DEP_1) | instskip(NEXT) | instid1(VALU_DEP_1)
	v_fma_f32 v7, -v3, v6, v5
	v_fmac_f32_e32 v6, v7, v4
	s_delay_alu instid0(VALU_DEP_1) | instskip(NEXT) | instid1(VALU_DEP_1)
	v_fma_f32 v3, -v3, v6, v5
	v_div_fmas_f32 v3, v3, v4, v6
	s_delay_alu instid0(VALU_DEP_1)
	v_div_fixup_f32 v4, v3, v0, 1.0
.LBB26_37:
	v_mad_u32 v3, s2, s22, v80
	v_dual_mov_b32 v7, 0 :: v_dual_lshrrev_b32 v6, 16, v21
	v_lshrrev_b32_e32 v5, 16, v60
	v_cvt_f32_f16_e32 v24, v21
	v_lshrrev_b32_e32 v21, 16, v20
	s_delay_alu instid0(VALU_DEP_4)
	v_cvt_f32_f16_e32 v25, v6
	v_cvt_f32_f16_e32 v26, v19
	;; [unrolled: 1-line block ×5, first 2 shown]
	v_mad_u32 v2, v3, s23, v2
	v_dual_lshrrev_b32 v3, 16, v19 :: v_dual_lshrrev_b32 v19, 16, v18
	v_dual_lshrrev_b32 v18, 16, v17 :: v_dual_lshrrev_b32 v17, 16, v16
	v_dual_mov_b32 v37, v7 :: v_dual_lshrrev_b32 v16, 16, v15
	v_cvt_f32_f16_e32 v22, v60
	v_cvt_f32_f16_e32 v23, v5
	;; [unrolled: 1-line block ×4, first 2 shown]
	v_mad_u32 v2, s0, v2, s20
	v_cvt_f32_f16_e32 v27, v3
	v_cvt_f32_f16_e32 v29, v19
	;; [unrolled: 1-line block ×3, first 2 shown]
	v_cmp_eq_u32_e32 vcc_lo, 0, v65
	v_cvt_f32_f16_e32 v34, v15
	v_cvt_f32_f16_e32 v33, v17
	;; [unrolled: 1-line block ×3, first 2 shown]
	v_pk_mul_f32 v[16:17], v[4:5], v[22:23] op_sel_hi:[0,1]
	v_pk_mul_f32 v[18:19], v[4:5], v[24:25] op_sel_hi:[0,1]
	;; [unrolled: 1-line block ×3, first 2 shown]
	v_lshl_add_u32 v6, v2, 9, v81
	v_mov_b32_e32 v39, v7
	v_pk_mul_f32 v[22:23], v[4:5], v[26:27] op_sel_hi:[0,1]
	v_pk_mul_f32 v[24:25], v[4:5], v[28:29] op_sel_hi:[0,1]
	v_pk_mul_f32 v[26:27], v[4:5], v[30:31] op_sel_hi:[0,1]
	v_add_nc_u32_e32 v36, 0x80, v6
	v_add_nc_u32_e32 v38, 0x100, v6
	v_lshl_add_u64 v[40:41], v[6:7], 2, s[16:17]
	v_add_nc_u32_e32 v6, 0x180, v6
	v_pk_mul_f32 v[28:29], v[4:5], v[32:33] op_sel_hi:[0,1]
	v_lshl_add_u64 v[36:37], v[36:37], 2, s[16:17]
	v_lshl_add_u64 v[38:39], v[38:39], 2, s[16:17]
	v_pk_mul_f32 v[30:31], v[4:5], v[34:35] op_sel_hi:[0,1]
	v_lshl_add_u64 v[6:7], v[6:7], 2, s[16:17]
	s_and_b32 s2, vcc_lo, s3
	s_clause 0x3
	global_store_b128 v[40:41], v[16:19], off
	global_store_b128 v[36:37], v[20:23], off
	;; [unrolled: 1-line block ×4, first 2 shown]
	s_wait_xcnt 0x0
	s_and_saveexec_b32 s3, s2
	s_cbranch_execz .LBB26_39
; %bb.38:
	v_dual_mov_b32 v4, v76 :: v_dual_mov_b32 v5, v0
	global_store_b64 v2, v[4:5], s[18:19] scale_offset
.LBB26_39:
	s_wait_xcnt 0x0
	s_or_b32 exec_lo, exec_lo, s3
	v_mov_b32_e32 v0, 1.0
	s_and_not1_b32 vcc_lo, exec_lo, s1
	s_cbranch_vccnz .LBB26_41
; %bb.40:
	v_div_scale_f32 v0, null, v1, v1, 1.0
	s_delay_alu instid0(VALU_DEP_1) | instskip(SKIP_1) | instid1(TRANS32_DEP_1)
	v_rcp_f32_e32 v3, v0
	v_nop
	v_fma_f32 v4, -v0, v3, 1.0
	s_delay_alu instid0(VALU_DEP_1) | instskip(SKIP_1) | instid1(VALU_DEP_1)
	v_fmac_f32_e32 v3, v4, v3
	v_div_scale_f32 v4, vcc_lo, 1.0, v1, 1.0
	v_mul_f32_e32 v5, v4, v3
	s_delay_alu instid0(VALU_DEP_1) | instskip(NEXT) | instid1(VALU_DEP_1)
	v_fma_f32 v6, -v0, v5, v4
	v_fmac_f32_e32 v5, v6, v3
	s_delay_alu instid0(VALU_DEP_1) | instskip(NEXT) | instid1(VALU_DEP_1)
	v_fma_f32 v0, -v0, v5, v4
	v_div_fmas_f32 v0, v0, v3, v5
	s_delay_alu instid0(VALU_DEP_1)
	v_div_fixup_f32 v0, v0, v1, 1.0
.LBB26_41:
	v_dual_mov_b32 v17, 0 :: v_dual_add_nc_u32 v2, s0, v2
	v_lshrrev_b32_e32 v3, 16, v62
	v_lshrrev_b32_e32 v7, 16, v14
	v_cvt_f32_f16_e32 v6, v14
	s_delay_alu instid0(VALU_DEP_4) | instskip(SKIP_3) | instid1(VALU_DEP_4)
	v_lshl_add_u32 v16, v2, 9, v81
	v_mov_b32_e32 v15, v17
	v_cvt_f32_f16_e32 v5, v3
	v_dual_lshrrev_b32 v3, 16, v13 :: v_dual_lshrrev_b32 v18, 16, v12
	v_dual_mov_b32 v25, v17 :: v_dual_add_nc_u32 v14, 0x80, v16
	v_dual_lshrrev_b32 v26, 16, v10 :: v_dual_lshrrev_b32 v28, 16, v8
	v_cvt_f32_f16_e32 v4, v62
	s_delay_alu instid0(VALU_DEP_3)
	v_lshl_add_u64 v[22:23], v[14:15], 2, s[16:17]
	v_cvt_f32_f16_e32 v15, v3
	v_cvt_f32_f16_e32 v14, v13
	v_lshrrev_b32_e32 v3, 16, v11
	v_cvt_f32_f16_e32 v19, v18
	v_cvt_f32_f16_e32 v18, v12
	;; [unrolled: 1-line block ×3, first 2 shown]
	v_pk_mul_f32 v[12:13], v[0:1], v[14:15] op_sel_hi:[0,1]
	v_add_nc_u32_e32 v24, 0x100, v16
	v_cvt_f32_f16_e32 v10, v10
	v_pk_mul_f32 v[14:15], v[0:1], v[18:19] op_sel_hi:[0,1]
	v_cvt_f32_f16_e32 v19, v3
	v_lshrrev_b32_e32 v3, 16, v9
	v_cvt_f32_f16_e32 v18, v11
	v_cvt_f32_f16_e32 v11, v26
	v_lshl_add_u64 v[20:21], v[16:17], 2, s[16:17]
	v_add_nc_u32_e32 v16, 0x180, v16
	v_cvt_f32_f16_e32 v27, v3
	v_cvt_f32_f16_e32 v26, v9
	;; [unrolled: 1-line block ×4, first 2 shown]
	v_pk_mul_f32 v[4:5], v[0:1], v[4:5] op_sel_hi:[0,1]
	v_pk_mul_f32 v[6:7], v[0:1], v[6:7] op_sel_hi:[0,1]
	v_lshl_add_u64 v[24:25], v[24:25], 2, s[16:17]
	v_pk_mul_f32 v[8:9], v[0:1], v[18:19] op_sel_hi:[0,1]
	v_pk_mul_f32 v[10:11], v[0:1], v[10:11] op_sel_hi:[0,1]
	v_lshl_add_u64 v[30:31], v[16:17], 2, s[16:17]
	v_pk_mul_f32 v[16:17], v[0:1], v[26:27] op_sel_hi:[0,1]
	v_pk_mul_f32 v[18:19], v[0:1], v[28:29] op_sel_hi:[0,1]
	s_clause 0x3
	global_store_b128 v[20:21], v[4:7], off
	global_store_b128 v[22:23], v[12:15], off
	;; [unrolled: 1-line block ×4, first 2 shown]
	s_wait_xcnt 0x0
	s_and_b32 exec_lo, exec_lo, s2
	s_cbranch_execz .LBB26_43
; %bb.42:
	v_mov_b32_e32 v0, v77
	global_store_b64 v2, v[0:1], s[18:19] scale_offset
.LBB26_43:
	s_sendmsg sendmsg(MSG_DEALLOC_VGPRS)
	s_endpgm
	.section	.rodata,"a",@progbits
	.p2align	6, 0x0
	.amdhsa_kernel _ZL15flash_attn_tileILi576ELi512ELi4ELi4ELb1EEvPKcS1_S1_S1_S1_PKiPfP15HIP_vector_typeIfLj2EEffffjfiS5_IjLj3EEiiiiiiiiiiiliiliiiiil
		.amdhsa_group_segment_fixed_size 29696
		.amdhsa_private_segment_fixed_size 0
		.amdhsa_kernarg_size 464
		.amdhsa_user_sgpr_count 2
		.amdhsa_user_sgpr_dispatch_ptr 0
		.amdhsa_user_sgpr_queue_ptr 0
		.amdhsa_user_sgpr_kernarg_segment_ptr 1
		.amdhsa_user_sgpr_dispatch_id 0
		.amdhsa_user_sgpr_kernarg_preload_length 0
		.amdhsa_user_sgpr_kernarg_preload_offset 0
		.amdhsa_user_sgpr_private_segment_size 0
		.amdhsa_wavefront_size32 1
		.amdhsa_uses_dynamic_stack 0
		.amdhsa_enable_private_segment 0
		.amdhsa_system_sgpr_workgroup_id_x 1
		.amdhsa_system_sgpr_workgroup_id_y 1
		.amdhsa_system_sgpr_workgroup_id_z 1
		.amdhsa_system_sgpr_workgroup_info 0
		.amdhsa_system_vgpr_workitem_id 1
		.amdhsa_next_free_vgpr 135
		.amdhsa_next_free_sgpr 43
		.amdhsa_named_barrier_count 0
		.amdhsa_reserve_vcc 1
		.amdhsa_float_round_mode_32 0
		.amdhsa_float_round_mode_16_64 0
		.amdhsa_float_denorm_mode_32 3
		.amdhsa_float_denorm_mode_16_64 3
		.amdhsa_fp16_overflow 0
		.amdhsa_memory_ordered 1
		.amdhsa_forward_progress 1
		.amdhsa_inst_pref_size 180
		.amdhsa_round_robin_scheduling 0
		.amdhsa_exception_fp_ieee_invalid_op 0
		.amdhsa_exception_fp_denorm_src 0
		.amdhsa_exception_fp_ieee_div_zero 0
		.amdhsa_exception_fp_ieee_overflow 0
		.amdhsa_exception_fp_ieee_underflow 0
		.amdhsa_exception_fp_ieee_inexact 0
		.amdhsa_exception_int_div_zero 0
	.end_amdhsa_kernel
	.section	.text._ZL15flash_attn_tileILi576ELi512ELi4ELi4ELb1EEvPKcS1_S1_S1_S1_PKiPfP15HIP_vector_typeIfLj2EEffffjfiS5_IjLj3EEiiiiiiiiiiiliiliiiiil,"axG",@progbits,_ZL15flash_attn_tileILi576ELi512ELi4ELi4ELb1EEvPKcS1_S1_S1_S1_PKiPfP15HIP_vector_typeIfLj2EEffffjfiS5_IjLj3EEiiiiiiiiiiiliiliiiiil,comdat
.Lfunc_end26:
	.size	_ZL15flash_attn_tileILi576ELi512ELi4ELi4ELb1EEvPKcS1_S1_S1_S1_PKiPfP15HIP_vector_typeIfLj2EEffffjfiS5_IjLj3EEiiiiiiiiiiiliiliiiiil, .Lfunc_end26-_ZL15flash_attn_tileILi576ELi512ELi4ELi4ELb1EEvPKcS1_S1_S1_S1_PKiPfP15HIP_vector_typeIfLj2EEffffjfiS5_IjLj3EEiiiiiiiiiiiliiliiiiil
                                        ; -- End function
	.set _ZL15flash_attn_tileILi576ELi512ELi4ELi4ELb1EEvPKcS1_S1_S1_S1_PKiPfP15HIP_vector_typeIfLj2EEffffjfiS5_IjLj3EEiiiiiiiiiiiliiliiiiil.num_vgpr, 135
	.set _ZL15flash_attn_tileILi576ELi512ELi4ELi4ELb1EEvPKcS1_S1_S1_S1_PKiPfP15HIP_vector_typeIfLj2EEffffjfiS5_IjLj3EEiiiiiiiiiiiliiliiiiil.num_agpr, 0
	.set _ZL15flash_attn_tileILi576ELi512ELi4ELi4ELb1EEvPKcS1_S1_S1_S1_PKiPfP15HIP_vector_typeIfLj2EEffffjfiS5_IjLj3EEiiiiiiiiiiiliiliiiiil.numbered_sgpr, 43
	.set _ZL15flash_attn_tileILi576ELi512ELi4ELi4ELb1EEvPKcS1_S1_S1_S1_PKiPfP15HIP_vector_typeIfLj2EEffffjfiS5_IjLj3EEiiiiiiiiiiiliiliiiiil.num_named_barrier, 0
	.set _ZL15flash_attn_tileILi576ELi512ELi4ELi4ELb1EEvPKcS1_S1_S1_S1_PKiPfP15HIP_vector_typeIfLj2EEffffjfiS5_IjLj3EEiiiiiiiiiiiliiliiiiil.private_seg_size, 0
	.set _ZL15flash_attn_tileILi576ELi512ELi4ELi4ELb1EEvPKcS1_S1_S1_S1_PKiPfP15HIP_vector_typeIfLj2EEffffjfiS5_IjLj3EEiiiiiiiiiiiliiliiiiil.uses_vcc, 1
	.set _ZL15flash_attn_tileILi576ELi512ELi4ELi4ELb1EEvPKcS1_S1_S1_S1_PKiPfP15HIP_vector_typeIfLj2EEffffjfiS5_IjLj3EEiiiiiiiiiiiliiliiiiil.uses_flat_scratch, 0
	.set _ZL15flash_attn_tileILi576ELi512ELi4ELi4ELb1EEvPKcS1_S1_S1_S1_PKiPfP15HIP_vector_typeIfLj2EEffffjfiS5_IjLj3EEiiiiiiiiiiiliiliiiiil.has_dyn_sized_stack, 0
	.set _ZL15flash_attn_tileILi576ELi512ELi4ELi4ELb1EEvPKcS1_S1_S1_S1_PKiPfP15HIP_vector_typeIfLj2EEffffjfiS5_IjLj3EEiiiiiiiiiiiliiliiiiil.has_recursion, 0
	.set _ZL15flash_attn_tileILi576ELi512ELi4ELi4ELb1EEvPKcS1_S1_S1_S1_PKiPfP15HIP_vector_typeIfLj2EEffffjfiS5_IjLj3EEiiiiiiiiiiiliiliiiiil.has_indirect_call, 0
	.section	.AMDGPU.csdata,"",@progbits
; Kernel info:
; codeLenInByte = 23004
; TotalNumSgprs: 45
; NumVgprs: 135
; ScratchSize: 0
; MemoryBound: 0
; FloatMode: 240
; IeeeMode: 1
; LDSByteSize: 29696 bytes/workgroup (compile time only)
; SGPRBlocks: 0
; VGPRBlocks: 8
; NumSGPRsForWavesPerEU: 45
; NumVGPRsForWavesPerEU: 135
; NamedBarCnt: 0
; Occupancy: 7
; WaveLimiterHint : 1
; COMPUTE_PGM_RSRC2:SCRATCH_EN: 0
; COMPUTE_PGM_RSRC2:USER_SGPR: 2
; COMPUTE_PGM_RSRC2:TRAP_HANDLER: 0
; COMPUTE_PGM_RSRC2:TGID_X_EN: 1
; COMPUTE_PGM_RSRC2:TGID_Y_EN: 1
; COMPUTE_PGM_RSRC2:TGID_Z_EN: 1
; COMPUTE_PGM_RSRC2:TIDIG_COMP_CNT: 1
	.section	.text._ZL15flash_attn_tileILi576ELi512ELi2ELi4ELb1EEvPKcS1_S1_S1_S1_PKiPfP15HIP_vector_typeIfLj2EEffffjfiS5_IjLj3EEiiiiiiiiiiiliiliiiiil,"axG",@progbits,_ZL15flash_attn_tileILi576ELi512ELi2ELi4ELb1EEvPKcS1_S1_S1_S1_PKiPfP15HIP_vector_typeIfLj2EEffffjfiS5_IjLj3EEiiiiiiiiiiiliiliiiiil,comdat
	.globl	_ZL15flash_attn_tileILi576ELi512ELi2ELi4ELb1EEvPKcS1_S1_S1_S1_PKiPfP15HIP_vector_typeIfLj2EEffffjfiS5_IjLj3EEiiiiiiiiiiiliiliiiiil ; -- Begin function _ZL15flash_attn_tileILi576ELi512ELi2ELi4ELb1EEvPKcS1_S1_S1_S1_PKiPfP15HIP_vector_typeIfLj2EEffffjfiS5_IjLj3EEiiiiiiiiiiiliiliiiiil
	.p2align	8
	.type	_ZL15flash_attn_tileILi576ELi512ELi2ELi4ELb1EEvPKcS1_S1_S1_S1_PKiPfP15HIP_vector_typeIfLj2EEffffjfiS5_IjLj3EEiiiiiiiiiiiliiliiiiil,@function
_ZL15flash_attn_tileILi576ELi512ELi2ELi4ELb1EEvPKcS1_S1_S1_S1_PKiPfP15HIP_vector_typeIfLj2EEffffjfiS5_IjLj3EEiiiiiiiiiiiliiliiiiil: ; @_ZL15flash_attn_tileILi576ELi512ELi2ELi4ELb1EEvPKcS1_S1_S1_S1_PKiPfP15HIP_vector_typeIfLj2EEffffjfiS5_IjLj3EEiiiiiiiiiiiliiliiiiil
; %bb.0:
	s_clause 0x1
	s_load_b128 s[20:23], s[0:1], 0x5c
	s_load_b64 s[28:29], s[0:1], 0x80
	s_bfe_u32 s5, ttmp6, 0x40014
	s_lshr_b32 s4, ttmp7, 16
	s_add_co_i32 s5, s5, 1
	s_bfe_u32 s6, ttmp6, 0x40008
	s_mul_i32 s5, s4, s5
	s_getreg_b32 s24, hwreg(HW_REG_IB_STS2, 6, 4)
	s_add_co_i32 s6, s6, s5
	s_load_b64 s[36:37], s[0:1], 0xb8
	s_mov_b32 s35, 0
	s_mov_b64 s[30:31], 0
	s_wait_kmcnt 0x0
	s_ashr_i32 s2, s23, 31
	s_delay_alu instid0(SALU_CYCLE_1) | instskip(NEXT) | instid1(SALU_CYCLE_1)
	s_lshr_b32 s2, s2, 30
	s_add_co_i32 s2, s23, s2
	s_delay_alu instid0(SALU_CYCLE_1) | instskip(NEXT) | instid1(SALU_CYCLE_1)
	s_ashr_i32 s2, s2, 2
	s_cvt_f32_u32 s3, s2
	s_sub_co_i32 s7, 0, s2
	s_delay_alu instid0(SALU_CYCLE_2) | instskip(SKIP_1) | instid1(TRANS32_DEP_1)
	v_rcp_iflag_f32_e32 v1, s3
	v_nop
	v_readfirstlane_b32 s3, v1
	s_mul_f32 s3, s3, 0x4f7ffffe
	s_delay_alu instid0(SALU_CYCLE_3) | instskip(NEXT) | instid1(SALU_CYCLE_3)
	s_cvt_u32_f32 s3, s3
	s_mul_i32 s7, s7, s3
	s_delay_alu instid0(SALU_CYCLE_1) | instskip(NEXT) | instid1(SALU_CYCLE_1)
	s_mul_hi_u32 s7, s3, s7
	s_add_co_i32 s3, s3, s7
	s_cmp_eq_u32 s24, 0
	s_cselect_b32 s4, s4, s6
	s_delay_alu instid0(SALU_CYCLE_1) | instskip(NEXT) | instid1(SALU_CYCLE_1)
	s_mul_hi_u32 s3, s4, s3
	s_mul_i32 s5, s3, s2
	s_add_co_i32 s6, s3, 1
	s_sub_co_i32 s5, s4, s5
	s_delay_alu instid0(SALU_CYCLE_1)
	s_sub_co_i32 s7, s5, s2
	s_cmp_ge_u32 s5, s2
	s_cselect_b32 s3, s6, s3
	s_cselect_b32 s5, s7, s5
	s_add_co_i32 s6, s3, 1
	s_cmp_ge_u32 s5, s2
	s_cselect_b32 s2, s6, s3
	s_abs_i32 s3, s29
	s_lshl_b32 s4, s4, 2
	s_cvt_f32_u32 s5, s3
	s_sub_co_i32 s6, 0, s3
	s_mul_i32 s7, s2, s23
	s_abs_i32 s8, s23
	v_rcp_iflag_f32_e32 v1, s5
	s_sub_co_i32 s33, s4, s7
	v_nop
	s_delay_alu instid0(TRANS32_DEP_1) | instskip(SKIP_1) | instid1(SALU_CYCLE_3)
	v_readfirstlane_b32 s5, v1
	s_mul_f32 s5, s5, 0x4f7ffffe
	s_cvt_u32_f32 s5, s5
	s_delay_alu instid0(SALU_CYCLE_3) | instskip(NEXT) | instid1(SALU_CYCLE_1)
	s_mul_i32 s6, s6, s5
	s_mul_hi_u32 s6, s5, s6
	s_delay_alu instid0(SALU_CYCLE_1) | instskip(NEXT) | instid1(SALU_CYCLE_1)
	s_add_co_i32 s5, s5, s6
	s_mul_hi_u32 s4, s8, s5
	s_xor_b32 s5, s23, s29
	s_mul_i32 s6, s4, s3
	s_ashr_i32 s25, s5, 31
	s_sub_co_i32 s5, s8, s6
	s_add_co_i32 s6, s4, 1
	s_sub_co_i32 s7, s5, s3
	s_cmp_ge_u32 s5, s3
	s_cselect_b32 s4, s6, s4
	s_cselect_b32 s5, s7, s5
	s_add_co_i32 s6, s4, 1
	s_cmp_ge_u32 s5, s3
	s_cselect_b32 s3, s6, s4
	s_load_b512 s[4:19], s[0:1], 0x0
	s_xor_b32 s3, s3, s25
	s_delay_alu instid0(SALU_CYCLE_1) | instskip(NEXT) | instid1(SALU_CYCLE_1)
	s_sub_co_i32 s3, s3, s25
	s_abs_i32 s29, s3
	s_delay_alu instid0(SALU_CYCLE_1) | instskip(NEXT) | instid1(SALU_CYCLE_3)
	s_cvt_f32_u32 s25, s29
	v_rcp_iflag_f32_e32 v1, s25
	v_nop
	s_delay_alu instid0(TRANS32_DEP_1)
	v_readfirstlane_b32 s25, v1
	s_wait_kmcnt 0x0
	s_cmp_eq_u64 s[10:11], 0
	s_cbranch_scc1 .LBB27_2
; %bb.1:
	s_abs_i32 s30, s36
	s_abs_i32 s31, s2
	s_cvt_f32_u32 s26, s30
	s_sub_co_i32 s27, 0, s30
	s_delay_alu instid0(SALU_CYCLE_2) | instskip(SKIP_1) | instid1(TRANS32_DEP_1)
	v_rcp_iflag_f32_e32 v1, s26
	v_nop
	v_readfirstlane_b32 s26, v1
	s_mul_f32 s26, s26, 0x4f7ffffe
	s_delay_alu instid0(SALU_CYCLE_3) | instskip(NEXT) | instid1(SALU_CYCLE_3)
	s_cvt_u32_f32 s26, s26
	s_mul_i32 s27, s27, s26
	s_delay_alu instid0(SALU_CYCLE_1) | instskip(NEXT) | instid1(SALU_CYCLE_1)
	s_mul_hi_u32 s27, s26, s27
	s_add_co_i32 s26, s26, s27
	s_delay_alu instid0(SALU_CYCLE_1) | instskip(SKIP_2) | instid1(SALU_CYCLE_1)
	s_mul_hi_u32 s34, s31, s26
	s_load_b64 s[26:27], s[0:1], 0xc8
	s_mul_i32 s34, s34, s30
	s_sub_co_i32 s31, s31, s34
	s_ashr_i32 s34, s2, 31
	s_sub_co_i32 s36, s31, s30
	s_cmp_ge_u32 s31, s30
	s_cselect_b32 s31, s36, s31
	s_delay_alu instid0(SALU_CYCLE_1) | instskip(SKIP_2) | instid1(SALU_CYCLE_1)
	s_sub_co_i32 s36, s31, s30
	s_cmp_ge_u32 s31, s30
	s_cselect_b32 s30, s36, s31
	s_xor_b32 s30, s30, s34
	s_delay_alu instid0(SALU_CYCLE_1) | instskip(NEXT) | instid1(SALU_CYCLE_1)
	s_sub_co_i32 s30, s30, s34
	s_ashr_i32 s31, s30, 31
	s_wait_kmcnt 0x0
	s_mul_u64 s[26:27], s[26:27], s[30:31]
	s_delay_alu instid0(SALU_CYCLE_1)
	s_add_nc_u64 s[30:31], s[10:11], s[26:27]
.LBB27_2:
	s_bfe_u32 s10, ttmp6, 0x4000c
	v_dual_lshrrev_b32 v1, 10, v0 :: v_dual_mov_b32 v3, 0
	s_add_co_i32 s10, s10, 1
	s_and_b32 s11, ttmp6, 15
	s_mul_i32 s10, ttmp9, s10
	s_delay_alu instid0(VALU_DEP_1)
	v_bfe_u32 v1, v1, 2, 8
	s_add_co_i32 s11, s11, s10
	s_cmp_eq_u32 s24, 0
	s_load_b96 s[40:42], s[0:1], 0x70
	s_cselect_b32 s10, ttmp9, s11
	v_and_b32_e32 v15, 0x3ff, v0
	v_lshl_add_u32 v14, s10, 1, v1
	v_bfe_u32 v2, v0, 10, 2
	v_dual_mov_b32 v9, v3 :: v_dual_mov_b32 v11, v3
	s_delay_alu instid0(VALU_DEP_4) | instskip(NEXT) | instid1(VALU_DEP_4)
	v_lshlrev_b32_e32 v10, 4, v15
	v_mul_hi_u32 v1, s20, v14
	s_delay_alu instid0(VALU_DEP_1) | instskip(SKIP_3) | instid1(SALU_CYCLE_1)
	v_add_nc_u32_e32 v1, v14, v1
	s_wait_kmcnt 0x0
	s_mov_b32 s20, s41
	s_mul_i32 s26, s33, s41
	s_ashr_i32 s27, s26, 31
	v_lshrrev_b32_e32 v1, s21, v1
	s_ashr_i32 s21, s41, 31
	s_ashr_i32 s41, s40, 31
	s_lshr_b64 s[20:21], s[20:21], 2
	s_delay_alu instid0(VALU_DEP_1) | instskip(SKIP_2) | instid1(VALU_DEP_2)
	v_mul_lo_u32 v1, v1, s22
	v_mul_u64_e32 v[4:5], s[20:21], v[2:3]
	s_lshr_b64 s[20:21], s[40:41], 2
	v_sub_nc_u32_e32 v8, v14, v1
	s_delay_alu instid0(VALU_DEP_1) | instskip(SKIP_1) | instid1(SALU_CYCLE_1)
	v_mul_u64_e32 v[6:7], s[20:21], v[8:9]
	s_mul_i32 s20, s2, s42
	s_ashr_i32 s21, s20, 31
	s_delay_alu instid0(SALU_CYCLE_1) | instskip(NEXT) | instid1(SALU_CYCLE_1)
	s_add_nc_u64 s[4:5], s[4:5], s[20:21]
	s_add_nc_u64 s[4:5], s[4:5], s[26:27]
	s_delay_alu instid0(VALU_DEP_3) | instid1(SALU_CYCLE_1)
	v_lshl_add_u64 v[4:5], v[4:5], 2, s[4:5]
	s_load_b32 s4, s[0:1], 0x40
	s_mov_b32 s5, exec_lo
	s_delay_alu instid0(VALU_DEP_1) | instskip(NEXT) | instid1(VALU_DEP_1)
	v_lshl_add_u64 v[4:5], v[6:7], 2, v[4:5]
	v_add_nc_u64_e32 v[4:5], v[4:5], v[10:11]
	v_bfe_u32 v10, v0, 10, 10
	s_clause 0x3
	global_load_b128 v[18:21], v[4:5], off
	global_load_b128 v[22:25], v[4:5], off offset:512
	global_load_b128 v[26:29], v[4:5], off offset:1024
	;; [unrolled: 1-line block ×3, first 2 shown]
	v_mul_u32_u24_e32 v16, 0x480, v10
	s_wait_loadcnt 0x3
	s_wait_kmcnt 0x0
	v_fma_mixlo_f16 v0, s4, v18, 0
	v_fma_mixlo_f16 v1, s4, v19, 0
	;; [unrolled: 1-line block ×4, first 2 shown]
	s_wait_loadcnt 0x2
	v_fma_mixlo_f16 v11, s4, v22, 0
	v_fma_mixlo_f16 v12, s4, v23, 0
	;; [unrolled: 1-line block ×4, first 2 shown]
	s_wait_loadcnt 0x1
	v_fma_mixlo_f16 v18, s4, v26, 0
	v_fma_mixlo_f16 v19, s4, v27, 0
	;; [unrolled: 1-line block ×3, first 2 shown]
	s_wait_loadcnt 0x0
	v_fma_mixlo_f16 v22, s4, v30, 0
	v_fma_mixlo_f16 v23, s4, v31, 0
	v_dual_lshlrev_b32 v9, 3, v15 :: v_dual_lshlrev_b32 v1, 16, v1
	v_fma_mixlo_f16 v25, s4, v33, 0
	v_and_b32_e32 v0, 0xffff, v0
	v_dual_lshlrev_b32 v7, 16, v7 :: v_dual_lshlrev_b32 v12, 16, v12
	v_and_b32_e32 v6, 0xffff, v6
	v_and_b32_e32 v11, 0xffff, v11
	v_fma_mixlo_f16 v20, s4, v28, 0
	v_fma_mixlo_f16 v24, s4, v32, 0
	v_dual_lshlrev_b32 v17, 16, v17 :: v_dual_lshlrev_b32 v19, 16, v19
	v_and_b32_e32 v13, 0xffff, v13
	v_and_b32_e32 v18, 0xffff, v18
	v_dual_lshlrev_b32 v21, 16, v21 :: v_dual_lshlrev_b32 v23, 16, v23
	v_and_b32_e32 v22, 0xffff, v22
	v_dual_lshlrev_b32 v25, 16, v25 :: v_dual_bitop2_b32 v0, v1, v0 bitop3:0x54
	v_or3_b32 v1, v7, v6, 0
	v_or_b32_e32 v6, v12, v11
	v_and_b32_e32 v20, 0xffff, v20
	v_and_b32_e32 v24, 0xffff, v24
	v_or3_b32 v7, v17, v13, 0
	v_or_b32_e32 v11, v19, v18
	v_or_b32_e32 v17, v23, v22
	v_mad_u32_u24 v3, 0x480, v10, v9
	v_or3_b32 v0, 0, 0, v0
	v_or3_b32 v6, 0, 0, v6
	;; [unrolled: 1-line block ×6, first 2 shown]
	ds_store_2addr_b64 v3, v[0:1], v[6:7] offset1:32
	ds_store_2addr_b64 v3, v[12:13], v[18:19] offset0:64 offset1:96
	v_cmpx_gt_u32_e32 16, v15
	s_cbranch_execz .LBB27_4
; %bb.3:
	global_load_b128 v[4:7], v[4:5], off offset:2048
	s_wait_loadcnt 0x0
	v_fma_mixlo_f16 v3, s4, v4, 0
	v_mov_b32_e32 v4, v7
	s_delay_alu instid0(VALU_DEP_2) | instskip(NEXT) | instid1(VALU_DEP_2)
	v_and_b32_e32 v3, 0xffff, v3
	v_pk_mul_f32 v[0:1], s[4:5], v[4:5] op_sel_hi:[0,1]
	s_delay_alu instid0(VALU_DEP_1) | instskip(SKIP_1) | instid1(VALU_DEP_2)
	v_cvt_pk_f16_f32 v0, v0, v1
	v_fma_mixlo_f16 v1, s4, v6, 0
	v_and_b32_e32 v4, 0xffff0000, v0
	s_delay_alu instid0(VALU_DEP_2) | instskip(NEXT) | instid1(VALU_DEP_2)
	v_and_b32_e32 v1, 0xffff, v1
	v_dual_lshlrev_b32 v0, 16, v0 :: v_dual_bitop2_b32 v3, v4, v3 bitop3:0x54
	s_delay_alu instid0(VALU_DEP_1) | instskip(NEXT) | instid1(VALU_DEP_2)
	v_or3_b32 v1, v0, v1, 0
	v_or3_b32 v0, 0, 0, v3
	v_add_nc_u32_e32 v3, v16, v9
	ds_store_b64 v3, v[0:1] offset:1024
.LBB27_4:
	s_or_b32 exec_lo, exec_lo, s5
	s_cmp_eq_u64 s[14:15], 0
	s_wait_dscnt 0x0
	s_barrier_signal -1
	s_barrier_wait -1
	s_cbranch_scc1 .LBB27_6
; %bb.5:
	s_load_b32 s4, s[0:1], 0xd0
	s_wait_kmcnt 0x0
	s_mul_i32 s4, s4, s2
	s_delay_alu instid0(SALU_CYCLE_1)
	s_add_co_i32 s4, s4, s10
	s_load_b32 s28, s[14:15], s4 offset:0x0 scale_offset
.LBB27_6:
	s_wait_xcnt 0x0
	s_bfe_u32 s4, ttmp6, 0x40010
	s_and_b32 s5, ttmp7, 0xffff
	s_add_co_i32 s4, s4, 1
	s_bfe_u32 s10, ttmp6, 0x40004
	s_mul_i32 s4, s5, s4
	v_lshlrev_b32_e32 v3, 2, v15
	s_add_co_i32 s10, s10, s4
	s_cmp_eq_u32 s24, 0
	v_mbcnt_lo_u32_b32 v17, -1, 0
	s_cselect_b32 s20, s5, s10
	s_mov_b32 s5, 0
	s_lshl_b32 s4, s20, 6
	s_wait_kmcnt 0x0
	s_cmp_lt_i32 s4, s28
	s_cbranch_scc1 .LBB27_9
; %bb.7:
	v_mbcnt_lo_u32_b32 v1, -1, 0
	s_delay_alu instid0(VALU_DEP_1)
	v_dual_mov_b32 v0, 32 :: v_dual_bitop2_b32 v12, 16, v1 bitop3:0x14
	v_xor_b32_e32 v11, 8, v1
	v_xor_b32_e32 v13, 4, v1
	;; [unrolled: 1-line block ×4, first 2 shown]
	s_and_not1_b32 vcc_lo, exec_lo, s5
	s_cbranch_vccz .LBB27_10
; %bb.8:
	v_dual_mov_b32 v33, 0 :: v_dual_mov_b32 v39, 0
	v_dual_mov_b32 v10, 0xfeffffff :: v_dual_mov_b32 v35, 0
	;; [unrolled: 1-line block ×5, first 2 shown]
	s_branch .LBB27_22
.LBB27_9:
                                        ; implicit-def: $vgpr1
                                        ; implicit-def: $vgpr0
                                        ; implicit-def: $vgpr12
                                        ; implicit-def: $vgpr11
                                        ; implicit-def: $vgpr13
                                        ; implicit-def: $vgpr36
                                        ; implicit-def: $vgpr37
.LBB27_10:
	s_mul_f32 s5, s25, 0x4f7ffffe
	s_clause 0x1
	s_load_b128 s[24:27], s[0:1], 0x98
	s_load_b64 s[14:15], s[0:1], 0x8c
	s_sub_co_i32 s10, 0, s29
	v_dual_mov_b32 v5, 0 :: v_dual_bitop2_b32 v12, 28, v3 bitop3:0x40
	s_cvt_u32_f32 s5, s5
	v_lshrrev_b32_e32 v0, 3, v15
	s_ashr_i32 s38, s3, 31
	s_abs_i32 s34, s33
	s_mul_i32 s10, s10, s5
	s_mov_b32 s11, s35
	s_mul_hi_u32 s3, s5, s10
	s_ashr_i32 s39, s37, 1
	s_add_co_i32 s10, s5, s3
	s_load_b64 s[36:37], s[0:1], 0xa8
	s_mul_u64 s[10:11], s[34:35], s[10:11]
	v_lshlrev_b32_e32 v4, 2, v12
	v_lshl_add_u32 v1, v10, 2, v0
	s_mul_i32 s5, s11, s29
	s_ashr_i32 s21, s33, 31
	s_sub_co_i32 s5, s34, s5
	s_wait_kmcnt 0x0
	s_ashr_i32 s14, s14, 2
	s_ashr_i32 s3, s2, 31
	v_mul_lo_u32 v0, s14, v1
	s_xor_b32 s35, s21, s38
	s_ashr_i32 s10, s26, 2
	s_add_co_i32 s21, s11, 1
	s_sub_co_i32 s26, s5, s29
	s_cmp_ge_u32 s5, s29
	v_mul_lo_u32 v24, s10, v10
	s_cselect_b32 s11, s21, s11
	s_cselect_b32 s5, s26, s5
	s_add_co_i32 s21, s11, 1
	s_cmp_ge_u32 s5, s29
	v_mad_u32_u24 v7, 0x90, v1, v4
	s_cselect_b32 s5, s21, s11
	v_lshl_add_u32 v6, s14, 5, v0
	s_xor_b32 s5, s5, s35
	s_load_b32 s21, s[0:1], 0x54
	s_sub_co_i32 s5, s5, s35
	s_mul_u64 s[34:35], s[36:37], s[2:3]
	s_mul_i32 s26, s5, s27
	v_dual_mov_b32 v29, v5 :: v_dual_add_nc_u32 v18, 0x2400, v7
	v_dual_ashrrev_i32 v1, 31, v0 :: v_dual_lshlrev_b32 v4, 2, v3
	v_dual_mov_b32 v28, v5 :: v_dual_add_nc_u32 v19, 0x3600, v7
	v_dual_ashrrev_i32 v7, 31, v6 :: v_dual_ashrrev_i32 v25, 31, v24
	s_add_nc_u64 s[8:9], s[8:9], s[34:35]
	s_ashr_i32 s27, s26, 31
	v_lshl_add_u32 v20, v10, 7, 0x4800
	s_add_nc_u64 s[8:9], s[8:9], s[26:27]
	v_lshl_add_u32 v13, v10, 10, v4
	v_lshl_add_u64 v[10:11], v[24:25], 2, s[8:9]
	v_mad_u32 v22, v8, s39, v15
	s_mul_u64 s[24:25], s[24:25], s[2:3]
	s_movk_i32 s3, 0x2400
	v_dual_mov_b32 v35, v5 :: v_dual_add_nc_u32 v26, 0x2400, v9
	v_add_nc_u64_e32 v[8:9], v[10:11], v[4:5]
	s_add_nc_u64 s[6:7], s[6:7], s[24:25]
	s_mul_i32 s24, s5, s15
	v_mad_u32_u24 v21, 0x90, v15, s3
	v_lshl_add_u32 v23, v15, 1, v20
	v_dual_mov_b32 v31, v5 :: v_dual_add_nc_u32 v24, 0x2400, v13
	v_dual_mov_b32 v30, v5 :: v_dual_add_nc_u32 v25, 0x2600, v13
	v_dual_mov_b32 v38, 0xfeffffff :: v_dual_mov_b32 v33, v5
	v_dual_lshlrev_b32 v4, 2, v12 :: v_dual_mov_b32 v34, v5
	v_dual_mov_b32 v32, v5 :: v_dual_mov_b32 v27, v5
	s_ashr_i32 s25, s24, 31
	s_ashr_i32 s15, s14, 31
	s_add_nc_u64 s[6:7], s[6:7], s[24:25]
	s_ashr_i32 s11, s10, 31
	s_add_nc_u64 s[8:9], s[0:1], 0xd0
	s_mov_b32 s3, 0xbbbac73d
.LBB27_11:                              ; =>This Inner Loop Header: Depth=1
	s_ashr_i32 s5, s4, 31
	v_dual_mov_b32 v37, 0 :: v_dual_mov_b32 v39, 0
	s_mul_u64 s[24:25], s[4:5], s[14:15]
	s_delay_alu instid0(SALU_CYCLE_1) | instskip(NEXT) | instid1(SALU_CYCLE_1)
	s_lshl_b64 s[24:25], s[24:25], 2
	s_add_nc_u64 s[24:25], s[6:7], s[24:25]
	s_delay_alu instid0(SALU_CYCLE_1) | instskip(SKIP_1) | instid1(VALU_DEP_2)
	v_lshl_add_u64 v[10:11], v[0:1], 2, s[24:25]
	v_lshl_add_u64 v[12:13], v[6:7], 2, s[24:25]
	v_add_nc_u64_e32 v[10:11], v[10:11], v[4:5]
	s_delay_alu instid0(VALU_DEP_2)
	v_add_nc_u64_e32 v[12:13], v[12:13], v[4:5]
	s_clause 0x1
	global_load_b128 v[40:43], v[10:11], off
	global_load_b128 v[44:47], v[12:13], off
	s_wait_loadcnt 0x1
	ds_store_b128 v18, v[40:43]
	s_wait_loadcnt 0x0
	ds_store_b128 v19, v[44:47]
	s_wait_dscnt 0x0
	s_barrier_signal -1
	s_barrier_wait -1
	ds_load_b128 v[40:43], v21
	ds_load_b128 v[44:47], v16
	ds_load_b128 v[48:51], v21 offset:4608
	s_wait_dscnt 0x1
	;;#ASMSTART
	v_dot2_f32_f16 v37, v40, v44, v37
	;;#ASMEND
	;;#ASMSTART
	v_dot2_f32_f16 v37, v41, v45, v37
	;;#ASMEND
	;;#ASMSTART
	v_dot2_f32_f16 v37, v42, v46, v37
	;;#ASMEND
	;;#ASMSTART
	v_dot2_f32_f16 v37, v43, v47, v37
	;;#ASMEND
	s_wait_dscnt 0x0
	;;#ASMSTART
	v_dot2_f32_f16 v39, v48, v44, v39
	;;#ASMEND
	;;#ASMSTART
	v_dot2_f32_f16 v39, v49, v45, v39
	;;#ASMEND
	;;#ASMSTART
	v_dot2_f32_f16 v39, v50, v46, v39
	;;#ASMEND
	;;#ASMSTART
	v_dot2_f32_f16 v39, v51, v47, v39
	;;#ASMEND
	ds_load_b128 v[40:43], v21 offset:16
	ds_load_b128 v[44:47], v16 offset:16
	ds_load_b128 v[48:51], v21 offset:4624
	s_wait_dscnt 0x1
	;;#ASMSTART
	v_dot2_f32_f16 v37, v40, v44, v37
	;;#ASMEND
	;;#ASMSTART
	v_dot2_f32_f16 v37, v41, v45, v37
	;;#ASMEND
	;;#ASMSTART
	v_dot2_f32_f16 v37, v42, v46, v37
	;;#ASMEND
	;;#ASMSTART
	v_dot2_f32_f16 v37, v43, v47, v37
	;;#ASMEND
	s_wait_dscnt 0x0
	;;#ASMSTART
	v_dot2_f32_f16 v39, v48, v44, v39
	;;#ASMEND
	;;#ASMSTART
	v_dot2_f32_f16 v39, v49, v45, v39
	;;#ASMEND
	;;#ASMSTART
	v_dot2_f32_f16 v39, v50, v46, v39
	;;#ASMEND
	;;#ASMSTART
	v_dot2_f32_f16 v39, v51, v47, v39
	;;#ASMEND
	ds_load_b128 v[40:43], v21 offset:32
	ds_load_b128 v[44:47], v16 offset:32
	;; [unrolled: 29-line block ×7, first 2 shown]
	ds_load_b128 v[48:51], v21 offset:4720
	s_wait_dscnt 0x1
	;;#ASMSTART
	v_dot2_f32_f16 v37, v40, v44, v37
	;;#ASMEND
	;;#ASMSTART
	v_dot2_f32_f16 v37, v41, v45, v37
	;;#ASMEND
	;; [unrolled: 3-line block ×4, first 2 shown]
	s_wait_dscnt 0x0
	;;#ASMSTART
	v_dot2_f32_f16 v39, v48, v44, v39
	;;#ASMEND
	;;#ASMSTART
	v_dot2_f32_f16 v39, v49, v45, v39
	;;#ASMEND
	;;#ASMSTART
	v_dot2_f32_f16 v39, v50, v46, v39
	;;#ASMEND
	;;#ASMSTART
	v_dot2_f32_f16 v39, v51, v47, v39
	;;#ASMEND
	s_barrier_signal -1
	s_barrier_wait -1
	s_clause 0x1
	global_load_b128 v[40:43], v[10:11], off offset:128
	global_load_b128 v[44:47], v[12:13], off offset:128
	s_wait_loadcnt 0x1
	ds_store_b128 v18, v[40:43]
	s_wait_loadcnt 0x0
	ds_store_b128 v19, v[44:47]
	s_wait_dscnt 0x0
	s_barrier_signal -1
	s_barrier_wait -1
	ds_load_b128 v[40:43], v21
	ds_load_b128 v[44:47], v16 offset:128
	ds_load_b128 v[48:51], v21 offset:4608
	s_wait_dscnt 0x1
	;;#ASMSTART
	v_dot2_f32_f16 v37, v40, v44, v37
	;;#ASMEND
	;;#ASMSTART
	v_dot2_f32_f16 v37, v41, v45, v37
	;;#ASMEND
	;;#ASMSTART
	v_dot2_f32_f16 v37, v42, v46, v37
	;;#ASMEND
	;;#ASMSTART
	v_dot2_f32_f16 v37, v43, v47, v37
	;;#ASMEND
	s_wait_dscnt 0x0
	;;#ASMSTART
	v_dot2_f32_f16 v39, v48, v44, v39
	;;#ASMEND
	;;#ASMSTART
	v_dot2_f32_f16 v39, v49, v45, v39
	;;#ASMEND
	;;#ASMSTART
	v_dot2_f32_f16 v39, v50, v46, v39
	;;#ASMEND
	;;#ASMSTART
	v_dot2_f32_f16 v39, v51, v47, v39
	;;#ASMEND
	ds_load_b128 v[40:43], v21 offset:16
	ds_load_b128 v[44:47], v16 offset:144
	ds_load_b128 v[48:51], v21 offset:4624
	s_wait_dscnt 0x1
	;;#ASMSTART
	v_dot2_f32_f16 v37, v40, v44, v37
	;;#ASMEND
	;;#ASMSTART
	v_dot2_f32_f16 v37, v41, v45, v37
	;;#ASMEND
	;;#ASMSTART
	v_dot2_f32_f16 v37, v42, v46, v37
	;;#ASMEND
	;;#ASMSTART
	v_dot2_f32_f16 v37, v43, v47, v37
	;;#ASMEND
	s_wait_dscnt 0x0
	;;#ASMSTART
	v_dot2_f32_f16 v39, v48, v44, v39
	;;#ASMEND
	;;#ASMSTART
	v_dot2_f32_f16 v39, v49, v45, v39
	;;#ASMEND
	;;#ASMSTART
	v_dot2_f32_f16 v39, v50, v46, v39
	;;#ASMEND
	;;#ASMSTART
	v_dot2_f32_f16 v39, v51, v47, v39
	;;#ASMEND
	ds_load_b128 v[40:43], v21 offset:32
	;; [unrolled: 29-line block ×7, first 2 shown]
	ds_load_b128 v[44:47], v16 offset:240
	ds_load_b128 v[48:51], v21 offset:4720
	s_wait_dscnt 0x1
	;;#ASMSTART
	v_dot2_f32_f16 v37, v40, v44, v37
	;;#ASMEND
	;;#ASMSTART
	v_dot2_f32_f16 v37, v41, v45, v37
	;;#ASMEND
	;; [unrolled: 3-line block ×4, first 2 shown]
	s_wait_dscnt 0x0
	;;#ASMSTART
	v_dot2_f32_f16 v39, v48, v44, v39
	;;#ASMEND
	;;#ASMSTART
	v_dot2_f32_f16 v39, v49, v45, v39
	;;#ASMEND
	;; [unrolled: 3-line block ×4, first 2 shown]
	s_barrier_signal -1
	s_barrier_wait -1
	s_clause 0x1
	global_load_b128 v[40:43], v[10:11], off offset:256
	global_load_b128 v[44:47], v[12:13], off offset:256
	s_wait_loadcnt 0x1
	ds_store_b128 v18, v[40:43]
	s_wait_loadcnt 0x0
	ds_store_b128 v19, v[44:47]
	s_wait_dscnt 0x0
	s_barrier_signal -1
	s_barrier_wait -1
	ds_load_b128 v[40:43], v21
	ds_load_b128 v[44:47], v16 offset:256
	ds_load_b128 v[48:51], v21 offset:4608
	s_wait_dscnt 0x1
	;;#ASMSTART
	v_dot2_f32_f16 v37, v40, v44, v37
	;;#ASMEND
	;;#ASMSTART
	v_dot2_f32_f16 v37, v41, v45, v37
	;;#ASMEND
	;;#ASMSTART
	v_dot2_f32_f16 v37, v42, v46, v37
	;;#ASMEND
	;;#ASMSTART
	v_dot2_f32_f16 v37, v43, v47, v37
	;;#ASMEND
	s_wait_dscnt 0x0
	;;#ASMSTART
	v_dot2_f32_f16 v39, v48, v44, v39
	;;#ASMEND
	;;#ASMSTART
	v_dot2_f32_f16 v39, v49, v45, v39
	;;#ASMEND
	;;#ASMSTART
	v_dot2_f32_f16 v39, v50, v46, v39
	;;#ASMEND
	;;#ASMSTART
	v_dot2_f32_f16 v39, v51, v47, v39
	;;#ASMEND
	ds_load_b128 v[40:43], v21 offset:16
	ds_load_b128 v[44:47], v16 offset:272
	ds_load_b128 v[48:51], v21 offset:4624
	s_wait_dscnt 0x1
	;;#ASMSTART
	v_dot2_f32_f16 v37, v40, v44, v37
	;;#ASMEND
	;;#ASMSTART
	v_dot2_f32_f16 v37, v41, v45, v37
	;;#ASMEND
	;;#ASMSTART
	v_dot2_f32_f16 v37, v42, v46, v37
	;;#ASMEND
	;;#ASMSTART
	v_dot2_f32_f16 v37, v43, v47, v37
	;;#ASMEND
	s_wait_dscnt 0x0
	;;#ASMSTART
	v_dot2_f32_f16 v39, v48, v44, v39
	;;#ASMEND
	;;#ASMSTART
	v_dot2_f32_f16 v39, v49, v45, v39
	;;#ASMEND
	;;#ASMSTART
	v_dot2_f32_f16 v39, v50, v46, v39
	;;#ASMEND
	;;#ASMSTART
	v_dot2_f32_f16 v39, v51, v47, v39
	;;#ASMEND
	ds_load_b128 v[40:43], v21 offset:32
	;; [unrolled: 29-line block ×7, first 2 shown]
	ds_load_b128 v[44:47], v16 offset:368
	ds_load_b128 v[48:51], v21 offset:4720
	s_wait_dscnt 0x1
	;;#ASMSTART
	v_dot2_f32_f16 v37, v40, v44, v37
	;;#ASMEND
	;;#ASMSTART
	v_dot2_f32_f16 v37, v41, v45, v37
	;;#ASMEND
	;; [unrolled: 3-line block ×4, first 2 shown]
	s_wait_dscnt 0x0
	;;#ASMSTART
	v_dot2_f32_f16 v39, v48, v44, v39
	;;#ASMEND
	;;#ASMSTART
	v_dot2_f32_f16 v39, v49, v45, v39
	;;#ASMEND
	;;#ASMSTART
	v_dot2_f32_f16 v39, v50, v46, v39
	;;#ASMEND
	;;#ASMSTART
	v_dot2_f32_f16 v39, v51, v47, v39
	;;#ASMEND
	s_barrier_signal -1
	s_barrier_wait -1
	s_clause 0x1
	global_load_b128 v[40:43], v[10:11], off offset:384
	global_load_b128 v[44:47], v[12:13], off offset:384
	s_wait_loadcnt 0x1
	ds_store_b128 v18, v[40:43]
	s_wait_loadcnt 0x0
	ds_store_b128 v19, v[44:47]
	s_wait_dscnt 0x0
	s_barrier_signal -1
	s_barrier_wait -1
	ds_load_b128 v[40:43], v21
	ds_load_b128 v[44:47], v16 offset:384
	ds_load_b128 v[48:51], v21 offset:4608
	s_wait_dscnt 0x1
	;;#ASMSTART
	v_dot2_f32_f16 v37, v40, v44, v37
	;;#ASMEND
	;;#ASMSTART
	v_dot2_f32_f16 v37, v41, v45, v37
	;;#ASMEND
	;;#ASMSTART
	v_dot2_f32_f16 v37, v42, v46, v37
	;;#ASMEND
	;;#ASMSTART
	v_dot2_f32_f16 v37, v43, v47, v37
	;;#ASMEND
	s_wait_dscnt 0x0
	;;#ASMSTART
	v_dot2_f32_f16 v39, v48, v44, v39
	;;#ASMEND
	;;#ASMSTART
	v_dot2_f32_f16 v39, v49, v45, v39
	;;#ASMEND
	;;#ASMSTART
	v_dot2_f32_f16 v39, v50, v46, v39
	;;#ASMEND
	;;#ASMSTART
	v_dot2_f32_f16 v39, v51, v47, v39
	;;#ASMEND
	ds_load_b128 v[40:43], v21 offset:16
	ds_load_b128 v[44:47], v16 offset:400
	ds_load_b128 v[48:51], v21 offset:4624
	s_wait_dscnt 0x1
	;;#ASMSTART
	v_dot2_f32_f16 v37, v40, v44, v37
	;;#ASMEND
	;;#ASMSTART
	v_dot2_f32_f16 v37, v41, v45, v37
	;;#ASMEND
	;;#ASMSTART
	v_dot2_f32_f16 v37, v42, v46, v37
	;;#ASMEND
	;;#ASMSTART
	v_dot2_f32_f16 v37, v43, v47, v37
	;;#ASMEND
	s_wait_dscnt 0x0
	;;#ASMSTART
	v_dot2_f32_f16 v39, v48, v44, v39
	;;#ASMEND
	;;#ASMSTART
	v_dot2_f32_f16 v39, v49, v45, v39
	;;#ASMEND
	;;#ASMSTART
	v_dot2_f32_f16 v39, v50, v46, v39
	;;#ASMEND
	;;#ASMSTART
	v_dot2_f32_f16 v39, v51, v47, v39
	;;#ASMEND
	ds_load_b128 v[40:43], v21 offset:32
	;; [unrolled: 29-line block ×7, first 2 shown]
	ds_load_b128 v[44:47], v16 offset:496
	ds_load_b128 v[48:51], v21 offset:4720
	s_wait_dscnt 0x1
	;;#ASMSTART
	v_dot2_f32_f16 v37, v40, v44, v37
	;;#ASMEND
	;;#ASMSTART
	v_dot2_f32_f16 v37, v41, v45, v37
	;;#ASMEND
	;;#ASMSTART
	v_dot2_f32_f16 v37, v42, v46, v37
	;;#ASMEND
	;;#ASMSTART
	v_dot2_f32_f16 v37, v43, v47, v37
	;;#ASMEND
	s_wait_dscnt 0x0
	;;#ASMSTART
	v_dot2_f32_f16 v39, v48, v44, v39
	;;#ASMEND
	;;#ASMSTART
	v_dot2_f32_f16 v39, v49, v45, v39
	;;#ASMEND
	;; [unrolled: 3-line block ×4, first 2 shown]
	s_barrier_signal -1
	s_barrier_wait -1
	s_clause 0x1
	global_load_b128 v[40:43], v[10:11], off offset:512
	global_load_b128 v[44:47], v[12:13], off offset:512
	s_wait_loadcnt 0x1
	ds_store_b128 v18, v[40:43]
	s_wait_loadcnt 0x0
	ds_store_b128 v19, v[44:47]
	s_wait_dscnt 0x0
	s_barrier_signal -1
	s_barrier_wait -1
	ds_load_b128 v[40:43], v21
	ds_load_b128 v[44:47], v16 offset:512
	ds_load_b128 v[48:51], v21 offset:4608
	s_wait_dscnt 0x1
	;;#ASMSTART
	v_dot2_f32_f16 v37, v40, v44, v37
	;;#ASMEND
	;;#ASMSTART
	v_dot2_f32_f16 v37, v41, v45, v37
	;;#ASMEND
	;;#ASMSTART
	v_dot2_f32_f16 v37, v42, v46, v37
	;;#ASMEND
	;;#ASMSTART
	v_dot2_f32_f16 v37, v43, v47, v37
	;;#ASMEND
	s_wait_dscnt 0x0
	;;#ASMSTART
	v_dot2_f32_f16 v39, v48, v44, v39
	;;#ASMEND
	;;#ASMSTART
	v_dot2_f32_f16 v39, v49, v45, v39
	;;#ASMEND
	;;#ASMSTART
	v_dot2_f32_f16 v39, v50, v46, v39
	;;#ASMEND
	;;#ASMSTART
	v_dot2_f32_f16 v39, v51, v47, v39
	;;#ASMEND
	ds_load_b128 v[40:43], v21 offset:16
	ds_load_b128 v[44:47], v16 offset:528
	ds_load_b128 v[48:51], v21 offset:4624
	s_wait_dscnt 0x1
	;;#ASMSTART
	v_dot2_f32_f16 v37, v40, v44, v37
	;;#ASMEND
	;;#ASMSTART
	v_dot2_f32_f16 v37, v41, v45, v37
	;;#ASMEND
	;;#ASMSTART
	v_dot2_f32_f16 v37, v42, v46, v37
	;;#ASMEND
	;;#ASMSTART
	v_dot2_f32_f16 v37, v43, v47, v37
	;;#ASMEND
	s_wait_dscnt 0x0
	;;#ASMSTART
	v_dot2_f32_f16 v39, v48, v44, v39
	;;#ASMEND
	;;#ASMSTART
	v_dot2_f32_f16 v39, v49, v45, v39
	;;#ASMEND
	;;#ASMSTART
	v_dot2_f32_f16 v39, v50, v46, v39
	;;#ASMEND
	;;#ASMSTART
	v_dot2_f32_f16 v39, v51, v47, v39
	;;#ASMEND
	ds_load_b128 v[40:43], v21 offset:32
	;; [unrolled: 29-line block ×7, first 2 shown]
	ds_load_b128 v[44:47], v16 offset:624
	ds_load_b128 v[48:51], v21 offset:4720
	s_wait_dscnt 0x1
	;;#ASMSTART
	v_dot2_f32_f16 v37, v40, v44, v37
	;;#ASMEND
	;;#ASMSTART
	v_dot2_f32_f16 v37, v41, v45, v37
	;;#ASMEND
	;; [unrolled: 3-line block ×4, first 2 shown]
	s_wait_dscnt 0x0
	;;#ASMSTART
	v_dot2_f32_f16 v39, v48, v44, v39
	;;#ASMEND
	;;#ASMSTART
	v_dot2_f32_f16 v39, v49, v45, v39
	;;#ASMEND
	;; [unrolled: 3-line block ×4, first 2 shown]
	s_barrier_signal -1
	s_barrier_wait -1
	s_clause 0x1
	global_load_b128 v[40:43], v[10:11], off offset:640
	global_load_b128 v[44:47], v[12:13], off offset:640
	s_wait_loadcnt 0x1
	ds_store_b128 v18, v[40:43]
	s_wait_loadcnt 0x0
	ds_store_b128 v19, v[44:47]
	s_wait_dscnt 0x0
	s_barrier_signal -1
	s_barrier_wait -1
	ds_load_b128 v[40:43], v21
	ds_load_b128 v[44:47], v16 offset:640
	ds_load_b128 v[48:51], v21 offset:4608
	s_wait_dscnt 0x1
	;;#ASMSTART
	v_dot2_f32_f16 v37, v40, v44, v37
	;;#ASMEND
	;;#ASMSTART
	v_dot2_f32_f16 v37, v41, v45, v37
	;;#ASMEND
	;;#ASMSTART
	v_dot2_f32_f16 v37, v42, v46, v37
	;;#ASMEND
	;;#ASMSTART
	v_dot2_f32_f16 v37, v43, v47, v37
	;;#ASMEND
	s_wait_dscnt 0x0
	;;#ASMSTART
	v_dot2_f32_f16 v39, v48, v44, v39
	;;#ASMEND
	;;#ASMSTART
	v_dot2_f32_f16 v39, v49, v45, v39
	;;#ASMEND
	;;#ASMSTART
	v_dot2_f32_f16 v39, v50, v46, v39
	;;#ASMEND
	;;#ASMSTART
	v_dot2_f32_f16 v39, v51, v47, v39
	;;#ASMEND
	ds_load_b128 v[40:43], v21 offset:16
	ds_load_b128 v[44:47], v16 offset:656
	ds_load_b128 v[48:51], v21 offset:4624
	s_wait_dscnt 0x1
	;;#ASMSTART
	v_dot2_f32_f16 v37, v40, v44, v37
	;;#ASMEND
	;;#ASMSTART
	v_dot2_f32_f16 v37, v41, v45, v37
	;;#ASMEND
	;;#ASMSTART
	v_dot2_f32_f16 v37, v42, v46, v37
	;;#ASMEND
	;;#ASMSTART
	v_dot2_f32_f16 v37, v43, v47, v37
	;;#ASMEND
	s_wait_dscnt 0x0
	;;#ASMSTART
	v_dot2_f32_f16 v39, v48, v44, v39
	;;#ASMEND
	;;#ASMSTART
	v_dot2_f32_f16 v39, v49, v45, v39
	;;#ASMEND
	;;#ASMSTART
	v_dot2_f32_f16 v39, v50, v46, v39
	;;#ASMEND
	;;#ASMSTART
	v_dot2_f32_f16 v39, v51, v47, v39
	;;#ASMEND
	ds_load_b128 v[40:43], v21 offset:32
	;; [unrolled: 29-line block ×7, first 2 shown]
	ds_load_b128 v[44:47], v16 offset:752
	ds_load_b128 v[48:51], v21 offset:4720
	s_wait_dscnt 0x1
	;;#ASMSTART
	v_dot2_f32_f16 v37, v40, v44, v37
	;;#ASMEND
	;;#ASMSTART
	v_dot2_f32_f16 v37, v41, v45, v37
	;;#ASMEND
	;; [unrolled: 3-line block ×4, first 2 shown]
	s_wait_dscnt 0x0
	;;#ASMSTART
	v_dot2_f32_f16 v39, v48, v44, v39
	;;#ASMEND
	;;#ASMSTART
	v_dot2_f32_f16 v39, v49, v45, v39
	;;#ASMEND
	;; [unrolled: 3-line block ×4, first 2 shown]
	s_barrier_signal -1
	s_barrier_wait -1
	s_clause 0x1
	global_load_b128 v[40:43], v[10:11], off offset:768
	global_load_b128 v[44:47], v[12:13], off offset:768
	s_wait_loadcnt 0x1
	ds_store_b128 v18, v[40:43]
	s_wait_loadcnt 0x0
	ds_store_b128 v19, v[44:47]
	s_wait_dscnt 0x0
	s_barrier_signal -1
	s_barrier_wait -1
	ds_load_b128 v[40:43], v21
	ds_load_b128 v[44:47], v16 offset:768
	ds_load_b128 v[48:51], v21 offset:4608
	s_wait_dscnt 0x1
	;;#ASMSTART
	v_dot2_f32_f16 v37, v40, v44, v37
	;;#ASMEND
	;;#ASMSTART
	v_dot2_f32_f16 v37, v41, v45, v37
	;;#ASMEND
	;;#ASMSTART
	v_dot2_f32_f16 v37, v42, v46, v37
	;;#ASMEND
	;;#ASMSTART
	v_dot2_f32_f16 v37, v43, v47, v37
	;;#ASMEND
	s_wait_dscnt 0x0
	;;#ASMSTART
	v_dot2_f32_f16 v39, v48, v44, v39
	;;#ASMEND
	;;#ASMSTART
	v_dot2_f32_f16 v39, v49, v45, v39
	;;#ASMEND
	;;#ASMSTART
	v_dot2_f32_f16 v39, v50, v46, v39
	;;#ASMEND
	;;#ASMSTART
	v_dot2_f32_f16 v39, v51, v47, v39
	;;#ASMEND
	ds_load_b128 v[40:43], v21 offset:16
	ds_load_b128 v[44:47], v16 offset:784
	ds_load_b128 v[48:51], v21 offset:4624
	s_wait_dscnt 0x1
	;;#ASMSTART
	v_dot2_f32_f16 v37, v40, v44, v37
	;;#ASMEND
	;;#ASMSTART
	v_dot2_f32_f16 v37, v41, v45, v37
	;;#ASMEND
	;;#ASMSTART
	v_dot2_f32_f16 v37, v42, v46, v37
	;;#ASMEND
	;;#ASMSTART
	v_dot2_f32_f16 v37, v43, v47, v37
	;;#ASMEND
	s_wait_dscnt 0x0
	;;#ASMSTART
	v_dot2_f32_f16 v39, v48, v44, v39
	;;#ASMEND
	;;#ASMSTART
	v_dot2_f32_f16 v39, v49, v45, v39
	;;#ASMEND
	;;#ASMSTART
	v_dot2_f32_f16 v39, v50, v46, v39
	;;#ASMEND
	;;#ASMSTART
	v_dot2_f32_f16 v39, v51, v47, v39
	;;#ASMEND
	ds_load_b128 v[40:43], v21 offset:32
	;; [unrolled: 29-line block ×7, first 2 shown]
	ds_load_b128 v[44:47], v16 offset:880
	ds_load_b128 v[48:51], v21 offset:4720
	s_wait_dscnt 0x1
	;;#ASMSTART
	v_dot2_f32_f16 v37, v40, v44, v37
	;;#ASMEND
	;;#ASMSTART
	v_dot2_f32_f16 v37, v41, v45, v37
	;;#ASMEND
	;; [unrolled: 3-line block ×4, first 2 shown]
	s_wait_dscnt 0x0
	;;#ASMSTART
	v_dot2_f32_f16 v39, v48, v44, v39
	;;#ASMEND
	;;#ASMSTART
	v_dot2_f32_f16 v39, v49, v45, v39
	;;#ASMEND
	;; [unrolled: 3-line block ×4, first 2 shown]
	s_barrier_signal -1
	s_barrier_wait -1
	s_clause 0x1
	global_load_b128 v[40:43], v[10:11], off offset:896
	global_load_b128 v[44:47], v[12:13], off offset:896
	s_wait_loadcnt 0x1
	ds_store_b128 v18, v[40:43]
	s_wait_loadcnt 0x0
	ds_store_b128 v19, v[44:47]
	s_wait_dscnt 0x0
	s_barrier_signal -1
	s_barrier_wait -1
	ds_load_b128 v[40:43], v21
	ds_load_b128 v[44:47], v16 offset:896
	ds_load_b128 v[48:51], v21 offset:4608
	s_wait_dscnt 0x1
	;;#ASMSTART
	v_dot2_f32_f16 v37, v40, v44, v37
	;;#ASMEND
	;;#ASMSTART
	v_dot2_f32_f16 v37, v41, v45, v37
	;;#ASMEND
	;;#ASMSTART
	v_dot2_f32_f16 v37, v42, v46, v37
	;;#ASMEND
	;;#ASMSTART
	v_dot2_f32_f16 v37, v43, v47, v37
	;;#ASMEND
	s_wait_dscnt 0x0
	;;#ASMSTART
	v_dot2_f32_f16 v39, v48, v44, v39
	;;#ASMEND
	;;#ASMSTART
	v_dot2_f32_f16 v39, v49, v45, v39
	;;#ASMEND
	;;#ASMSTART
	v_dot2_f32_f16 v39, v50, v46, v39
	;;#ASMEND
	;;#ASMSTART
	v_dot2_f32_f16 v39, v51, v47, v39
	;;#ASMEND
	ds_load_b128 v[40:43], v21 offset:16
	ds_load_b128 v[44:47], v16 offset:912
	ds_load_b128 v[48:51], v21 offset:4624
	s_wait_dscnt 0x1
	;;#ASMSTART
	v_dot2_f32_f16 v37, v40, v44, v37
	;;#ASMEND
	;;#ASMSTART
	v_dot2_f32_f16 v37, v41, v45, v37
	;;#ASMEND
	;;#ASMSTART
	v_dot2_f32_f16 v37, v42, v46, v37
	;;#ASMEND
	;;#ASMSTART
	v_dot2_f32_f16 v37, v43, v47, v37
	;;#ASMEND
	s_wait_dscnt 0x0
	;;#ASMSTART
	v_dot2_f32_f16 v39, v48, v44, v39
	;;#ASMEND
	;;#ASMSTART
	v_dot2_f32_f16 v39, v49, v45, v39
	;;#ASMEND
	;;#ASMSTART
	v_dot2_f32_f16 v39, v50, v46, v39
	;;#ASMEND
	;;#ASMSTART
	v_dot2_f32_f16 v39, v51, v47, v39
	;;#ASMEND
	ds_load_b128 v[40:43], v21 offset:32
	;; [unrolled: 29-line block ×7, first 2 shown]
	ds_load_b128 v[44:47], v16 offset:1008
	ds_load_b128 v[48:51], v21 offset:4720
	s_wait_dscnt 0x1
	;;#ASMSTART
	v_dot2_f32_f16 v37, v40, v44, v37
	;;#ASMEND
	;;#ASMSTART
	v_dot2_f32_f16 v37, v41, v45, v37
	;;#ASMEND
	;; [unrolled: 3-line block ×4, first 2 shown]
	s_wait_dscnt 0x0
	;;#ASMSTART
	v_dot2_f32_f16 v39, v48, v44, v39
	;;#ASMEND
	;;#ASMSTART
	v_dot2_f32_f16 v39, v49, v45, v39
	;;#ASMEND
	;; [unrolled: 3-line block ×4, first 2 shown]
	s_barrier_signal -1
	s_barrier_wait -1
	s_clause 0x1
	global_load_b128 v[40:43], v[10:11], off offset:1024
	global_load_b128 v[44:47], v[12:13], off offset:1024
	s_wait_loadcnt 0x1
	ds_store_b128 v18, v[40:43]
	s_wait_loadcnt 0x0
	ds_store_b128 v19, v[44:47]
	s_wait_dscnt 0x0
	s_barrier_signal -1
	s_barrier_wait -1
	ds_load_b128 v[10:13], v21
	ds_load_b128 v[40:43], v16 offset:1024
	ds_load_b128 v[44:47], v21 offset:4608
	s_wait_dscnt 0x1
	;;#ASMSTART
	v_dot2_f32_f16 v37, v10, v40, v37
	;;#ASMEND
	;;#ASMSTART
	v_dot2_f32_f16 v37, v11, v41, v37
	;;#ASMEND
	;;#ASMSTART
	v_dot2_f32_f16 v37, v12, v42, v37
	;;#ASMEND
	;;#ASMSTART
	v_dot2_f32_f16 v37, v13, v43, v37
	;;#ASMEND
	s_wait_dscnt 0x0
	;;#ASMSTART
	v_dot2_f32_f16 v39, v44, v40, v39
	;;#ASMEND
	;;#ASMSTART
	v_dot2_f32_f16 v39, v45, v41, v39
	;;#ASMEND
	;;#ASMSTART
	v_dot2_f32_f16 v39, v46, v42, v39
	;;#ASMEND
	;;#ASMSTART
	v_dot2_f32_f16 v39, v47, v43, v39
	;;#ASMEND
	ds_load_b128 v[10:13], v21 offset:16
	ds_load_b128 v[40:43], v16 offset:1040
	ds_load_b128 v[44:47], v21 offset:4624
	s_wait_dscnt 0x1
	;;#ASMSTART
	v_dot2_f32_f16 v37, v10, v40, v37
	;;#ASMEND
	;;#ASMSTART
	v_dot2_f32_f16 v37, v11, v41, v37
	;;#ASMEND
	;;#ASMSTART
	v_dot2_f32_f16 v37, v12, v42, v37
	;;#ASMEND
	;;#ASMSTART
	v_dot2_f32_f16 v37, v13, v43, v37
	;;#ASMEND
	s_wait_dscnt 0x0
	;;#ASMSTART
	v_dot2_f32_f16 v39, v44, v40, v39
	;;#ASMEND
	;;#ASMSTART
	v_dot2_f32_f16 v39, v45, v41, v39
	;;#ASMEND
	;;#ASMSTART
	v_dot2_f32_f16 v39, v46, v42, v39
	;;#ASMEND
	;;#ASMSTART
	v_dot2_f32_f16 v39, v47, v43, v39
	;;#ASMEND
	ds_load_b128 v[10:13], v21 offset:32
	;; [unrolled: 29-line block ×7, first 2 shown]
	ds_load_b128 v[40:43], v16 offset:1136
	ds_load_b128 v[44:47], v21 offset:4720
	s_wait_dscnt 0x1
	;;#ASMSTART
	v_dot2_f32_f16 v37, v10, v40, v37
	;;#ASMEND
	;;#ASMSTART
	v_dot2_f32_f16 v37, v11, v41, v37
	;;#ASMEND
	;; [unrolled: 3-line block ×4, first 2 shown]
	v_cmp_ngt_f32_e64 s24, 0x3f200000, |v37|
	s_wait_dscnt 0x0
	;;#ASMSTART
	v_dot2_f32_f16 v39, v44, v40, v39
	;;#ASMEND
	;;#ASMSTART
	v_dot2_f32_f16 v39, v45, v41, v39
	;;#ASMEND
	;; [unrolled: 3-line block ×4, first 2 shown]
                                        ; implicit-def: $vgpr12
	s_and_saveexec_b32 s25, s24
	s_delay_alu instid0(SALU_CYCLE_1)
	s_xor_b32 s24, exec_lo, s25
	s_cbranch_execz .LBB27_13
; %bb.12:                               ;   in Loop: Header=BB27_11 Depth=1
	v_add_f32_e64 v10, |v37|, |v37|
	s_delay_alu instid0(VALU_DEP_1) | instskip(SKIP_1) | instid1(VALU_DEP_2)
	v_mul_f32_e32 v11, 0x3fb8aa3b, v10
	v_cmp_ngt_f32_e32 vcc_lo, 0xc2ce8ed0, v10
	v_rndne_f32_e32 v12, v11
	v_fma_f32 v13, 0x3fb8aa3b, v10, -v11
	s_delay_alu instid0(VALU_DEP_2) | instskip(NEXT) | instid1(VALU_DEP_2)
	v_sub_f32_e32 v11, v11, v12
	v_fmac_f32_e32 v13, 0x32a5705f, v10
	v_cvt_i32_f32_e32 v12, v12
	s_delay_alu instid0(VALU_DEP_2) | instskip(NEXT) | instid1(VALU_DEP_1)
	v_add_f32_e32 v11, v11, v13
	v_exp_f32_e32 v11, v11
	v_nop
	s_delay_alu instid0(TRANS32_DEP_1) | instskip(NEXT) | instid1(VALU_DEP_1)
	v_ldexp_f32 v11, v11, v12
	v_cndmask_b32_e32 v11, 0, v11, vcc_lo
	v_cmp_nlt_f32_e32 vcc_lo, 0x42b17218, v10
	s_delay_alu instid0(VALU_DEP_2) | instskip(NEXT) | instid1(VALU_DEP_1)
	v_cndmask_b32_e32 v10, 0x7f800000, v11, vcc_lo
	v_add_f32_e32 v10, 1.0, v10
	s_delay_alu instid0(VALU_DEP_1) | instskip(SKIP_1) | instid1(TRANS32_DEP_1)
	v_rcp_f32_e32 v10, v10
	v_nop
	v_fma_f32 v12, v10, -2.0, 1.0
.LBB27_13:                              ;   in Loop: Header=BB27_11 Depth=1
	s_and_not1_saveexec_b32 s24, s24
	s_cbranch_execz .LBB27_15
; %bb.14:                               ;   in Loop: Header=BB27_11 Depth=1
	v_mul_f32_e32 v10, v37, v37
	s_delay_alu instid0(VALU_DEP_1) | instskip(NEXT) | instid1(VALU_DEP_1)
	v_fmaak_f32 v11, s3, v10, 0x3ca908c9
	v_fmaak_f32 v11, v10, v11, 0xbd5c1c4e
	s_delay_alu instid0(VALU_DEP_1) | instskip(NEXT) | instid1(VALU_DEP_1)
	v_fmaak_f32 v11, v10, v11, 0x3e088382
	v_fmaak_f32 v11, v10, v11, 0xbeaaaa99
	s_delay_alu instid0(VALU_DEP_1) | instskip(NEXT) | instid1(VALU_DEP_1)
	v_mul_f32_e64 v11, |v37|, v11
	v_fma_f32 v12, v10, v11, |v37|
.LBB27_15:                              ;   in Loop: Header=BB27_11 Depth=1
	s_or_b32 exec_lo, exec_lo, s24
	v_add_nc_u32_e32 v10, s4, v22
	v_cmp_ngt_f32_e64 s24, 0x3f200000, |v39|
                                        ; implicit-def: $vgpr36
	global_load_u16 v13, v10, s[30:31] scale_offset
	s_wait_xcnt 0x0
	s_and_saveexec_b32 s25, s24
	s_delay_alu instid0(SALU_CYCLE_1)
	s_xor_b32 s24, exec_lo, s25
	s_cbranch_execz .LBB27_17
; %bb.16:                               ;   in Loop: Header=BB27_11 Depth=1
	v_add_f32_e64 v11, |v39|, |v39|
	s_delay_alu instid0(VALU_DEP_1) | instskip(SKIP_1) | instid1(VALU_DEP_2)
	v_mul_f32_e32 v36, 0x3fb8aa3b, v11
	v_cmp_ngt_f32_e32 vcc_lo, 0xc2ce8ed0, v11
	v_rndne_f32_e32 v40, v36
	v_fma_f32 v41, 0x3fb8aa3b, v11, -v36
	s_delay_alu instid0(VALU_DEP_1) | instskip(SKIP_1) | instid1(VALU_DEP_2)
	v_dual_sub_f32 v36, v36, v40 :: v_dual_fmac_f32 v41, 0x32a5705f, v11
	v_cvt_i32_f32_e32 v40, v40
	v_add_f32_e32 v36, v36, v41
	s_delay_alu instid0(VALU_DEP_1) | instskip(SKIP_1) | instid1(TRANS32_DEP_1)
	v_exp_f32_e32 v36, v36
	v_nop
	v_ldexp_f32 v36, v36, v40
	s_delay_alu instid0(VALU_DEP_1) | instskip(SKIP_1) | instid1(VALU_DEP_2)
	v_cndmask_b32_e32 v36, 0, v36, vcc_lo
	v_cmp_nlt_f32_e32 vcc_lo, 0x42b17218, v11
	v_cndmask_b32_e32 v11, 0x7f800000, v36, vcc_lo
	s_delay_alu instid0(VALU_DEP_1) | instskip(NEXT) | instid1(VALU_DEP_1)
	v_add_f32_e32 v11, 1.0, v11
	v_rcp_f32_e32 v11, v11
	v_nop
	s_delay_alu instid0(TRANS32_DEP_1)
	v_fma_f32 v36, v11, -2.0, 1.0
.LBB27_17:                              ;   in Loop: Header=BB27_11 Depth=1
	s_and_not1_saveexec_b32 s24, s24
	s_cbranch_execz .LBB27_19
; %bb.18:                               ;   in Loop: Header=BB27_11 Depth=1
	v_mul_f32_e32 v11, v39, v39
	s_delay_alu instid0(VALU_DEP_1) | instskip(NEXT) | instid1(VALU_DEP_1)
	v_fmaak_f32 v36, s3, v11, 0x3ca908c9
	v_fmaak_f32 v36, v11, v36, 0xbd5c1c4e
	s_delay_alu instid0(VALU_DEP_1) | instskip(NEXT) | instid1(VALU_DEP_1)
	v_fmaak_f32 v36, v11, v36, 0x3e088382
	v_fmaak_f32 v36, v11, v36, 0xbeaaaa99
	s_delay_alu instid0(VALU_DEP_1) | instskip(NEXT) | instid1(VALU_DEP_1)
	v_mul_f32_e64 v36, |v39|, v36
	v_fma_f32 v36, v11, v36, |v39|
.LBB27_19:                              ;   in Loop: Header=BB27_11 Depth=1
	s_or_b32 exec_lo, exec_lo, s24
	v_ashrrev_i32_e32 v11, 31, v10
	s_mul_u64 s[24:25], s[4:5], s[10:11]
	s_delay_alu instid0(VALU_DEP_1)
	v_lshl_add_u64 v[10:11], v[10:11], 1, s[30:31]
	global_load_u16 v40, v[10:11], off offset:64
	s_wait_xcnt 0x0
	v_lshl_add_u64 v[10:11], s[24:25], 2, v[8:9]
	s_wait_loadcnt 0x0
	s_barrier_signal -1
	s_barrier_wait -1
	s_clause 0x1
	global_load_b128 v[42:45], v[10:11], off
	global_load_b128 v[46:49], v[10:11], off offset:512
	s_wait_xcnt 0x0
	v_bfi_b32 v10, 0x7fffffff, v12, v37
	v_bfi_b32 v11, 0x7fffffff, v36, v39
	v_xor_b32_e32 v12, 16, v17
	s_or_b32 s24, s4, 8
	s_wait_kmcnt 0x0
	v_fma_mix_f32 v39, s21, v10, v13 op_sel_hi:[0,0,1]
	s_ashr_i32 s25, s24, 31
	v_cmp_gt_i32_e32 vcc_lo, 32, v12
	s_mul_u64 s[24:25], s[24:25], s[10:11]
	s_delay_alu instid0(SALU_CYCLE_1) | instskip(SKIP_3) | instid1(SALU_CYCLE_1)
	v_lshl_add_u64 v[84:85], s[24:25], 2, v[8:9]
	s_or_b32 s24, s4, 16
	v_cndmask_b32_e32 v10, v17, v12, vcc_lo
	s_ashr_i32 s25, s24, 31
	s_mul_u64 s[24:25], s[24:25], s[10:11]
	v_fma_mix_f32 v40, s21, v11, v40 op_sel_hi:[0,0,1]
	s_delay_alu instid0(VALU_DEP_2) | instskip(NEXT) | instid1(VALU_DEP_2)
	v_dual_add_f32 v11, 0x40051340, v39 :: v_dual_lshlrev_b32 v10, 2, v10
	v_add_f32_e32 v13, 0x40051340, v40
	s_delay_alu instid0(VALU_DEP_1) | instskip(SKIP_3) | instid1(VALU_DEP_1)
	v_max3_num_f32 v13, v38, v11, v13
	ds_bpermute_b32 v10, v10, v13
	s_wait_dscnt 0x0
	v_dual_max_num_f32 v10, v10, v10 :: v_dual_bitop2_b32 v11, 8, v17 bitop3:0x14
	v_cmp_gt_i32_e32 vcc_lo, 32, v11
	s_delay_alu instid0(VALU_DEP_2) | instskip(SKIP_1) | instid1(VALU_DEP_1)
	v_max_num_f32_e32 v10, v13, v10
	v_dual_cndmask_b32 v36, v17, v11, vcc_lo :: v_dual_bitop2_b32 v13, 4, v17 bitop3:0x14
	v_cmp_gt_i32_e32 vcc_lo, 32, v13
	s_delay_alu instid0(VALU_DEP_2) | instskip(SKIP_3) | instid1(VALU_DEP_1)
	v_dual_cndmask_b32 v37, v17, v13 :: v_dual_lshlrev_b32 v36, 2, v36
	ds_bpermute_b32 v36, v36, v10
	s_wait_dscnt 0x0
	v_dual_max_num_f32 v36, v36, v36 :: v_dual_lshlrev_b32 v37, 2, v37
	v_dual_max_num_f32 v10, v10, v36 :: v_dual_bitop2_b32 v36, 2, v17 bitop3:0x14
	ds_bpermute_b32 v37, v37, v10
	v_cmp_gt_i32_e32 vcc_lo, 32, v36
	s_wait_dscnt 0x0
	v_max_num_f32_e32 v37, v37, v37
	s_delay_alu instid0(VALU_DEP_1) | instskip(NEXT) | instid1(VALU_DEP_1)
	v_dual_cndmask_b32 v41, v17, v36 :: v_dual_max_num_f32 v10, v10, v37
	v_lshlrev_b32_e32 v41, 2, v41
	v_xor_b32_e32 v37, 1, v17
	ds_bpermute_b32 v41, v41, v10
	v_cmp_gt_i32_e32 vcc_lo, 32, v37
	v_cndmask_b32_e32 v50, v17, v37, vcc_lo
	s_wait_dscnt 0x0
	s_delay_alu instid0(VALU_DEP_1) | instskip(NEXT) | instid1(VALU_DEP_1)
	v_dual_max_num_f32 v41, v41, v41 :: v_dual_lshlrev_b32 v50, 2, v50
	v_max_num_f32_e32 v10, v10, v41
	ds_bpermute_b32 v41, v50, v10
	s_wait_dscnt 0x0
	v_max_num_f32_e32 v41, v41, v41
	s_delay_alu instid0(VALU_DEP_1) | instskip(NEXT) | instid1(VALU_DEP_1)
	v_max_num_f32_e32 v10, v10, v41
	v_sub_f32_e32 v39, v39, v10
	s_delay_alu instid0(VALU_DEP_1) | instskip(SKIP_1) | instid1(VALU_DEP_2)
	v_mul_f32_e32 v41, 0x3fb8aa3b, v39
	v_cmp_ngt_f32_e32 vcc_lo, 0xc2ce8ed0, v39
	v_fma_f32 v51, 0x3fb8aa3b, v39, -v41
	v_rndne_f32_e32 v52, v41
	s_delay_alu instid0(VALU_DEP_2) | instskip(SKIP_1) | instid1(VALU_DEP_2)
	v_dual_fmac_f32 v51, 0x32a5705f, v39 :: v_dual_sub_f32 v40, v40, v10
	v_sub_f32_e32 v38, v38, v10
	v_mul_f32_e32 v50, 0x3fb8aa3b, v40
	s_delay_alu instid0(VALU_DEP_1) | instskip(SKIP_3) | instid1(VALU_DEP_3)
	v_rndne_f32_e32 v54, v50
	v_sub_f32_e32 v41, v41, v52
	v_fma_f32 v53, 0x3fb8aa3b, v40, -v50
	v_cvt_i32_f32_e32 v52, v52
	v_dual_sub_f32 v50, v50, v54 :: v_dual_add_f32 v41, v41, v51
	v_cvt_i32_f32_e32 v54, v54
	s_delay_alu instid0(VALU_DEP_2) | instskip(SKIP_1) | instid1(TRANS32_DEP_1)
	v_exp_f32_e32 v41, v41
	v_nop
	v_ldexp_f32 v41, v41, v52
	s_delay_alu instid0(VALU_DEP_1) | instskip(SKIP_2) | instid1(VALU_DEP_1)
	v_cndmask_b32_e32 v41, 0, v41, vcc_lo
	v_cmp_ngt_f32_e32 vcc_lo, 0xc2ce8ed0, v40
	v_fmac_f32_e32 v53, 0x32a5705f, v40
	v_dual_mul_f32 v55, 0x3fb8aa3b, v38 :: v_dual_add_f32 v50, v50, v53
	s_delay_alu instid0(VALU_DEP_1) | instskip(SKIP_1) | instid1(VALU_DEP_3)
	v_fma_f32 v51, 0x3fb8aa3b, v38, -v55
	v_rndne_f32_e32 v53, v55
	v_exp_f32_e32 v50, v50
	s_delay_alu instid0(VALU_DEP_2) | instskip(NEXT) | instid1(VALU_DEP_2)
	v_fmac_f32_e32 v51, 0x32a5705f, v38
	v_sub_f32_e32 v55, v55, v53
	v_cvt_i32_f32_e32 v52, v53
	s_delay_alu instid0(TRANS32_DEP_1) | instskip(NEXT) | instid1(VALU_DEP_1)
	v_ldexp_f32 v50, v50, v54
	v_cndmask_b32_e32 v50, 0, v50, vcc_lo
	v_cmp_nlt_f32_e32 vcc_lo, 0x42b17218, v39
	v_cndmask_b32_e32 v39, 0x7f800000, v41, vcc_lo
	v_cmp_nlt_f32_e32 vcc_lo, 0x42b17218, v40
	s_delay_alu instid0(VALU_DEP_4) | instskip(NEXT) | instid1(VALU_DEP_1)
	v_dual_add_f32 v51, v55, v51 :: v_dual_cndmask_b32 v40, 0x7f800000, v50
	v_exp_f32_e32 v51, v51
	s_delay_alu instid0(VALU_DEP_3) | instskip(SKIP_1) | instid1(TRANS32_DEP_1)
	v_cvt_f16_f32_e32 v50, v39
	v_cmp_ngt_f32_e32 vcc_lo, 0xc2ce8ed0, v38
	v_ldexp_f32 v41, v51, v52
	v_cvt_f16_f32_e32 v51, v40
	ds_store_b16 v23, v50
	ds_store_b16 v23, v51 offset:64
	s_wait_loadcnt 0x1
	ds_store_b128 v24, v[42:45]
	s_wait_loadcnt 0x0
	ds_store_b128 v25, v[46:49]
	s_wait_dscnt 0x0
	s_barrier_signal -1
	s_barrier_wait -1
	ds_load_b128 v[44:47], v20
	v_cndmask_b32_e32 v41, 0, v41, vcc_lo
	v_cmp_nlt_f32_e32 vcc_lo, 0x42b17218, v38
	ds_load_2addr_b64 v[48:51], v26 offset0:64 offset1:96
	v_add_nc_u32_e32 v43, 0x800, v26
	v_add_nc_u32_e32 v42, 0x1800, v26
	v_cndmask_b32_e32 v38, 0x7f800000, v41, vcc_lo
	v_add_nc_u32_e32 v41, 0x1000, v26
	s_delay_alu instid0(VALU_DEP_2) | instskip(NEXT) | instid1(VALU_DEP_1)
	v_cvt_f16_f32_e32 v52, v38
	v_and_b32_e32 v72, 0xffff, v52
	ds_load_2addr_b64 v[52:55], v26 offset1:32
	ds_load_2addr_b64 v[56:59], v26 offset0:128 offset1:160
	ds_load_2addr_b64 v[60:63], v26 offset0:192 offset1:224
	;; [unrolled: 1-line block ×3, first 2 shown]
	ds_load_2addr_b64 v[68:71], v43 offset1:32
	s_wait_dscnt 0x6
	v_and_b32_e32 v87, 0xffff, v44
	v_lshrrev_b32_e32 v44, 16, v44
	v_mul_u32_u24_e32 v86, 0x10001, v72
	ds_load_2addr_b64 v[72:75], v43 offset0:192 offset1:224
	ds_load_2addr_b64 v[76:79], v43 offset0:128 offset1:160
	v_and_b32_e32 v88, 0xffff, v45
	v_mul_u32_u24_e32 v87, 0x10001, v87
	v_mul_u32_u24_e32 v44, 0x10001, v44
	v_pk_mul_f16 v35, v35, v86
	v_pk_mul_f16 v34, v34, v86
	v_pk_mul_f16 v31, v31, v86
	v_pk_mul_f16 v30, v30, v86
	v_pk_mul_f16 v29, v29, v86
	v_pk_mul_f16 v28, v28, v86
	v_lshrrev_b32_e32 v45, 16, v45
	s_wait_dscnt 0x7
	v_pk_fma_f16 v48, v48, v87, v31
	v_pk_fma_f16 v49, v49, v87, v30
	;; [unrolled: 1-line block ×4, first 2 shown]
	s_wait_dscnt 0x6
	v_pk_mul_f16 v52, v52, v87
	v_pk_fma_f16 v35, v54, v87, v35
	v_pk_fma_f16 v34, v55, v87, v34
	v_pk_mul_f16 v87, v53, v87
	s_wait_dscnt 0x4
	v_pk_fma_f16 v60, v60, v44, v48
	v_pk_fma_f16 v33, v33, v86, v52
	;; [unrolled: 1-line block ×6, first 2 shown]
	v_mul_u32_u24_e32 v86, 0x10001, v88
	v_pk_fma_f16 v87, v58, v44, v35
	v_pk_fma_f16 v88, v59, v44, v34
	;; [unrolled: 1-line block ×4, first 2 shown]
	s_wait_dscnt 0x3
	v_pk_fma_f16 v64, v64, v86, v60
	v_pk_fma_f16 v65, v65, v86, v61
	v_pk_fma_f16 v66, v66, v86, v62
	v_pk_fma_f16 v67, v67, v86, v63
	v_mul_u32_u24_e32 v45, 0x10001, v45
	s_wait_dscnt 0x2
	v_pk_fma_f16 v70, v70, v86, v87
	v_pk_fma_f16 v71, v71, v86, v88
	;; [unrolled: 1-line block ×4, first 2 shown]
	ds_load_2addr_b64 v[80:83], v41 offset0:64 offset1:96
	ds_load_2addr_b64 v[28:31], v41 offset1:32
	ds_load_2addr_b64 v[48:51], v41 offset0:192 offset1:224
	ds_load_2addr_b64 v[52:55], v41 offset0:128 offset1:160
	ds_load_2addr_b64 v[32:35], v42 offset1:32
	ds_load_2addr_b64 v[56:59], v42 offset0:64 offset1:96
	ds_load_2addr_b64 v[60:63], v42 offset0:128 offset1:160
	s_wait_dscnt 0x8
	v_pk_fma_f16 v72, v72, v45, v64
	v_pk_fma_f16 v73, v73, v45, v65
	;; [unrolled: 1-line block ×4, first 2 shown]
	ds_load_2addr_b64 v[64:67], v42 offset0:192 offset1:224
	s_wait_dscnt 0x0
	s_barrier_signal -1
	s_barrier_wait -1
	v_and_b32_e32 v86, 0xffff, v46
	v_lshrrev_b32_e32 v87, 16, v46
	v_and_b32_e32 v88, 0xffff, v47
	v_lshrrev_b32_e32 v89, 16, v47
	v_pk_fma_f16 v78, v78, v45, v70
	v_pk_fma_f16 v79, v79, v45, v71
	;; [unrolled: 1-line block ×4, first 2 shown]
	s_clause 0x1
	global_load_b128 v[44:47], v[84:85], off
	global_load_b128 v[68:71], v[84:85], off offset:512
	s_wait_xcnt 0x0
	v_mul_u32_u24_e32 v84, 0x10001, v86
	v_mul_u32_u24_e32 v85, 0x10001, v87
	;; [unrolled: 1-line block ×4, first 2 shown]
	v_lshl_add_u64 v[76:77], s[24:25], 2, v[8:9]
	v_pk_fma_f16 v72, v80, v84, v72
	v_pk_fma_f16 v73, v81, v84, v73
	;; [unrolled: 1-line block ×15, first 2 shown]
	s_or_b32 s24, s4, 24
	s_wait_loadcnt 0x1
	ds_store_b128 v24, v[44:47]
	s_wait_loadcnt 0x0
	ds_store_b128 v25, v[68:71]
	s_wait_dscnt 0x0
	s_barrier_signal -1
	s_barrier_wait -1
	ds_load_b128 v[28:31], v20 offset:16
	v_pk_fma_f16 v44, v53, v85, v78
	v_pk_fma_f16 v45, v56, v86, v48
	;; [unrolled: 1-line block ×9, first 2 shown]
	ds_load_2addr_b64 v[32:35], v26 offset1:32
	v_pk_fma_f16 v80, v64, v87, v45
	v_pk_fma_f16 v81, v65, v87, v46
	;; [unrolled: 1-line block ×3, first 2 shown]
	ds_load_2addr_b64 v[44:47], v26 offset0:64 offset1:96
	v_pk_fma_f16 v78, v62, v87, v49
	v_pk_fma_f16 v79, v63, v87, v50
	;; [unrolled: 1-line block ×5, first 2 shown]
	ds_load_2addr_b64 v[48:51], v26 offset0:128 offset1:160
	ds_load_2addr_b64 v[52:55], v26 offset0:192 offset1:224
	ds_load_2addr_b64 v[56:59], v43 offset1:32
	ds_load_2addr_b64 v[60:63], v43 offset0:64 offset1:96
	s_wait_dscnt 0x6
	v_and_b32_e32 v64, 0xffff, v28
	v_dual_lshrrev_b32 v28, 16, v28 :: v_dual_lshrrev_b32 v88, 16, v31
	v_and_b32_e32 v87, 0xffff, v31
	s_ashr_i32 s25, s24, 31
	s_delay_alu instid0(VALU_DEP_3)
	v_mul_u32_u24_e32 v86, 0x10001, v64
	ds_load_2addr_b64 v[64:67], v43 offset0:128 offset1:160
	ds_load_2addr_b64 v[68:71], v43 offset0:192 offset1:224
	ds_load_2addr_b64 v[72:75], v41 offset1:32
	v_mul_u32_u24_e32 v28, 0x10001, v28
	v_mul_u32_u24_e32 v87, 0x10001, v87
	;; [unrolled: 1-line block ×3, first 2 shown]
	s_wait_dscnt 0x8
	v_pk_fma_f16 v84, v32, v86, v84
	v_pk_fma_f16 v85, v33, v86, v85
	;; [unrolled: 1-line block ×4, first 2 shown]
	s_wait_dscnt 0x7
	v_pk_fma_f16 v80, v44, v86, v80
	v_pk_fma_f16 v81, v45, v86, v81
	;; [unrolled: 1-line block ×4, first 2 shown]
	v_and_b32_e32 v86, 0xffff, v29
	s_wait_dscnt 0x6
	v_pk_fma_f16 v84, v48, v28, v84
	v_pk_fma_f16 v85, v49, v28, v85
	v_pk_fma_f16 v78, v50, v28, v78
	v_pk_fma_f16 v79, v51, v28, v79
	v_mul_u32_u24_e32 v86, 0x10001, v86
	s_wait_dscnt 0x5
	v_pk_fma_f16 v80, v52, v28, v80
	v_pk_fma_f16 v81, v53, v28, v81
	v_pk_fma_f16 v82, v54, v28, v82
	v_pk_fma_f16 v28, v55, v28, v83
	v_lshrrev_b32_e32 v29, 16, v29
	s_wait_dscnt 0x4
	v_pk_fma_f16 v83, v56, v86, v84
	v_pk_fma_f16 v84, v57, v86, v85
	;; [unrolled: 1-line block ×4, first 2 shown]
	v_mul_u32_u24_e32 v29, 0x10001, v29
	s_wait_dscnt 0x3
	v_pk_fma_f16 v80, v60, v86, v80
	v_pk_fma_f16 v81, v61, v86, v81
	;; [unrolled: 1-line block ×4, first 2 shown]
	ds_load_2addr_b64 v[32:35], v41 offset0:64 offset1:96
	ds_load_2addr_b64 v[44:47], v41 offset0:128 offset1:160
	;; [unrolled: 1-line block ×3, first 2 shown]
	ds_load_2addr_b64 v[52:55], v42 offset1:32
	ds_load_2addr_b64 v[56:59], v42 offset0:64 offset1:96
	ds_load_2addr_b64 v[60:63], v42 offset0:128 offset1:160
	s_wait_dscnt 0x8
	v_pk_fma_f16 v83, v64, v29, v83
	v_pk_fma_f16 v84, v65, v29, v84
	;; [unrolled: 1-line block ×4, first 2 shown]
	ds_load_2addr_b64 v[64:67], v42 offset0:192 offset1:224
	s_wait_dscnt 0x0
	s_barrier_signal -1
	s_barrier_wait -1
	v_and_b32_e32 v85, 0xffff, v30
	v_lshrrev_b32_e32 v86, 16, v30
	v_pk_fma_f16 v80, v68, v29, v80
	v_pk_fma_f16 v81, v69, v29, v81
	;; [unrolled: 1-line block ×4, first 2 shown]
	s_clause 0x1
	global_load_b128 v[28:31], v[76:77], off
	global_load_b128 v[68:71], v[76:77], off offset:512
	v_mul_u32_u24_e32 v85, 0x10001, v85
	v_mul_u32_u24_e32 v86, 0x10001, v86
	s_mul_u64 s[24:25], s[24:25], s[10:11]
	s_wait_loadcnt 0x1
	ds_store_b128 v24, v[28:31]
	s_wait_loadcnt 0x0
	ds_store_b128 v25, v[68:71]
	v_pk_fma_f16 v72, v72, v85, v83
	v_pk_fma_f16 v73, v73, v85, v84
	;; [unrolled: 1-line block ×12, first 2 shown]
	s_wait_dscnt 0x0
	s_barrier_signal -1
	s_barrier_wait -1
	ds_load_b128 v[28:31], v20 offset:32
	v_pk_fma_f16 v32, v48, v86, v32
	v_pk_fma_f16 v33, v49, v86, v33
	;; [unrolled: 1-line block ×12, first 2 shown]
	ds_load_2addr_b64 v[32:35], v26 offset1:32
	v_pk_fma_f16 v78, v60, v88, v44
	v_pk_fma_f16 v79, v61, v88, v45
	;; [unrolled: 1-line block ×4, first 2 shown]
	ds_load_2addr_b64 v[44:47], v26 offset0:64 offset1:96
	v_pk_fma_f16 v82, v64, v88, v48
	v_pk_fma_f16 v83, v65, v88, v49
	;; [unrolled: 1-line block ×4, first 2 shown]
	ds_load_2addr_b64 v[48:51], v26 offset0:128 offset1:160
	ds_load_2addr_b64 v[52:55], v26 offset0:192 offset1:224
	ds_load_2addr_b64 v[56:59], v43 offset1:32
	ds_load_2addr_b64 v[60:63], v43 offset0:64 offset1:96
	s_wait_dscnt 0x6
	v_and_b32_e32 v64, 0xffff, v28
	v_lshrrev_b32_e32 v28, 16, v28
	v_lshl_add_u64 v[76:77], s[24:25], 2, v[8:9]
	v_and_b32_e32 v87, 0xffff, v31
	v_lshrrev_b32_e32 v88, 16, v31
	v_mul_u32_u24_e32 v86, 0x10001, v64
	ds_load_2addr_b64 v[64:67], v43 offset0:128 offset1:160
	ds_load_2addr_b64 v[68:71], v43 offset0:192 offset1:224
	ds_load_2addr_b64 v[72:75], v41 offset1:32
	s_or_b32 s24, s4, 32
	v_mul_u32_u24_e32 v87, 0x10001, v87
	v_mul_u32_u24_e32 v88, 0x10001, v88
	s_wait_dscnt 0x8
	v_pk_fma_f16 v78, v32, v86, v78
	v_pk_fma_f16 v79, v33, v86, v79
	;; [unrolled: 1-line block ×4, first 2 shown]
	s_wait_dscnt 0x7
	v_pk_fma_f16 v82, v44, v86, v82
	v_pk_fma_f16 v83, v45, v86, v83
	;; [unrolled: 1-line block ×4, first 2 shown]
	v_and_b32_e32 v86, 0xffff, v29
	v_lshrrev_b32_e32 v29, 16, v29
	v_mul_u32_u24_e32 v28, 0x10001, v28
	ds_load_2addr_b64 v[32:35], v41 offset0:64 offset1:96
	ds_load_2addr_b64 v[44:47], v41 offset0:128 offset1:160
	v_mul_u32_u24_e32 v86, 0x10001, v86
	v_mul_u32_u24_e32 v29, 0x10001, v29
	s_wait_dscnt 0x8
	v_pk_fma_f16 v78, v48, v28, v78
	v_pk_fma_f16 v79, v49, v28, v79
	v_pk_fma_f16 v80, v50, v28, v80
	v_pk_fma_f16 v81, v51, v28, v81
	s_wait_dscnt 0x7
	v_pk_fma_f16 v82, v52, v28, v82
	v_pk_fma_f16 v83, v53, v28, v83
	v_pk_fma_f16 v84, v54, v28, v84
	v_pk_fma_f16 v28, v55, v28, v85
	;; [unrolled: 5-line block ×4, first 2 shown]
	ds_load_2addr_b64 v[48:51], v41 offset0:192 offset1:224
	ds_load_2addr_b64 v[52:55], v42 offset1:32
	ds_load_2addr_b64 v[56:59], v42 offset0:64 offset1:96
	ds_load_2addr_b64 v[60:63], v42 offset0:128 offset1:160
	s_wait_dscnt 0x8
	v_pk_fma_f16 v78, v64, v29, v78
	v_pk_fma_f16 v79, v65, v29, v79
	;; [unrolled: 1-line block ×4, first 2 shown]
	ds_load_2addr_b64 v[64:67], v42 offset0:192 offset1:224
	s_wait_dscnt 0x0
	s_barrier_signal -1
	s_barrier_wait -1
	v_and_b32_e32 v85, 0xffff, v30
	v_lshrrev_b32_e32 v86, 16, v30
	v_pk_fma_f16 v82, v68, v29, v82
	v_pk_fma_f16 v83, v69, v29, v83
	;; [unrolled: 1-line block ×4, first 2 shown]
	s_clause 0x1
	global_load_b128 v[28:31], v[76:77], off
	global_load_b128 v[68:71], v[76:77], off offset:512
	v_mul_u32_u24_e32 v85, 0x10001, v85
	v_mul_u32_u24_e32 v86, 0x10001, v86
	s_ashr_i32 s25, s24, 31
	s_wait_loadcnt 0x1
	ds_store_b128 v24, v[28:31]
	s_wait_loadcnt 0x0
	ds_store_b128 v25, v[68:71]
	v_pk_fma_f16 v72, v72, v85, v78
	v_pk_fma_f16 v73, v73, v85, v79
	;; [unrolled: 1-line block ×12, first 2 shown]
	s_wait_dscnt 0x0
	s_barrier_signal -1
	s_barrier_wait -1
	ds_load_b128 v[28:31], v20 offset:48
	v_pk_fma_f16 v32, v48, v86, v32
	v_pk_fma_f16 v33, v49, v86, v33
	;; [unrolled: 1-line block ×12, first 2 shown]
	ds_load_2addr_b64 v[32:35], v26 offset1:32
	v_pk_fma_f16 v78, v60, v88, v44
	v_pk_fma_f16 v79, v61, v88, v45
	;; [unrolled: 1-line block ×4, first 2 shown]
	ds_load_2addr_b64 v[44:47], v26 offset0:64 offset1:96
	v_pk_fma_f16 v82, v64, v88, v48
	v_pk_fma_f16 v83, v65, v88, v49
	;; [unrolled: 1-line block ×4, first 2 shown]
	ds_load_2addr_b64 v[48:51], v26 offset0:128 offset1:160
	ds_load_2addr_b64 v[52:55], v26 offset0:192 offset1:224
	ds_load_2addr_b64 v[56:59], v43 offset1:32
	ds_load_2addr_b64 v[60:63], v43 offset0:64 offset1:96
	s_wait_dscnt 0x6
	v_and_b32_e32 v64, 0xffff, v28
	v_lshrrev_b32_e32 v28, 16, v28
	s_mul_u64 s[24:25], s[24:25], s[10:11]
	v_and_b32_e32 v87, 0xffff, v31
	v_lshl_add_u64 v[76:77], s[24:25], 2, v[8:9]
	v_mul_u32_u24_e32 v86, 0x10001, v64
	ds_load_2addr_b64 v[64:67], v43 offset0:128 offset1:160
	ds_load_2addr_b64 v[68:71], v43 offset0:192 offset1:224
	ds_load_2addr_b64 v[72:75], v41 offset1:32
	v_lshrrev_b32_e32 v88, 16, v31
	v_mul_u32_u24_e32 v87, 0x10001, v87
	s_or_b32 s24, s4, 40
	s_wait_dscnt 0x8
	v_pk_fma_f16 v78, v32, v86, v78
	v_pk_fma_f16 v79, v33, v86, v79
	;; [unrolled: 1-line block ×4, first 2 shown]
	s_wait_dscnt 0x7
	v_pk_fma_f16 v82, v44, v86, v82
	v_pk_fma_f16 v83, v45, v86, v83
	;; [unrolled: 1-line block ×4, first 2 shown]
	v_and_b32_e32 v86, 0xffff, v29
	v_lshrrev_b32_e32 v29, 16, v29
	v_mul_u32_u24_e32 v28, 0x10001, v28
	ds_load_2addr_b64 v[32:35], v41 offset0:64 offset1:96
	ds_load_2addr_b64 v[44:47], v41 offset0:128 offset1:160
	v_mul_u32_u24_e32 v86, 0x10001, v86
	v_mul_u32_u24_e32 v29, 0x10001, v29
	s_wait_dscnt 0x8
	v_pk_fma_f16 v78, v48, v28, v78
	v_pk_fma_f16 v79, v49, v28, v79
	v_pk_fma_f16 v80, v50, v28, v80
	v_pk_fma_f16 v81, v51, v28, v81
	s_wait_dscnt 0x7
	v_pk_fma_f16 v82, v52, v28, v82
	v_pk_fma_f16 v83, v53, v28, v83
	v_pk_fma_f16 v84, v54, v28, v84
	v_pk_fma_f16 v28, v55, v28, v85
	;; [unrolled: 5-line block ×4, first 2 shown]
	ds_load_2addr_b64 v[48:51], v41 offset0:192 offset1:224
	ds_load_2addr_b64 v[52:55], v42 offset1:32
	ds_load_2addr_b64 v[56:59], v42 offset0:64 offset1:96
	ds_load_2addr_b64 v[60:63], v42 offset0:128 offset1:160
	s_wait_dscnt 0x8
	v_pk_fma_f16 v78, v64, v29, v78
	v_pk_fma_f16 v79, v65, v29, v79
	;; [unrolled: 1-line block ×4, first 2 shown]
	ds_load_2addr_b64 v[64:67], v42 offset0:192 offset1:224
	s_wait_dscnt 0x0
	s_barrier_signal -1
	s_barrier_wait -1
	v_and_b32_e32 v85, 0xffff, v30
	v_lshrrev_b32_e32 v86, 16, v30
	v_pk_fma_f16 v82, v68, v29, v82
	v_pk_fma_f16 v83, v69, v29, v83
	;; [unrolled: 1-line block ×4, first 2 shown]
	s_clause 0x1
	global_load_b128 v[28:31], v[76:77], off
	global_load_b128 v[68:71], v[76:77], off offset:512
	v_mul_u32_u24_e32 v85, 0x10001, v85
	v_mul_u32_u24_e32 v86, 0x10001, v86
	;; [unrolled: 1-line block ×3, first 2 shown]
	s_ashr_i32 s25, s24, 31
	s_wait_loadcnt 0x1
	ds_store_b128 v24, v[28:31]
	s_wait_loadcnt 0x0
	ds_store_b128 v25, v[68:71]
	v_pk_fma_f16 v72, v72, v85, v78
	v_pk_fma_f16 v73, v73, v85, v79
	;; [unrolled: 1-line block ×12, first 2 shown]
	s_wait_dscnt 0x0
	s_barrier_signal -1
	s_barrier_wait -1
	ds_load_b128 v[28:31], v20 offset:64
	v_pk_fma_f16 v32, v48, v86, v32
	v_pk_fma_f16 v33, v49, v86, v33
	;; [unrolled: 1-line block ×12, first 2 shown]
	ds_load_2addr_b64 v[32:35], v26 offset1:32
	v_pk_fma_f16 v78, v60, v88, v44
	v_pk_fma_f16 v79, v61, v88, v45
	;; [unrolled: 1-line block ×4, first 2 shown]
	ds_load_2addr_b64 v[44:47], v26 offset0:64 offset1:96
	v_pk_fma_f16 v82, v64, v88, v48
	v_pk_fma_f16 v83, v65, v88, v49
	v_pk_fma_f16 v84, v66, v88, v50
	v_pk_fma_f16 v85, v67, v88, v51
	ds_load_2addr_b64 v[48:51], v26 offset0:128 offset1:160
	ds_load_2addr_b64 v[52:55], v26 offset0:192 offset1:224
	ds_load_2addr_b64 v[56:59], v43 offset1:32
	ds_load_2addr_b64 v[60:63], v43 offset0:64 offset1:96
	s_wait_dscnt 0x6
	v_and_b32_e32 v64, 0xffff, v28
	v_lshrrev_b32_e32 v28, 16, v28
	s_mul_u64 s[24:25], s[24:25], s[10:11]
	v_and_b32_e32 v87, 0xffff, v31
	v_lshl_add_u64 v[76:77], s[24:25], 2, v[8:9]
	v_mul_u32_u24_e32 v86, 0x10001, v64
	ds_load_2addr_b64 v[64:67], v43 offset0:128 offset1:160
	ds_load_2addr_b64 v[68:71], v43 offset0:192 offset1:224
	ds_load_2addr_b64 v[72:75], v41 offset1:32
	v_lshrrev_b32_e32 v88, 16, v31
	v_mul_u32_u24_e32 v87, 0x10001, v87
	s_or_b32 s24, s4, 48
	s_wait_dscnt 0x8
	v_pk_fma_f16 v78, v32, v86, v78
	v_pk_fma_f16 v79, v33, v86, v79
	;; [unrolled: 1-line block ×4, first 2 shown]
	s_wait_dscnt 0x7
	v_pk_fma_f16 v82, v44, v86, v82
	v_pk_fma_f16 v83, v45, v86, v83
	;; [unrolled: 1-line block ×4, first 2 shown]
	v_and_b32_e32 v86, 0xffff, v29
	v_lshrrev_b32_e32 v29, 16, v29
	v_mul_u32_u24_e32 v28, 0x10001, v28
	ds_load_2addr_b64 v[32:35], v41 offset0:64 offset1:96
	ds_load_2addr_b64 v[44:47], v41 offset0:128 offset1:160
	v_mul_u32_u24_e32 v86, 0x10001, v86
	v_mul_u32_u24_e32 v29, 0x10001, v29
	s_wait_dscnt 0x8
	v_pk_fma_f16 v78, v48, v28, v78
	v_pk_fma_f16 v79, v49, v28, v79
	v_pk_fma_f16 v80, v50, v28, v80
	v_pk_fma_f16 v81, v51, v28, v81
	s_wait_dscnt 0x7
	v_pk_fma_f16 v82, v52, v28, v82
	v_pk_fma_f16 v83, v53, v28, v83
	v_pk_fma_f16 v84, v54, v28, v84
	v_pk_fma_f16 v28, v55, v28, v85
	;; [unrolled: 5-line block ×4, first 2 shown]
	ds_load_2addr_b64 v[48:51], v41 offset0:192 offset1:224
	ds_load_2addr_b64 v[52:55], v42 offset1:32
	ds_load_2addr_b64 v[56:59], v42 offset0:64 offset1:96
	ds_load_2addr_b64 v[60:63], v42 offset0:128 offset1:160
	s_wait_dscnt 0x8
	v_pk_fma_f16 v78, v64, v29, v78
	v_pk_fma_f16 v79, v65, v29, v79
	;; [unrolled: 1-line block ×4, first 2 shown]
	ds_load_2addr_b64 v[64:67], v42 offset0:192 offset1:224
	s_wait_dscnt 0x0
	s_barrier_signal -1
	s_barrier_wait -1
	v_and_b32_e32 v85, 0xffff, v30
	v_lshrrev_b32_e32 v86, 16, v30
	v_pk_fma_f16 v82, v68, v29, v82
	v_pk_fma_f16 v83, v69, v29, v83
	;; [unrolled: 1-line block ×4, first 2 shown]
	s_clause 0x1
	global_load_b128 v[28:31], v[76:77], off
	global_load_b128 v[68:71], v[76:77], off offset:512
	v_mul_u32_u24_e32 v85, 0x10001, v85
	v_mul_u32_u24_e32 v86, 0x10001, v86
	;; [unrolled: 1-line block ×3, first 2 shown]
	s_ashr_i32 s25, s24, 31
	s_wait_loadcnt 0x1
	ds_store_b128 v24, v[28:31]
	s_wait_loadcnt 0x0
	ds_store_b128 v25, v[68:71]
	v_pk_fma_f16 v72, v72, v85, v78
	v_pk_fma_f16 v73, v73, v85, v79
	;; [unrolled: 1-line block ×12, first 2 shown]
	s_wait_dscnt 0x0
	s_barrier_signal -1
	s_barrier_wait -1
	ds_load_b128 v[28:31], v20 offset:80
	v_pk_fma_f16 v32, v48, v86, v32
	v_pk_fma_f16 v33, v49, v86, v33
	;; [unrolled: 1-line block ×12, first 2 shown]
	ds_load_2addr_b64 v[32:35], v26 offset1:32
	v_pk_fma_f16 v78, v60, v88, v44
	v_pk_fma_f16 v79, v61, v88, v45
	;; [unrolled: 1-line block ×4, first 2 shown]
	ds_load_2addr_b64 v[44:47], v26 offset0:64 offset1:96
	v_pk_fma_f16 v82, v64, v88, v48
	v_pk_fma_f16 v83, v65, v88, v49
	;; [unrolled: 1-line block ×4, first 2 shown]
	ds_load_2addr_b64 v[48:51], v26 offset0:128 offset1:160
	ds_load_2addr_b64 v[52:55], v26 offset0:192 offset1:224
	ds_load_2addr_b64 v[56:59], v43 offset1:32
	ds_load_2addr_b64 v[60:63], v43 offset0:64 offset1:96
	s_wait_dscnt 0x6
	v_and_b32_e32 v64, 0xffff, v28
	v_lshrrev_b32_e32 v28, 16, v28
	s_mul_u64 s[24:25], s[24:25], s[10:11]
	v_and_b32_e32 v87, 0xffff, v31
	v_lshl_add_u64 v[76:77], s[24:25], 2, v[8:9]
	v_mul_u32_u24_e32 v86, 0x10001, v64
	ds_load_2addr_b64 v[64:67], v43 offset0:128 offset1:160
	ds_load_2addr_b64 v[68:71], v43 offset0:192 offset1:224
	ds_load_2addr_b64 v[72:75], v41 offset1:32
	v_lshrrev_b32_e32 v88, 16, v31
	v_mul_u32_u24_e32 v87, 0x10001, v87
	s_or_b32 s24, s4, 56
	s_wait_dscnt 0x8
	v_pk_fma_f16 v78, v32, v86, v78
	v_pk_fma_f16 v79, v33, v86, v79
	;; [unrolled: 1-line block ×4, first 2 shown]
	s_wait_dscnt 0x7
	v_pk_fma_f16 v82, v44, v86, v82
	v_pk_fma_f16 v83, v45, v86, v83
	;; [unrolled: 1-line block ×4, first 2 shown]
	v_and_b32_e32 v86, 0xffff, v29
	v_lshrrev_b32_e32 v29, 16, v29
	v_mul_u32_u24_e32 v28, 0x10001, v28
	ds_load_2addr_b64 v[32:35], v41 offset0:64 offset1:96
	ds_load_2addr_b64 v[44:47], v41 offset0:128 offset1:160
	v_mul_u32_u24_e32 v86, 0x10001, v86
	v_mul_u32_u24_e32 v29, 0x10001, v29
	s_wait_dscnt 0x8
	v_pk_fma_f16 v78, v48, v28, v78
	v_pk_fma_f16 v79, v49, v28, v79
	v_pk_fma_f16 v80, v50, v28, v80
	v_pk_fma_f16 v81, v51, v28, v81
	s_wait_dscnt 0x7
	v_pk_fma_f16 v82, v52, v28, v82
	v_pk_fma_f16 v83, v53, v28, v83
	v_pk_fma_f16 v84, v54, v28, v84
	v_pk_fma_f16 v28, v55, v28, v85
	;; [unrolled: 5-line block ×4, first 2 shown]
	ds_load_2addr_b64 v[48:51], v41 offset0:192 offset1:224
	ds_load_2addr_b64 v[52:55], v42 offset1:32
	ds_load_2addr_b64 v[56:59], v42 offset0:64 offset1:96
	ds_load_2addr_b64 v[60:63], v42 offset0:128 offset1:160
	s_wait_dscnt 0x8
	v_pk_fma_f16 v78, v64, v29, v78
	v_pk_fma_f16 v79, v65, v29, v79
	;; [unrolled: 1-line block ×4, first 2 shown]
	ds_load_2addr_b64 v[64:67], v42 offset0:192 offset1:224
	s_wait_dscnt 0x0
	s_barrier_signal -1
	s_barrier_wait -1
	v_and_b32_e32 v85, 0xffff, v30
	v_lshrrev_b32_e32 v86, 16, v30
	v_pk_fma_f16 v82, v68, v29, v82
	v_pk_fma_f16 v83, v69, v29, v83
	;; [unrolled: 1-line block ×4, first 2 shown]
	s_clause 0x1
	global_load_b128 v[28:31], v[76:77], off
	global_load_b128 v[68:71], v[76:77], off offset:512
	v_mul_u32_u24_e32 v85, 0x10001, v85
	v_mul_u32_u24_e32 v86, 0x10001, v86
	;; [unrolled: 1-line block ×3, first 2 shown]
	s_ashr_i32 s25, s24, 31
	s_wait_loadcnt 0x1
	ds_store_b128 v24, v[28:31]
	s_wait_loadcnt 0x0
	ds_store_b128 v25, v[68:71]
	v_pk_fma_f16 v72, v72, v85, v78
	v_pk_fma_f16 v73, v73, v85, v79
	;; [unrolled: 1-line block ×12, first 2 shown]
	s_wait_dscnt 0x0
	s_barrier_signal -1
	s_barrier_wait -1
	ds_load_b128 v[28:31], v20 offset:96
	v_pk_fma_f16 v32, v48, v86, v32
	v_pk_fma_f16 v33, v49, v86, v33
	;; [unrolled: 1-line block ×12, first 2 shown]
	ds_load_2addr_b64 v[32:35], v26 offset1:32
	v_pk_fma_f16 v78, v60, v88, v44
	v_pk_fma_f16 v79, v61, v88, v45
	;; [unrolled: 1-line block ×4, first 2 shown]
	ds_load_2addr_b64 v[44:47], v26 offset0:64 offset1:96
	v_pk_fma_f16 v82, v64, v88, v48
	v_pk_fma_f16 v83, v65, v88, v49
	;; [unrolled: 1-line block ×4, first 2 shown]
	ds_load_2addr_b64 v[48:51], v26 offset0:128 offset1:160
	ds_load_2addr_b64 v[52:55], v26 offset0:192 offset1:224
	ds_load_2addr_b64 v[56:59], v43 offset1:32
	ds_load_2addr_b64 v[60:63], v43 offset0:64 offset1:96
	s_wait_dscnt 0x6
	v_and_b32_e32 v64, 0xffff, v28
	v_lshrrev_b32_e32 v28, 16, v28
	s_mul_u64 s[24:25], s[24:25], s[10:11]
	v_lshrrev_b32_e32 v87, 16, v31
	v_lshl_add_u64 v[76:77], s[24:25], 2, v[8:9]
	v_mul_u32_u24_e32 v86, 0x10001, v64
	ds_load_2addr_b64 v[64:67], v43 offset0:128 offset1:160
	ds_load_2addr_b64 v[68:71], v43 offset0:192 offset1:224
	ds_load_2addr_b64 v[72:75], v41 offset1:32
	v_and_b32_e32 v88, 0xffff, v31
	s_wait_dscnt 0x8
	v_pk_fma_f16 v78, v32, v86, v78
	v_pk_fma_f16 v79, v33, v86, v79
	;; [unrolled: 1-line block ×4, first 2 shown]
	s_wait_dscnt 0x7
	v_pk_fma_f16 v82, v44, v86, v82
	v_pk_fma_f16 v83, v45, v86, v83
	;; [unrolled: 1-line block ×4, first 2 shown]
	v_and_b32_e32 v86, 0xffff, v29
	v_lshrrev_b32_e32 v29, 16, v29
	v_mul_u32_u24_e32 v28, 0x10001, v28
	ds_load_2addr_b64 v[32:35], v41 offset0:64 offset1:96
	ds_load_2addr_b64 v[44:47], v41 offset0:128 offset1:160
	v_mul_u32_u24_e32 v86, 0x10001, v86
	v_mul_u32_u24_e32 v29, 0x10001, v29
	s_wait_dscnt 0x8
	v_pk_fma_f16 v78, v48, v28, v78
	v_pk_fma_f16 v79, v49, v28, v79
	v_pk_fma_f16 v80, v50, v28, v80
	v_pk_fma_f16 v81, v51, v28, v81
	s_wait_dscnt 0x7
	v_pk_fma_f16 v82, v52, v28, v82
	v_pk_fma_f16 v83, v53, v28, v83
	v_pk_fma_f16 v84, v54, v28, v84
	v_pk_fma_f16 v28, v55, v28, v85
	;; [unrolled: 5-line block ×4, first 2 shown]
	ds_load_2addr_b64 v[48:51], v41 offset0:192 offset1:224
	ds_load_2addr_b64 v[52:55], v42 offset1:32
	ds_load_2addr_b64 v[56:59], v42 offset0:64 offset1:96
	ds_load_2addr_b64 v[60:63], v42 offset0:128 offset1:160
	s_wait_dscnt 0x8
	v_pk_fma_f16 v78, v64, v29, v78
	v_pk_fma_f16 v79, v65, v29, v79
	;; [unrolled: 1-line block ×4, first 2 shown]
	ds_load_2addr_b64 v[64:67], v42 offset0:192 offset1:224
	s_wait_dscnt 0x0
	s_barrier_signal -1
	s_barrier_wait -1
	v_and_b32_e32 v85, 0xffff, v30
	v_lshrrev_b32_e32 v86, 16, v30
	v_pk_fma_f16 v82, v68, v29, v82
	v_pk_fma_f16 v83, v69, v29, v83
	;; [unrolled: 1-line block ×4, first 2 shown]
	s_clause 0x1
	global_load_b128 v[28:31], v[76:77], off
	global_load_b128 v[68:71], v[76:77], off offset:512
	s_wait_xcnt 0x0
	v_mul_u32_u24_e32 v76, 0x10001, v85
	s_wait_loadcnt 0x1
	ds_store_b128 v24, v[28:31]
	s_wait_loadcnt 0x0
	ds_store_b128 v25, v[68:71]
	v_pk_fma_f16 v72, v72, v76, v78
	v_pk_fma_f16 v73, v73, v76, v79
	;; [unrolled: 1-line block ×5, first 2 shown]
	s_wait_dscnt 0x0
	s_barrier_signal -1
	s_barrier_wait -1
	ds_load_b128 v[28:31], v20 offset:112
	v_add_f32_e32 v39, v39, v40
	v_mul_u32_u24_e32 v40, 0x10001, v86
	v_mul_u32_u24_e32 v77, 0x10001, v88
	v_pk_fma_f16 v33, v33, v76, v83
	v_pk_fma_f16 v34, v34, v76, v84
	v_pk_fma_f16 v35, v35, v76, v89
	v_pk_fma_f16 v44, v44, v40, v72
	v_pk_fma_f16 v45, v45, v40, v73
	v_pk_fma_f16 v46, v46, v40, v74
	v_pk_fma_f16 v47, v47, v40, v75
	v_pk_fma_f16 v32, v48, v40, v32
	v_mul_u32_u24_e32 v85, 0x10001, v87
	v_pk_fma_f16 v33, v49, v40, v33
	v_pk_fma_f16 v34, v50, v40, v34
	;; [unrolled: 1-line block ×11, first 2 shown]
	ds_load_2addr_b64 v[32:35], v26 offset1:32
	v_pk_fma_f16 v80, v61, v85, v44
	v_pk_fma_f16 v81, v62, v85, v45
	;; [unrolled: 1-line block ×4, first 2 shown]
	ds_load_2addr_b64 v[44:47], v26 offset0:64 offset1:96
	v_pk_fma_f16 v40, v60, v85, v40
	v_pk_fma_f16 v84, v65, v85, v48
	;; [unrolled: 1-line block ×4, first 2 shown]
	ds_load_2addr_b64 v[48:51], v26 offset0:128 offset1:160
	ds_load_2addr_b64 v[52:55], v26 offset0:192 offset1:224
	ds_load_2addr_b64 v[56:59], v43 offset1:32
	ds_load_2addr_b64 v[60:63], v43 offset0:64 offset1:96
	ds_load_2addr_b64 v[64:67], v43 offset0:128 offset1:160
	s_wait_dscnt 0x7
	v_and_b32_e32 v68, 0xffff, v28
	v_lshrrev_b32_e32 v28, 16, v28
	s_delay_alu instid0(VALU_DEP_2)
	v_mul_u32_u24_e32 v87, 0x10001, v68
	ds_load_2addr_b64 v[68:71], v43 offset0:192 offset1:224
	ds_load_2addr_b64 v[72:75], v41 offset1:32
	ds_load_2addr_b64 v[76:79], v41 offset0:64 offset1:96
	v_mul_u32_u24_e32 v28, 0x10001, v28
	s_wait_dscnt 0x9
	v_pk_fma_f16 v40, v32, v87, v40
	v_pk_fma_f16 v43, v33, v87, v80
	;; [unrolled: 1-line block ×4, first 2 shown]
	ds_load_2addr_b64 v[32:35], v41 offset0:128 offset1:160
	s_wait_dscnt 0x9
	v_pk_fma_f16 v82, v44, v87, v83
	v_pk_fma_f16 v83, v45, v87, v84
	;; [unrolled: 1-line block ×4, first 2 shown]
	ds_load_2addr_b64 v[44:47], v41 offset0:192 offset1:224
	v_and_b32_e32 v41, 0xffff, v29
	s_wait_dscnt 0x9
	v_pk_fma_f16 v40, v48, v28, v40
	v_pk_fma_f16 v43, v49, v28, v43
	;; [unrolled: 1-line block ×4, first 2 shown]
	v_mul_u32_u24_e32 v88, 0x10001, v41
	s_wait_dscnt 0x8
	v_pk_fma_f16 v89, v52, v28, v82
	v_pk_fma_f16 v90, v53, v28, v83
	;; [unrolled: 1-line block ×4, first 2 shown]
	v_lshrrev_b32_e32 v29, 16, v29
	ds_load_2addr_b64 v[48:51], v42 offset1:32
	s_wait_dscnt 0x8
	v_pk_fma_f16 v56, v56, v88, v40
	v_pk_fma_f16 v57, v57, v88, v43
	v_pk_fma_f16 v58, v58, v88, v86
	v_pk_fma_f16 v59, v59, v88, v87
	v_and_b32_e32 v85, 0xffff, v30
	v_dual_fmac_f32 v39, v27, v38 :: v_dual_lshrrev_b32 v86, 16, v31
	v_mul_u32_u24_e32 v27, 0x10001, v29
	s_wait_dscnt 0x7
	v_pk_fma_f16 v60, v60, v88, v89
	v_pk_fma_f16 v61, v61, v88, v90
	;; [unrolled: 1-line block ×4, first 2 shown]
	ds_load_2addr_b64 v[52:55], v42 offset0:64 offset1:96
	ds_load_2addr_b64 v[80:83], v42 offset0:128 offset1:160
	;; [unrolled: 1-line block ×3, first 2 shown]
	s_wait_dscnt 0x0
	s_barrier_signal -1
	s_barrier_wait -1
	s_load_b32 s5, s[8:9], 0x4
	v_lshrrev_b32_e32 v30, 16, v30
	v_mul_u32_u24_e32 v29, 0x10001, v85
	v_pk_fma_f16 v56, v64, v27, v56
	v_pk_fma_f16 v57, v65, v27, v57
	;; [unrolled: 1-line block ×8, first 2 shown]
	v_and_b32_e32 v31, 0xffff, v31
	v_mul_u32_u24_e32 v30, 0x10001, v30
	v_pk_fma_f16 v28, v72, v29, v56
	v_pk_fma_f16 v56, v73, v29, v57
	v_pk_fma_f16 v57, v74, v29, v58
	v_pk_fma_f16 v58, v75, v29, v59
	v_pk_fma_f16 v59, v76, v29, v60
	v_pk_fma_f16 v60, v77, v29, v61
	v_pk_fma_f16 v61, v78, v29, v62
	v_pk_fma_f16 v27, v79, v29, v27
	v_mul_u32_u24_e32 v31, 0x10001, v31
	v_pk_fma_f16 v28, v32, v30, v28
	v_pk_fma_f16 v29, v33, v30, v56
	v_pk_fma_f16 v32, v34, v30, v57
	v_pk_fma_f16 v33, v35, v30, v58
	v_pk_fma_f16 v34, v44, v30, v59
	v_pk_fma_f16 v35, v45, v30, v60
	v_pk_fma_f16 v44, v46, v30, v61
	v_pk_fma_f16 v27, v47, v30, v27
	;; [unrolled: 9-line block ×3, first 2 shown]
	s_wait_kmcnt 0x0
	s_lshl_b32 s5, s5, 6
	v_pk_fma_f16 v33, v80, v38, v28
	v_pk_fma_f16 v32, v81, v38, v29
	;; [unrolled: 1-line block ×8, first 2 shown]
	s_add_co_i32 s4, s5, s4
	s_delay_alu instid0(SALU_CYCLE_1)
	s_cmp_ge_i32 s4, s28
	s_cbranch_scc1 .LBB27_21
; %bb.20:                               ;   in Loop: Header=BB27_11 Depth=1
	v_dual_mov_b32 v38, v10 :: v_dual_mov_b32 v27, v39
	s_branch .LBB27_11
.LBB27_21:
	v_dual_mov_b32 v0, 32 :: v_dual_mov_b32 v1, v17
.LBB27_22:
	s_delay_alu instid0(VALU_DEP_1)
	v_cmp_lt_i32_e32 vcc_lo, v12, v0
	s_cmp_lg_u64 s[12:13], 0
	v_add_nc_u32_e32 v2, s33, v2
	s_cselect_b32 s3, -1, 0
	s_cmp_eq_u32 s20, 0
	v_cndmask_b32_e32 v4, v1, v12, vcc_lo
	v_cmp_lt_i32_e32 vcc_lo, v11, v0
	s_cselect_b32 s4, -1, 0
	s_delay_alu instid0(SALU_CYCLE_1) | instskip(NEXT) | instid1(VALU_DEP_2)
	s_and_b32 s3, s4, s3
	v_dual_cndmask_b32 v5, v1, v11 :: v_dual_lshlrev_b32 v4, 2, v4
	v_cmp_lt_i32_e32 vcc_lo, v13, v0
	s_delay_alu instid0(VALU_DEP_2)
	v_lshlrev_b32_e32 v5, 2, v5
	ds_bpermute_b32 v4, v4, v39
	v_cndmask_b32_e32 v6, v1, v13, vcc_lo
	v_cmp_lt_i32_e32 vcc_lo, v36, v0
	s_wait_dscnt 0x0
	v_add_f32_e32 v4, v39, v4
	ds_bpermute_b32 v5, v5, v4
	s_wait_dscnt 0x0
	v_dual_lshlrev_b32 v6, 2, v6 :: v_dual_add_f32 v4, v4, v5
	ds_bpermute_b32 v5, v6, v4
	v_cndmask_b32_e32 v6, v1, v36, vcc_lo
	v_cmp_lt_i32_e32 vcc_lo, v37, v0
	v_cndmask_b32_e32 v0, v1, v37, vcc_lo
	s_and_b32 vcc_lo, exec_lo, s3
	s_wait_dscnt 0x0
	v_dual_add_f32 v4, v4, v5 :: v_dual_lshlrev_b32 v6, 2, v6
	ds_bpermute_b32 v5, v6, v4
	s_wait_dscnt 0x0
	v_dual_add_f32 v1, v4, v5 :: v_dual_lshlrev_b32 v0, 2, v0
	ds_bpermute_b32 v0, v0, v1
	s_wait_dscnt 0x0
	v_add_f32_e32 v11, v1, v0
	s_cbranch_vccz .LBB27_25
; %bb.23:
	global_load_b32 v1, v2, s[12:13] scale_offset
	s_wait_loadcnt 0x0
	v_dual_max_num_f32 v0, v10, v10 :: v_dual_max_num_f32 v4, v1, v1
	s_delay_alu instid0(VALU_DEP_1) | instskip(NEXT) | instid1(VALU_DEP_1)
	v_max_num_f32_e32 v0, v0, v4
	v_sub_f32_e32 v4, v10, v0
	s_delay_alu instid0(VALU_DEP_1) | instskip(SKIP_2) | instid1(VALU_DEP_3)
	v_mul_f32_e32 v5, 0x3fb8aa3b, v4
	v_sub_f32_e32 v1, v1, v0
	v_cmp_ngt_f32_e32 vcc_lo, 0xc2ce8ed0, v4
	v_fma_f32 v6, 0x3fb8aa3b, v4, -v5
	v_rndne_f32_e32 v7, v5
	s_delay_alu instid0(VALU_DEP_1) | instskip(SKIP_2) | instid1(VALU_DEP_3)
	v_dual_fmac_f32 v6, 0x32a5705f, v4 :: v_dual_sub_f32 v5, v5, v7
	v_mul_f32_e32 v8, 0x3fb8aa3b, v1
	v_cvt_i32_f32_e32 v7, v7
	v_add_f32_e32 v5, v5, v6
	s_delay_alu instid0(VALU_DEP_3) | instskip(SKIP_1) | instid1(VALU_DEP_3)
	v_fma_f32 v6, 0x3fb8aa3b, v1, -v8
	v_rndne_f32_e32 v9, v8
	v_exp_f32_e32 v5, v5
	s_delay_alu instid0(VALU_DEP_1) | instskip(NEXT) | instid1(TRANS32_DEP_1)
	v_sub_f32_e32 v8, v8, v9
	v_ldexp_f32 v5, v5, v7
	v_cvt_i32_f32_e32 v7, v9
	s_delay_alu instid0(VALU_DEP_2) | instskip(SKIP_1) | instid1(VALU_DEP_2)
	v_cndmask_b32_e32 v5, 0, v5, vcc_lo
	v_cmp_nlt_f32_e32 vcc_lo, 0x42b17218, v4
	v_cndmask_b32_e32 v4, 0x7f800000, v5, vcc_lo
	v_fmac_f32_e32 v6, 0x32a5705f, v1
	v_cmp_ngt_f32_e32 vcc_lo, 0xc2ce8ed0, v1
	s_delay_alu instid0(VALU_DEP_2) | instskip(NEXT) | instid1(VALU_DEP_1)
	v_add_f32_e32 v6, v8, v6
	v_exp_f32_e32 v6, v6
	v_nop
	s_delay_alu instid0(TRANS32_DEP_1) | instskip(SKIP_1) | instid1(VALU_DEP_2)
	v_ldexp_f32 v5, v6, v7
	v_cvt_f16_f32_e32 v6, v4
	v_cndmask_b32_e32 v5, 0, v5, vcc_lo
	v_cmp_nlt_f32_e32 vcc_lo, 0x42b17218, v1
	s_delay_alu instid0(VALU_DEP_3) | instskip(NEXT) | instid1(VALU_DEP_3)
	v_and_b32_e32 v6, 0xffff, v6
	v_cndmask_b32_e32 v1, 0x7f800000, v5, vcc_lo
	s_delay_alu instid0(VALU_DEP_2) | instskip(NEXT) | instid1(VALU_DEP_2)
	v_mul_u32_u24_e32 v5, 0x10001, v6
	v_fmac_f32_e32 v1, v11, v4
	s_delay_alu instid0(VALU_DEP_2)
	v_pk_mul_f16 v33, v33, v5
	v_pk_mul_f16 v32, v32, v5
	;; [unrolled: 1-line block ×4, first 2 shown]
	v_mov_b64_e32 v[10:11], v[0:1]
	v_pk_mul_f16 v31, v31, v5
	v_pk_mul_f16 v30, v30, v5
	;; [unrolled: 1-line block ×4, first 2 shown]
	s_mov_b32 s3, exec_lo
	v_cmpx_gt_i32_e64 s22, v14
	s_cbranch_execnz .LBB27_26
.LBB27_24:
	s_sendmsg sendmsg(MSG_DEALLOC_VGPRS)
	s_endpgm
.LBB27_25:
	s_delay_alu instid0(VALU_DEP_1)
	v_mov_b32_e32 v1, v11
	s_mov_b32 s3, exec_lo
	v_cmpx_gt_i32_e64 s22, v14
	s_cbranch_execz .LBB27_24
.LBB27_26:
	s_delay_alu instid0(VALU_DEP_2) | instskip(SKIP_3) | instid1(VALU_DEP_3)
	v_div_scale_f32 v13, null, v1, v1, 1.0
	v_mad_u32 v0, s2, s22, v14
	s_load_b32 s1, s[0:1], 0xd4
	v_div_scale_f32 v19, vcc_lo, 1.0, v1, 1.0
	v_rcp_f32_e32 v16, v13
	s_wait_xcnt 0x0
	v_cmp_eq_u32_e64 s0, 0, v15
	v_dual_mov_b32 v17, 0 :: v_dual_lshrrev_b32 v5, 16, v33
	v_dual_lshrrev_b32 v9, 16, v32 :: v_dual_lshrrev_b32 v15, 16, v35
	v_dual_lshrrev_b32 v24, 16, v30 :: v_dual_lshrrev_b32 v26, 16, v29
	s_delay_alu instid0(TRANS32_DEP_1)
	v_fma_f32 v7, -v13, v16, 1.0
	v_mad_u32 v0, v0, s23, v2
	v_cvt_f32_f16_e32 v4, v33
	v_lshrrev_b32_e32 v21, 16, v34
	v_cvt_f32_f16_e32 v6, v32
	v_fmac_f32_e32 v16, v7, v16
	v_cvt_f32_f16_e32 v5, v5
	v_cvt_f32_f16_e32 v8, v35
	v_lshrrev_b32_e32 v22, 16, v31
	s_wait_kmcnt 0x0
	s_cmp_lg_u32 s1, 1
	v_mul_f32_e32 v2, v19, v16
	v_cvt_f32_f16_e32 v12, v34
	v_mad_u32 v0, s1, v0, s20
	v_lshrrev_b32_e32 v27, 16, v28
	s_cselect_b32 s1, -1, 0
	v_fma_f32 v7, -v13, v2, v19
	v_cvt_f32_f16_e32 v14, v31
	v_cvt_f32_f16_e32 v18, v30
	v_mov_b32_e32 v23, v17
	v_cvt_f32_f16_e32 v20, v29
	v_fmac_f32_e32 v2, v7, v16
	v_cvt_f32_f16_e32 v7, v9
	v_cvt_f32_f16_e32 v9, v15
	;; [unrolled: 1-line block ×4, first 2 shown]
	v_fma_f32 v15, -v13, v2, v19
	v_cvt_f32_f16_e32 v13, v21
	v_cvt_f32_f16_e32 v21, v26
	;; [unrolled: 1-line block ×3, first 2 shown]
	s_and_b32 s0, s0, s1
	v_div_fmas_f32 v2, v15, v16, v2
	v_lshl_add_u32 v16, v0, 9, v3
	v_mov_b32_e32 v25, v17
	v_cvt_f32_f16_e32 v15, v22
	s_delay_alu instid0(VALU_DEP_4) | instskip(NEXT) | instid1(VALU_DEP_4)
	v_div_fixup_f32 v1, v2, v1, 1.0
	v_add_nc_u32_e32 v22, 0x80, v16
	v_add_nc_u32_e32 v24, 0x100, v16
	v_lshl_add_u64 v[30:31], v[16:17], 2, s[16:17]
	v_add_nc_u32_e32 v16, 0x180, v16
	v_cndmask_b32_e64 v26, v1, 1.0, s1
	v_lshl_add_u64 v[22:23], v[22:23], 2, s[16:17]
	v_lshl_add_u64 v[24:25], v[24:25], 2, s[16:17]
	s_delay_alu instid0(VALU_DEP_4) | instskip(NEXT) | instid1(VALU_DEP_4)
	v_lshl_add_u64 v[32:33], v[16:17], 2, s[16:17]
	v_pk_mul_f32 v[2:3], v[26:27], v[4:5] op_sel_hi:[0,1]
	v_pk_mul_f32 v[4:5], v[26:27], v[6:7] op_sel_hi:[0,1]
	;; [unrolled: 1-line block ×8, first 2 shown]
	s_clause 0x3
	global_store_b128 v[30:31], v[2:5], off
	global_store_b128 v[22:23], v[6:9], off
	;; [unrolled: 1-line block ×4, first 2 shown]
	s_wait_xcnt 0x0
	s_and_b32 exec_lo, exec_lo, s0
	s_cbranch_execz .LBB27_24
; %bb.27:
	global_store_b64 v0, v[10:11], s[18:19] scale_offset
	s_sendmsg sendmsg(MSG_DEALLOC_VGPRS)
	s_endpgm
	.section	.rodata,"a",@progbits
	.p2align	6, 0x0
	.amdhsa_kernel _ZL15flash_attn_tileILi576ELi512ELi2ELi4ELb1EEvPKcS1_S1_S1_S1_PKiPfP15HIP_vector_typeIfLj2EEffffjfiS5_IjLj3EEiiiiiiiiiiiliiliiiiil
		.amdhsa_group_segment_fixed_size 19456
		.amdhsa_private_segment_fixed_size 0
		.amdhsa_kernarg_size 464
		.amdhsa_user_sgpr_count 2
		.amdhsa_user_sgpr_dispatch_ptr 0
		.amdhsa_user_sgpr_queue_ptr 0
		.amdhsa_user_sgpr_kernarg_segment_ptr 1
		.amdhsa_user_sgpr_dispatch_id 0
		.amdhsa_user_sgpr_kernarg_preload_length 0
		.amdhsa_user_sgpr_kernarg_preload_offset 0
		.amdhsa_user_sgpr_private_segment_size 0
		.amdhsa_wavefront_size32 1
		.amdhsa_uses_dynamic_stack 0
		.amdhsa_enable_private_segment 0
		.amdhsa_system_sgpr_workgroup_id_x 1
		.amdhsa_system_sgpr_workgroup_id_y 1
		.amdhsa_system_sgpr_workgroup_id_z 1
		.amdhsa_system_sgpr_workgroup_info 0
		.amdhsa_system_vgpr_workitem_id 1
		.amdhsa_next_free_vgpr 92
		.amdhsa_next_free_sgpr 43
		.amdhsa_named_barrier_count 0
		.amdhsa_reserve_vcc 1
		.amdhsa_float_round_mode_32 0
		.amdhsa_float_round_mode_16_64 0
		.amdhsa_float_denorm_mode_32 3
		.amdhsa_float_denorm_mode_16_64 3
		.amdhsa_fp16_overflow 0
		.amdhsa_memory_ordered 1
		.amdhsa_forward_progress 1
		.amdhsa_inst_pref_size 115
		.amdhsa_round_robin_scheduling 0
		.amdhsa_exception_fp_ieee_invalid_op 0
		.amdhsa_exception_fp_denorm_src 0
		.amdhsa_exception_fp_ieee_div_zero 0
		.amdhsa_exception_fp_ieee_overflow 0
		.amdhsa_exception_fp_ieee_underflow 0
		.amdhsa_exception_fp_ieee_inexact 0
		.amdhsa_exception_int_div_zero 0
	.end_amdhsa_kernel
	.section	.text._ZL15flash_attn_tileILi576ELi512ELi2ELi4ELb1EEvPKcS1_S1_S1_S1_PKiPfP15HIP_vector_typeIfLj2EEffffjfiS5_IjLj3EEiiiiiiiiiiiliiliiiiil,"axG",@progbits,_ZL15flash_attn_tileILi576ELi512ELi2ELi4ELb1EEvPKcS1_S1_S1_S1_PKiPfP15HIP_vector_typeIfLj2EEffffjfiS5_IjLj3EEiiiiiiiiiiiliiliiiiil,comdat
.Lfunc_end27:
	.size	_ZL15flash_attn_tileILi576ELi512ELi2ELi4ELb1EEvPKcS1_S1_S1_S1_PKiPfP15HIP_vector_typeIfLj2EEffffjfiS5_IjLj3EEiiiiiiiiiiiliiliiiiil, .Lfunc_end27-_ZL15flash_attn_tileILi576ELi512ELi2ELi4ELb1EEvPKcS1_S1_S1_S1_PKiPfP15HIP_vector_typeIfLj2EEffffjfiS5_IjLj3EEiiiiiiiiiiiliiliiiiil
                                        ; -- End function
	.set _ZL15flash_attn_tileILi576ELi512ELi2ELi4ELb1EEvPKcS1_S1_S1_S1_PKiPfP15HIP_vector_typeIfLj2EEffffjfiS5_IjLj3EEiiiiiiiiiiiliiliiiiil.num_vgpr, 92
	.set _ZL15flash_attn_tileILi576ELi512ELi2ELi4ELb1EEvPKcS1_S1_S1_S1_PKiPfP15HIP_vector_typeIfLj2EEffffjfiS5_IjLj3EEiiiiiiiiiiiliiliiiiil.num_agpr, 0
	.set _ZL15flash_attn_tileILi576ELi512ELi2ELi4ELb1EEvPKcS1_S1_S1_S1_PKiPfP15HIP_vector_typeIfLj2EEffffjfiS5_IjLj3EEiiiiiiiiiiiliiliiiiil.numbered_sgpr, 43
	.set _ZL15flash_attn_tileILi576ELi512ELi2ELi4ELb1EEvPKcS1_S1_S1_S1_PKiPfP15HIP_vector_typeIfLj2EEffffjfiS5_IjLj3EEiiiiiiiiiiiliiliiiiil.num_named_barrier, 0
	.set _ZL15flash_attn_tileILi576ELi512ELi2ELi4ELb1EEvPKcS1_S1_S1_S1_PKiPfP15HIP_vector_typeIfLj2EEffffjfiS5_IjLj3EEiiiiiiiiiiiliiliiiiil.private_seg_size, 0
	.set _ZL15flash_attn_tileILi576ELi512ELi2ELi4ELb1EEvPKcS1_S1_S1_S1_PKiPfP15HIP_vector_typeIfLj2EEffffjfiS5_IjLj3EEiiiiiiiiiiiliiliiiiil.uses_vcc, 1
	.set _ZL15flash_attn_tileILi576ELi512ELi2ELi4ELb1EEvPKcS1_S1_S1_S1_PKiPfP15HIP_vector_typeIfLj2EEffffjfiS5_IjLj3EEiiiiiiiiiiiliiliiiiil.uses_flat_scratch, 0
	.set _ZL15flash_attn_tileILi576ELi512ELi2ELi4ELb1EEvPKcS1_S1_S1_S1_PKiPfP15HIP_vector_typeIfLj2EEffffjfiS5_IjLj3EEiiiiiiiiiiiliiliiiiil.has_dyn_sized_stack, 0
	.set _ZL15flash_attn_tileILi576ELi512ELi2ELi4ELb1EEvPKcS1_S1_S1_S1_PKiPfP15HIP_vector_typeIfLj2EEffffjfiS5_IjLj3EEiiiiiiiiiiiliiliiiiil.has_recursion, 0
	.set _ZL15flash_attn_tileILi576ELi512ELi2ELi4ELb1EEvPKcS1_S1_S1_S1_PKiPfP15HIP_vector_typeIfLj2EEffffjfiS5_IjLj3EEiiiiiiiiiiiliiliiiiil.has_indirect_call, 0
	.section	.AMDGPU.csdata,"",@progbits
; Kernel info:
; codeLenInByte = 14636
; TotalNumSgprs: 45
; NumVgprs: 92
; ScratchSize: 0
; MemoryBound: 0
; FloatMode: 240
; IeeeMode: 1
; LDSByteSize: 19456 bytes/workgroup (compile time only)
; SGPRBlocks: 0
; VGPRBlocks: 5
; NumSGPRsForWavesPerEU: 45
; NumVGPRsForWavesPerEU: 92
; NamedBarCnt: 0
; Occupancy: 10
; WaveLimiterHint : 1
; COMPUTE_PGM_RSRC2:SCRATCH_EN: 0
; COMPUTE_PGM_RSRC2:USER_SGPR: 2
; COMPUTE_PGM_RSRC2:TRAP_HANDLER: 0
; COMPUTE_PGM_RSRC2:TGID_X_EN: 1
; COMPUTE_PGM_RSRC2:TGID_Y_EN: 1
; COMPUTE_PGM_RSRC2:TGID_Z_EN: 1
; COMPUTE_PGM_RSRC2:TIDIG_COMP_CNT: 1
	.section	.text._ZL15flash_attn_tileILi576ELi512ELi1ELi4ELb1EEvPKcS1_S1_S1_S1_PKiPfP15HIP_vector_typeIfLj2EEffffjfiS5_IjLj3EEiiiiiiiiiiiliiliiiiil,"axG",@progbits,_ZL15flash_attn_tileILi576ELi512ELi1ELi4ELb1EEvPKcS1_S1_S1_S1_PKiPfP15HIP_vector_typeIfLj2EEffffjfiS5_IjLj3EEiiiiiiiiiiiliiliiiiil,comdat
	.globl	_ZL15flash_attn_tileILi576ELi512ELi1ELi4ELb1EEvPKcS1_S1_S1_S1_PKiPfP15HIP_vector_typeIfLj2EEffffjfiS5_IjLj3EEiiiiiiiiiiiliiliiiiil ; -- Begin function _ZL15flash_attn_tileILi576ELi512ELi1ELi4ELb1EEvPKcS1_S1_S1_S1_PKiPfP15HIP_vector_typeIfLj2EEffffjfiS5_IjLj3EEiiiiiiiiiiiliiliiiiil
	.p2align	8
	.type	_ZL15flash_attn_tileILi576ELi512ELi1ELi4ELb1EEvPKcS1_S1_S1_S1_PKiPfP15HIP_vector_typeIfLj2EEffffjfiS5_IjLj3EEiiiiiiiiiiiliiliiiiil,@function
_ZL15flash_attn_tileILi576ELi512ELi1ELi4ELb1EEvPKcS1_S1_S1_S1_PKiPfP15HIP_vector_typeIfLj2EEffffjfiS5_IjLj3EEiiiiiiiiiiiliiliiiiil: ; @_ZL15flash_attn_tileILi576ELi512ELi1ELi4ELb1EEvPKcS1_S1_S1_S1_PKiPfP15HIP_vector_typeIfLj2EEffffjfiS5_IjLj3EEiiiiiiiiiiiliiliiiiil
; %bb.0:
	s_clause 0x1
	s_load_b128 s[20:23], s[0:1], 0x5c
	s_load_b64 s[28:29], s[0:1], 0x80
	s_bfe_u32 s5, ttmp6, 0x40014
	s_lshr_b32 s4, ttmp7, 16
	s_add_co_i32 s5, s5, 1
	s_bfe_u32 s6, ttmp6, 0x40008
	s_mul_i32 s5, s4, s5
	s_getreg_b32 s24, hwreg(HW_REG_IB_STS2, 6, 4)
	s_add_co_i32 s6, s6, s5
	s_load_b64 s[36:37], s[0:1], 0xb8
	s_mov_b32 s35, 0
	s_mov_b64 s[30:31], 0
	s_wait_kmcnt 0x0
	s_ashr_i32 s2, s23, 31
	s_delay_alu instid0(SALU_CYCLE_1) | instskip(NEXT) | instid1(SALU_CYCLE_1)
	s_lshr_b32 s2, s2, 30
	s_add_co_i32 s2, s23, s2
	s_delay_alu instid0(SALU_CYCLE_1) | instskip(NEXT) | instid1(SALU_CYCLE_1)
	s_ashr_i32 s2, s2, 2
	s_cvt_f32_u32 s3, s2
	s_sub_co_i32 s7, 0, s2
	s_delay_alu instid0(SALU_CYCLE_2) | instskip(SKIP_1) | instid1(TRANS32_DEP_1)
	v_rcp_iflag_f32_e32 v1, s3
	v_nop
	v_readfirstlane_b32 s3, v1
	s_mul_f32 s3, s3, 0x4f7ffffe
	s_delay_alu instid0(SALU_CYCLE_3) | instskip(NEXT) | instid1(SALU_CYCLE_3)
	s_cvt_u32_f32 s3, s3
	s_mul_i32 s7, s7, s3
	s_delay_alu instid0(SALU_CYCLE_1) | instskip(NEXT) | instid1(SALU_CYCLE_1)
	s_mul_hi_u32 s7, s3, s7
	s_add_co_i32 s3, s3, s7
	s_cmp_eq_u32 s24, 0
	s_cselect_b32 s4, s4, s6
	s_delay_alu instid0(SALU_CYCLE_1) | instskip(NEXT) | instid1(SALU_CYCLE_1)
	s_mul_hi_u32 s3, s4, s3
	s_mul_i32 s5, s3, s2
	s_add_co_i32 s6, s3, 1
	s_sub_co_i32 s5, s4, s5
	s_delay_alu instid0(SALU_CYCLE_1)
	s_sub_co_i32 s7, s5, s2
	s_cmp_ge_u32 s5, s2
	s_cselect_b32 s3, s6, s3
	s_cselect_b32 s5, s7, s5
	s_add_co_i32 s6, s3, 1
	s_cmp_ge_u32 s5, s2
	s_cselect_b32 s2, s6, s3
	s_abs_i32 s3, s29
	s_lshl_b32 s4, s4, 2
	s_cvt_f32_u32 s5, s3
	s_sub_co_i32 s6, 0, s3
	s_mul_i32 s7, s2, s23
	s_abs_i32 s8, s23
	v_rcp_iflag_f32_e32 v1, s5
	s_sub_co_i32 s33, s4, s7
	v_nop
	s_delay_alu instid0(TRANS32_DEP_1) | instskip(SKIP_1) | instid1(SALU_CYCLE_3)
	v_readfirstlane_b32 s5, v1
	s_mul_f32 s5, s5, 0x4f7ffffe
	s_cvt_u32_f32 s5, s5
	s_delay_alu instid0(SALU_CYCLE_3) | instskip(NEXT) | instid1(SALU_CYCLE_1)
	s_mul_i32 s6, s6, s5
	s_mul_hi_u32 s6, s5, s6
	s_delay_alu instid0(SALU_CYCLE_1) | instskip(NEXT) | instid1(SALU_CYCLE_1)
	s_add_co_i32 s5, s5, s6
	s_mul_hi_u32 s4, s8, s5
	s_xor_b32 s5, s23, s29
	s_mul_i32 s6, s4, s3
	s_ashr_i32 s25, s5, 31
	s_sub_co_i32 s5, s8, s6
	s_add_co_i32 s6, s4, 1
	s_sub_co_i32 s7, s5, s3
	s_cmp_ge_u32 s5, s3
	s_cselect_b32 s4, s6, s4
	s_cselect_b32 s5, s7, s5
	s_add_co_i32 s6, s4, 1
	s_cmp_ge_u32 s5, s3
	s_cselect_b32 s3, s6, s4
	s_load_b512 s[4:19], s[0:1], 0x0
	s_xor_b32 s3, s3, s25
	s_delay_alu instid0(SALU_CYCLE_1) | instskip(NEXT) | instid1(SALU_CYCLE_1)
	s_sub_co_i32 s3, s3, s25
	s_abs_i32 s38, s3
	s_delay_alu instid0(SALU_CYCLE_1) | instskip(NEXT) | instid1(SALU_CYCLE_3)
	s_cvt_f32_u32 s25, s38
	v_rcp_iflag_f32_e32 v1, s25
	v_nop
	s_delay_alu instid0(TRANS32_DEP_1)
	v_readfirstlane_b32 s25, v1
	s_wait_kmcnt 0x0
	s_cmp_eq_u64 s[10:11], 0
	s_cbranch_scc1 .LBB28_2
; %bb.1:
	s_abs_i32 s29, s36
	s_abs_i32 s30, s2
	s_cvt_f32_u32 s26, s29
	s_sub_co_i32 s27, 0, s29
	s_delay_alu instid0(SALU_CYCLE_2) | instskip(SKIP_1) | instid1(TRANS32_DEP_1)
	v_rcp_iflag_f32_e32 v1, s26
	v_nop
	v_readfirstlane_b32 s26, v1
	s_mul_f32 s26, s26, 0x4f7ffffe
	s_delay_alu instid0(SALU_CYCLE_3) | instskip(NEXT) | instid1(SALU_CYCLE_3)
	s_cvt_u32_f32 s26, s26
	s_mul_i32 s27, s27, s26
	s_delay_alu instid0(SALU_CYCLE_1) | instskip(NEXT) | instid1(SALU_CYCLE_1)
	s_mul_hi_u32 s27, s26, s27
	s_add_co_i32 s26, s26, s27
	s_delay_alu instid0(SALU_CYCLE_1) | instskip(SKIP_2) | instid1(SALU_CYCLE_1)
	s_mul_hi_u32 s31, s30, s26
	s_load_b64 s[26:27], s[0:1], 0xc8
	s_mul_i32 s31, s31, s29
	s_sub_co_i32 s30, s30, s31
	s_ashr_i32 s31, s2, 31
	s_sub_co_i32 s34, s30, s29
	s_cmp_ge_u32 s30, s29
	s_cselect_b32 s30, s34, s30
	s_delay_alu instid0(SALU_CYCLE_1) | instskip(SKIP_2) | instid1(SALU_CYCLE_1)
	s_sub_co_i32 s34, s30, s29
	s_cmp_ge_u32 s30, s29
	s_cselect_b32 s29, s34, s30
	s_xor_b32 s29, s29, s31
	s_delay_alu instid0(SALU_CYCLE_1) | instskip(NEXT) | instid1(SALU_CYCLE_1)
	s_sub_co_i32 s30, s29, s31
	s_ashr_i32 s31, s30, 31
	s_wait_kmcnt 0x0
	s_mul_u64 s[26:27], s[26:27], s[30:31]
	s_delay_alu instid0(SALU_CYCLE_1)
	s_add_nc_u64 s[30:31], s[10:11], s[26:27]
.LBB28_2:
	s_bfe_u32 s10, ttmp6, 0x4000c
	v_dual_lshrrev_b32 v1, 10, v0 :: v_dual_mov_b32 v69, 0
	s_add_co_i32 s10, s10, 1
	s_and_b32 s11, ttmp6, 15
	s_mul_i32 s10, ttmp9, s10
	s_delay_alu instid0(VALU_DEP_1)
	v_bfe_u32 v1, v1, 2, 8
	s_add_co_i32 s11, s11, s10
	s_cmp_eq_u32 s24, 0
	s_load_b96 s[40:42], s[0:1], 0x70
	s_cselect_b32 s10, ttmp9, s11
	v_bfe_u32 v68, v0, 10, 2
	v_add_nc_u32_e32 v88, s10, v1
	v_and_b32_e32 v89, 0x3ff, v0
	v_bfe_u32 v0, v0, 10, 10
	v_dual_mov_b32 v3, v69 :: v_dual_mov_b32 v9, v69
	s_delay_alu instid0(VALU_DEP_4) | instskip(NEXT) | instid1(VALU_DEP_4)
	v_mul_hi_u32 v1, s20, v88
	v_dual_lshlrev_b32 v8, 4, v89 :: v_dual_lshlrev_b32 v90, 3, v89
	s_delay_alu instid0(VALU_DEP_2) | instskip(SKIP_3) | instid1(SALU_CYCLE_1)
	v_add_nc_u32_e32 v1, v88, v1
	s_wait_kmcnt 0x0
	s_mov_b32 s20, s41
	s_mul_i32 s26, s33, s41
	s_ashr_i32 s27, s26, 31
	v_lshrrev_b32_e32 v1, s21, v1
	s_ashr_i32 s21, s41, 31
	s_ashr_i32 s41, s40, 31
	s_lshr_b64 s[20:21], s[20:21], 2
	s_delay_alu instid0(VALU_DEP_1) | instskip(SKIP_2) | instid1(VALU_DEP_2)
	v_mul_lo_u32 v1, v1, s22
	v_mul_u64_e32 v[4:5], s[20:21], v[68:69]
	s_lshr_b64 s[20:21], s[40:41], 2
	v_sub_nc_u32_e32 v2, v88, v1
	s_delay_alu instid0(VALU_DEP_1) | instskip(SKIP_1) | instid1(SALU_CYCLE_1)
	v_mul_u64_e32 v[6:7], s[20:21], v[2:3]
	s_mul_i32 s20, s2, s42
	s_ashr_i32 s21, s20, 31
	s_delay_alu instid0(SALU_CYCLE_1) | instskip(NEXT) | instid1(SALU_CYCLE_1)
	s_add_nc_u64 s[4:5], s[4:5], s[20:21]
	s_add_nc_u64 s[4:5], s[4:5], s[26:27]
	s_delay_alu instid0(VALU_DEP_3) | instid1(SALU_CYCLE_1)
	v_lshl_add_u64 v[4:5], v[4:5], 2, s[4:5]
	s_load_b32 s4, s[0:1], 0x40
	s_movk_i32 s5, 0x480
	s_delay_alu instid0(SALU_CYCLE_1) | instskip(SKIP_1) | instid1(VALU_DEP_3)
	v_mad_u32_u24 v87, v0, s5, 0x2400
	s_mov_b32 s5, exec_lo
	v_lshl_add_u64 v[4:5], v[6:7], 2, v[4:5]
	s_delay_alu instid0(VALU_DEP_1)
	v_add_nc_u64_e32 v[4:5], v[4:5], v[8:9]
	s_clause 0x3
	global_load_b128 v[6:9], v[4:5], off
	global_load_b128 v[10:13], v[4:5], off offset:512
	global_load_b128 v[14:17], v[4:5], off offset:1024
	;; [unrolled: 1-line block ×3, first 2 shown]
	s_wait_loadcnt 0x3
	s_wait_kmcnt 0x0
	v_fma_mixlo_f16 v3, s4, v6, 0
	v_fma_mixlo_f16 v6, s4, v7, 0
	v_fma_mixlo_f16 v7, s4, v8, 0
	v_fma_mixlo_f16 v8, s4, v9, 0
	s_wait_loadcnt 0x2
	v_fma_mixlo_f16 v9, s4, v10, 0
	v_fma_mixlo_f16 v10, s4, v11, 0
	v_fma_mixlo_f16 v11, s4, v12, 0
	v_fma_mixlo_f16 v12, s4, v13, 0
	s_wait_loadcnt 0x1
	;; [unrolled: 5-line block ×3, first 2 shown]
	v_fma_mixlo_f16 v17, s4, v18, 0
	v_fma_mixlo_f16 v18, s4, v19, 0
	v_dual_add_nc_u32 v1, v87, v90 :: v_dual_lshlrev_b32 v8, 16, v8
	v_dual_lshlrev_b32 v6, 16, v6 :: v_dual_lshlrev_b32 v12, 16, v12
	v_and_b32_e32 v3, 0xffff, v3
	v_and_b32_e32 v7, 0xffff, v7
	v_dual_lshlrev_b32 v10, 16, v10 :: v_dual_lshlrev_b32 v16, 16, v16
	v_and_b32_e32 v9, 0xffff, v9
	v_fma_mixlo_f16 v19, s4, v20, 0
	v_fma_mixlo_f16 v20, s4, v21, 0
	v_and_b32_e32 v11, 0xffff, v11
	v_lshlrev_b32_e32 v14, 16, v14
	v_and_b32_e32 v13, 0xffff, v13
	v_dual_lshlrev_b32 v18, 16, v18 :: v_dual_bitop2_b32 v3, v6, v3 bitop3:0x54
	v_and_b32_e32 v17, 0xffff, v17
	v_or3_b32 v7, v8, v7, 0
	v_or_b32_e32 v8, v10, v9
	v_and_b32_e32 v15, 0xffff, v15
	v_lshlrev_b32_e32 v20, 16, v20
	v_and_b32_e32 v19, 0xffff, v19
	v_or3_b32 v9, v12, v11, 0
	v_or_b32_e32 v10, v14, v13
	v_or_b32_e32 v12, v18, v17
	v_or3_b32 v6, 0, 0, v3
	v_or3_b32 v8, 0, 0, v8
	;; [unrolled: 1-line block ×6, first 2 shown]
	ds_store_2addr_b64 v1, v[6:7], v[8:9] offset1:32
	ds_store_2addr_b64 v1, v[10:11], v[12:13] offset0:64 offset1:96
	v_cmpx_gt_u32_e32 16, v89
	s_cbranch_execz .LBB28_4
; %bb.3:
	global_load_b128 v[4:7], v[4:5], off offset:2048
	s_wait_loadcnt 0x0
	v_fma_mixlo_f16 v3, s4, v4, 0
	s_delay_alu instid0(VALU_DEP_1) | instskip(SKIP_1) | instid1(VALU_DEP_1)
	v_and_b32_e32 v3, 0xffff, v3
	v_mov_b32_e32 v4, v7
	v_pk_mul_f32 v[4:5], s[4:5], v[4:5] op_sel_hi:[0,1]
	s_delay_alu instid0(VALU_DEP_1) | instskip(SKIP_1) | instid1(VALU_DEP_2)
	v_cvt_pk_f16_f32 v4, v4, v5
	v_fma_mixlo_f16 v5, s4, v6, 0
	v_and_b32_e32 v6, 0xffff0000, v4
	s_delay_alu instid0(VALU_DEP_2) | instskip(NEXT) | instid1(VALU_DEP_2)
	v_and_b32_e32 v5, 0xffff, v5
	v_dual_lshlrev_b32 v4, 16, v4 :: v_dual_bitop2_b32 v3, v6, v3 bitop3:0x54
	s_delay_alu instid0(VALU_DEP_1) | instskip(NEXT) | instid1(VALU_DEP_2)
	v_or3_b32 v5, v4, v5, 0
	v_or3_b32 v4, 0, 0, v3
	ds_store_b64 v1, v[4:5] offset:1024
.LBB28_4:
	s_or_b32 exec_lo, exec_lo, s5
	s_cmp_eq_u64 s[14:15], 0
	s_wait_dscnt 0x0
	s_barrier_signal -1
	s_barrier_wait -1
	s_cbranch_scc1 .LBB28_6
; %bb.5:
	s_load_b32 s4, s[0:1], 0xd0
	s_wait_kmcnt 0x0
	s_mul_i32 s4, s4, s2
	s_delay_alu instid0(SALU_CYCLE_1)
	s_add_co_i32 s4, s4, s10
	s_load_b32 s28, s[14:15], s4 offset:0x0 scale_offset
.LBB28_6:
	s_wait_xcnt 0x0
	s_bfe_u32 s4, ttmp6, 0x40010
	s_and_b32 s5, ttmp7, 0xffff
	s_add_co_i32 s4, s4, 1
	s_bfe_u32 s10, ttmp6, 0x40004
	s_mul_i32 s4, s5, s4
	v_lshlrev_b32_e32 v69, 2, v89
	s_add_co_i32 s10, s10, s4
	s_cmp_eq_u32 s24, 0
	v_mbcnt_lo_u32_b32 v91, -1, 0
	s_cselect_b32 s29, s5, s10
	s_mov_b32 s5, 0
	s_lshl_b32 s4, s29, 6
	s_wait_kmcnt 0x0
	s_cmp_lt_i32 s4, s28
	s_cbranch_scc1 .LBB28_9
; %bb.7:
	v_mbcnt_lo_u32_b32 v3, -1, 0
	s_delay_alu instid0(VALU_DEP_1)
	v_dual_mov_b32 v1, 32 :: v_dual_bitop2_b32 v106, 16, v3 bitop3:0x14
	v_xor_b32_e32 v105, 8, v3
	v_xor_b32_e32 v107, 4, v3
	;; [unrolled: 1-line block ×4, first 2 shown]
	s_and_not1_b32 vcc_lo, exec_lo, s5
	s_cbranch_vccz .LBB28_10
; %bb.8:
	v_dual_mov_b32 v11, 0 :: v_dual_mov_b32 v0, 0
	v_dual_mov_b32 v86, 0xfeffffff :: v_dual_mov_b32 v15, 0
	;; [unrolled: 1-line block ×5, first 2 shown]
	s_branch .LBB28_22
.LBB28_9:
                                        ; implicit-def: $vgpr3
                                        ; implicit-def: $vgpr1
                                        ; implicit-def: $vgpr106
                                        ; implicit-def: $vgpr105
                                        ; implicit-def: $vgpr107
                                        ; implicit-def: $vgpr108
                                        ; implicit-def: $vgpr109
.LBB28_10:
	s_mul_f32 s5, s25, 0x4f7ffffe
	s_clause 0x1
	s_load_b128 s[24:27], s[0:1], 0x98
	s_load_b64 s[14:15], s[0:1], 0x8c
	s_sub_co_i32 s10, 0, s38
	s_load_b64 s[20:21], s[0:1], 0xa8
	s_cvt_u32_f32 s5, s5
	s_ashr_i32 s39, s3, 31
	s_abs_i32 s34, s33
	s_mov_b32 s11, s35
	s_mul_i32 s10, s10, s5
	s_ashr_i32 s36, s33, 31
	s_mul_hi_u32 s3, s5, s10
	s_ashr_i32 s37, s37, 1
	s_add_co_i32 s10, s5, s3
	s_ashr_i32 s3, s2, 31
	s_mul_u64 s[10:11], s[34:35], s[10:11]
	s_xor_b32 s35, s36, s39
	s_mul_i32 s5, s11, s38
	v_lshl_add_u32 v97, v0, 7, 0x3600
	s_sub_co_i32 s5, s34, s5
	s_add_co_i32 s34, s11, 1
	s_wait_kmcnt 0x0
	s_ashr_i32 s10, s26, 2
	s_ashr_i32 s14, s14, 2
	s_sub_co_i32 s36, s5, s38
	s_cmp_ge_u32 s5, s38
	s_mul_u64 s[24:25], s[24:25], s[2:3]
	s_cselect_b32 s11, s34, s11
	s_cselect_b32 s5, s36, s5
	s_add_co_i32 s34, s11, 1
	s_cmp_ge_u32 s5, s38
	v_mul_lo_u32 v6, s10, v0
	s_cselect_b32 s5, s34, s11
	s_load_b32 s34, s[0:1], 0x54
	s_mul_u64 s[20:21], s[20:21], s[2:3]
	s_lshl_b32 s3, s14, 4
	v_and_b32_e32 v4, 28, v69
	v_lshrrev_b32_e32 v1, 3, v89
	v_mad_u32 v99, v2, s37, v89
	s_xor_b32 s5, s5, s35
	s_add_nc_u64 s[6:7], s[6:7], s[24:25]
	v_lshlrev_b32_e32 v3, 2, v4
	v_lshl_add_u32 v1, v0, 2, v1
	s_sub_co_i32 s5, s5, s35
	s_add_nc_u64 s[8:9], s[8:9], s[20:21]
	s_mul_i32 s24, s5, s15
	s_mul_i32 s20, s5, s27
	v_mul_lo_u32 v70, s14, v1
	v_mad_u32_u24 v92, 0x90, v1, v3
	v_mul_u32_u24_e32 v96, 0x90, v89
	v_lshl_add_u32 v100, v89, 1, v97
	s_ashr_i32 s25, s24, 31
	s_ashr_i32 s21, s20, 31
	s_add_nc_u64 s[6:7], s[6:7], s[24:25]
	s_add_nc_u64 s[8:9], s[8:9], s[20:21]
	s_ashr_i32 s15, s14, 31
	v_mov_b32_e32 v77, 0
	v_add_nc_u32_e32 v93, 0x900, v92
	v_dual_add_nc_u32 v72, s3, v70 :: v_dual_ashrrev_i32 v71, 31, v70
	s_delay_alu instid0(VALU_DEP_3) | instskip(SKIP_1) | instid1(VALU_DEP_3)
	v_dual_mov_b32 v81, v77 :: v_dual_add_nc_u32 v94, 0x1200, v92
	v_dual_mov_b32 v12, v77 :: v_dual_add_nc_u32 v95, 0x1b00, v92
	v_dual_add_nc_u32 v74, s3, v72 :: v_dual_ashrrev_i32 v73, 31, v72
	v_dual_ashrrev_i32 v7, 31, v6 :: v_dual_lshlrev_b32 v80, 2, v4
	s_delay_alu instid0(VALU_DEP_2) | instskip(SKIP_2) | instid1(VALU_DEP_2)
	v_dual_mov_b32 v13, v77 :: v_dual_add_nc_u32 v78, s3, v74
	v_dual_ashrrev_i32 v75, 31, v74 :: v_dual_lshlrev_b32 v76, 2, v69
	s_and_b32 s3, s26, -4
	v_dual_mov_b32 v16, 0xfeffffff :: v_dual_ashrrev_i32 v79, 31, v78
	v_lshlrev_b64_e32 v[82:83], 2, v[6:7]
	s_delay_alu instid0(VALU_DEP_3) | instskip(SKIP_2) | instid1(VALU_DEP_2)
	v_lshl_add_u32 v98, v0, 10, v76
	v_dual_add_nc_u32 v0, s3, v6 :: v_dual_mov_b32 v8, v77
	v_dual_mov_b32 v9, v77 :: v_dual_mov_b32 v15, v77
	v_dual_mov_b32 v11, v77 :: v_dual_ashrrev_i32 v1, 31, v0
	s_delay_alu instid0(VALU_DEP_4) | instskip(SKIP_2) | instid1(VALU_DEP_4)
	v_dual_mov_b32 v14, v77 :: v_dual_add_nc_u32 v101, 0x200, v98
	v_add_nc_u32_e32 v102, 0x1000, v98
	v_dual_mov_b32 v10, v77 :: v_dual_add_nc_u32 v103, 0x1200, v98
	v_lshlrev_b64_e32 v[84:85], 2, v[0:1]
	v_mov_b32_e32 v104, v77
	s_ashr_i32 s11, s10, 31
	s_add_nc_u64 s[20:21], s[0:1], 0xd0
	s_mov_b32 s3, 0xbbbac73d
.LBB28_11:                              ; =>This Inner Loop Header: Depth=1
	s_ashr_i32 s5, s4, 31
	v_mov_b32_e32 v17, 0
	s_mul_u64 s[24:25], s[4:5], s[14:15]
	s_delay_alu instid0(SALU_CYCLE_1) | instskip(NEXT) | instid1(SALU_CYCLE_1)
	s_lshl_b64 s[24:25], s[24:25], 2
	s_add_nc_u64 s[24:25], s[6:7], s[24:25]
	s_delay_alu instid0(SALU_CYCLE_1) | instskip(SKIP_3) | instid1(VALU_DEP_4)
	v_lshl_add_u64 v[0:1], v[70:71], 2, s[24:25]
	v_lshl_add_u64 v[2:3], v[72:73], 2, s[24:25]
	;; [unrolled: 1-line block ×4, first 2 shown]
	v_add_nc_u64_e32 v[0:1], v[0:1], v[80:81]
	s_delay_alu instid0(VALU_DEP_4) | instskip(NEXT) | instid1(VALU_DEP_4)
	v_add_nc_u64_e32 v[2:3], v[2:3], v[80:81]
	v_add_nc_u64_e32 v[4:5], v[4:5], v[80:81]
	s_delay_alu instid0(VALU_DEP_4)
	v_add_nc_u64_e32 v[6:7], v[6:7], v[80:81]
	s_clause 0x3
	global_load_b128 v[18:21], v[0:1], off
	global_load_b128 v[22:25], v[2:3], off
	;; [unrolled: 1-line block ×4, first 2 shown]
	s_wait_loadcnt 0x3
	ds_store_b128 v92, v[18:21]
	s_wait_loadcnt 0x2
	ds_store_b128 v93, v[22:25]
	;; [unrolled: 2-line block ×4, first 2 shown]
	s_wait_dscnt 0x0
	s_barrier_signal -1
	s_barrier_wait -1
	ds_load_b128 v[20:23], v96
	ds_load_b128 v[24:27], v87
	ds_load_b128 v[28:31], v96 offset:4608
	v_mov_b32_e32 v18, 0
	s_wait_dscnt 0x1
	;;#ASMSTART
	v_dot2_f32_f16 v17, v20, v24, v17
	;;#ASMEND
	;;#ASMSTART
	v_dot2_f32_f16 v17, v21, v25, v17
	;;#ASMEND
	;;#ASMSTART
	v_dot2_f32_f16 v17, v22, v26, v17
	;;#ASMEND
	;;#ASMSTART
	v_dot2_f32_f16 v17, v23, v27, v17
	;;#ASMEND
	s_wait_dscnt 0x0
	;;#ASMSTART
	v_dot2_f32_f16 v18, v28, v24, v18
	;;#ASMEND
	;;#ASMSTART
	v_dot2_f32_f16 v18, v29, v25, v18
	;;#ASMEND
	;;#ASMSTART
	v_dot2_f32_f16 v18, v30, v26, v18
	;;#ASMEND
	;;#ASMSTART
	v_dot2_f32_f16 v18, v31, v27, v18
	;;#ASMEND
	ds_load_b128 v[20:23], v96 offset:16
	ds_load_b128 v[24:27], v87 offset:16
	ds_load_b128 v[28:31], v96 offset:4624
	s_wait_dscnt 0x1
	;;#ASMSTART
	v_dot2_f32_f16 v17, v20, v24, v17
	;;#ASMEND
	;;#ASMSTART
	v_dot2_f32_f16 v17, v21, v25, v17
	;;#ASMEND
	;;#ASMSTART
	v_dot2_f32_f16 v17, v22, v26, v17
	;;#ASMEND
	;;#ASMSTART
	v_dot2_f32_f16 v17, v23, v27, v17
	;;#ASMEND
	s_wait_dscnt 0x0
	;;#ASMSTART
	v_dot2_f32_f16 v18, v28, v24, v18
	;;#ASMEND
	;;#ASMSTART
	v_dot2_f32_f16 v18, v29, v25, v18
	;;#ASMEND
	;;#ASMSTART
	v_dot2_f32_f16 v18, v30, v26, v18
	;;#ASMEND
	;;#ASMSTART
	v_dot2_f32_f16 v18, v31, v27, v18
	;;#ASMEND
	ds_load_b128 v[20:23], v96 offset:32
	ds_load_b128 v[24:27], v87 offset:32
	ds_load_b128 v[28:31], v96 offset:4640
	;; [unrolled: 29-line block ×7, first 2 shown]
	s_wait_dscnt 0x1
	;;#ASMSTART
	v_dot2_f32_f16 v17, v20, v24, v17
	;;#ASMEND
	;;#ASMSTART
	v_dot2_f32_f16 v17, v21, v25, v17
	;;#ASMEND
	;; [unrolled: 3-line block ×4, first 2 shown]
	s_wait_dscnt 0x0
	;;#ASMSTART
	v_dot2_f32_f16 v18, v28, v24, v18
	;;#ASMEND
	;;#ASMSTART
	v_dot2_f32_f16 v18, v29, v25, v18
	;;#ASMEND
	;; [unrolled: 3-line block ×4, first 2 shown]
	s_barrier_signal -1
	s_barrier_wait -1
	s_clause 0x3
	global_load_b128 v[20:23], v[0:1], off offset:128
	global_load_b128 v[24:27], v[2:3], off offset:128
	;; [unrolled: 1-line block ×4, first 2 shown]
	s_wait_loadcnt 0x3
	ds_store_b128 v92, v[20:23]
	s_wait_loadcnt 0x2
	ds_store_b128 v93, v[24:27]
	;; [unrolled: 2-line block ×4, first 2 shown]
	s_wait_dscnt 0x0
	s_barrier_signal -1
	s_barrier_wait -1
	ds_load_b128 v[20:23], v96
	ds_load_b128 v[24:27], v87 offset:128
	ds_load_b128 v[28:31], v96 offset:4608
	s_wait_dscnt 0x1
	;;#ASMSTART
	v_dot2_f32_f16 v17, v20, v24, v17
	;;#ASMEND
	;;#ASMSTART
	v_dot2_f32_f16 v17, v21, v25, v17
	;;#ASMEND
	;;#ASMSTART
	v_dot2_f32_f16 v17, v22, v26, v17
	;;#ASMEND
	;;#ASMSTART
	v_dot2_f32_f16 v17, v23, v27, v17
	;;#ASMEND
	s_wait_dscnt 0x0
	;;#ASMSTART
	v_dot2_f32_f16 v18, v28, v24, v18
	;;#ASMEND
	;;#ASMSTART
	v_dot2_f32_f16 v18, v29, v25, v18
	;;#ASMEND
	;;#ASMSTART
	v_dot2_f32_f16 v18, v30, v26, v18
	;;#ASMEND
	;;#ASMSTART
	v_dot2_f32_f16 v18, v31, v27, v18
	;;#ASMEND
	ds_load_b128 v[20:23], v96 offset:16
	ds_load_b128 v[24:27], v87 offset:144
	ds_load_b128 v[28:31], v96 offset:4624
	s_wait_dscnt 0x1
	;;#ASMSTART
	v_dot2_f32_f16 v17, v20, v24, v17
	;;#ASMEND
	;;#ASMSTART
	v_dot2_f32_f16 v17, v21, v25, v17
	;;#ASMEND
	;;#ASMSTART
	v_dot2_f32_f16 v17, v22, v26, v17
	;;#ASMEND
	;;#ASMSTART
	v_dot2_f32_f16 v17, v23, v27, v17
	;;#ASMEND
	s_wait_dscnt 0x0
	;;#ASMSTART
	v_dot2_f32_f16 v18, v28, v24, v18
	;;#ASMEND
	;;#ASMSTART
	v_dot2_f32_f16 v18, v29, v25, v18
	;;#ASMEND
	;;#ASMSTART
	v_dot2_f32_f16 v18, v30, v26, v18
	;;#ASMEND
	;;#ASMSTART
	v_dot2_f32_f16 v18, v31, v27, v18
	;;#ASMEND
	ds_load_b128 v[20:23], v96 offset:32
	;; [unrolled: 29-line block ×7, first 2 shown]
	ds_load_b128 v[24:27], v87 offset:240
	ds_load_b128 v[28:31], v96 offset:4720
	s_wait_dscnt 0x1
	;;#ASMSTART
	v_dot2_f32_f16 v17, v20, v24, v17
	;;#ASMEND
	;;#ASMSTART
	v_dot2_f32_f16 v17, v21, v25, v17
	;;#ASMEND
	;; [unrolled: 3-line block ×4, first 2 shown]
	s_wait_dscnt 0x0
	;;#ASMSTART
	v_dot2_f32_f16 v18, v28, v24, v18
	;;#ASMEND
	;;#ASMSTART
	v_dot2_f32_f16 v18, v29, v25, v18
	;;#ASMEND
	;; [unrolled: 3-line block ×4, first 2 shown]
	s_barrier_signal -1
	s_barrier_wait -1
	s_clause 0x3
	global_load_b128 v[20:23], v[0:1], off offset:256
	global_load_b128 v[24:27], v[2:3], off offset:256
	global_load_b128 v[28:31], v[4:5], off offset:256
	global_load_b128 v[32:35], v[6:7], off offset:256
	s_wait_loadcnt 0x3
	ds_store_b128 v92, v[20:23]
	s_wait_loadcnt 0x2
	ds_store_b128 v93, v[24:27]
	;; [unrolled: 2-line block ×4, first 2 shown]
	s_wait_dscnt 0x0
	s_barrier_signal -1
	s_barrier_wait -1
	ds_load_b128 v[20:23], v96
	ds_load_b128 v[24:27], v87 offset:256
	ds_load_b128 v[28:31], v96 offset:4608
	s_wait_dscnt 0x1
	;;#ASMSTART
	v_dot2_f32_f16 v17, v20, v24, v17
	;;#ASMEND
	;;#ASMSTART
	v_dot2_f32_f16 v17, v21, v25, v17
	;;#ASMEND
	;;#ASMSTART
	v_dot2_f32_f16 v17, v22, v26, v17
	;;#ASMEND
	;;#ASMSTART
	v_dot2_f32_f16 v17, v23, v27, v17
	;;#ASMEND
	s_wait_dscnt 0x0
	;;#ASMSTART
	v_dot2_f32_f16 v18, v28, v24, v18
	;;#ASMEND
	;;#ASMSTART
	v_dot2_f32_f16 v18, v29, v25, v18
	;;#ASMEND
	;;#ASMSTART
	v_dot2_f32_f16 v18, v30, v26, v18
	;;#ASMEND
	;;#ASMSTART
	v_dot2_f32_f16 v18, v31, v27, v18
	;;#ASMEND
	ds_load_b128 v[20:23], v96 offset:16
	ds_load_b128 v[24:27], v87 offset:272
	ds_load_b128 v[28:31], v96 offset:4624
	s_wait_dscnt 0x1
	;;#ASMSTART
	v_dot2_f32_f16 v17, v20, v24, v17
	;;#ASMEND
	;;#ASMSTART
	v_dot2_f32_f16 v17, v21, v25, v17
	;;#ASMEND
	;;#ASMSTART
	v_dot2_f32_f16 v17, v22, v26, v17
	;;#ASMEND
	;;#ASMSTART
	v_dot2_f32_f16 v17, v23, v27, v17
	;;#ASMEND
	s_wait_dscnt 0x0
	;;#ASMSTART
	v_dot2_f32_f16 v18, v28, v24, v18
	;;#ASMEND
	;;#ASMSTART
	v_dot2_f32_f16 v18, v29, v25, v18
	;;#ASMEND
	;;#ASMSTART
	v_dot2_f32_f16 v18, v30, v26, v18
	;;#ASMEND
	;;#ASMSTART
	v_dot2_f32_f16 v18, v31, v27, v18
	;;#ASMEND
	ds_load_b128 v[20:23], v96 offset:32
	;; [unrolled: 29-line block ×7, first 2 shown]
	ds_load_b128 v[24:27], v87 offset:368
	ds_load_b128 v[28:31], v96 offset:4720
	s_wait_dscnt 0x1
	;;#ASMSTART
	v_dot2_f32_f16 v17, v20, v24, v17
	;;#ASMEND
	;;#ASMSTART
	v_dot2_f32_f16 v17, v21, v25, v17
	;;#ASMEND
	;;#ASMSTART
	v_dot2_f32_f16 v17, v22, v26, v17
	;;#ASMEND
	;;#ASMSTART
	v_dot2_f32_f16 v17, v23, v27, v17
	;;#ASMEND
	s_wait_dscnt 0x0
	;;#ASMSTART
	v_dot2_f32_f16 v18, v28, v24, v18
	;;#ASMEND
	;;#ASMSTART
	v_dot2_f32_f16 v18, v29, v25, v18
	;;#ASMEND
	;; [unrolled: 3-line block ×4, first 2 shown]
	s_barrier_signal -1
	s_barrier_wait -1
	s_clause 0x3
	global_load_b128 v[20:23], v[0:1], off offset:384
	global_load_b128 v[24:27], v[2:3], off offset:384
	;; [unrolled: 1-line block ×4, first 2 shown]
	s_wait_loadcnt 0x3
	ds_store_b128 v92, v[20:23]
	s_wait_loadcnt 0x2
	ds_store_b128 v93, v[24:27]
	;; [unrolled: 2-line block ×4, first 2 shown]
	s_wait_dscnt 0x0
	s_barrier_signal -1
	s_barrier_wait -1
	ds_load_b128 v[20:23], v96
	ds_load_b128 v[24:27], v87 offset:384
	ds_load_b128 v[28:31], v96 offset:4608
	s_wait_dscnt 0x1
	;;#ASMSTART
	v_dot2_f32_f16 v17, v20, v24, v17
	;;#ASMEND
	;;#ASMSTART
	v_dot2_f32_f16 v17, v21, v25, v17
	;;#ASMEND
	;;#ASMSTART
	v_dot2_f32_f16 v17, v22, v26, v17
	;;#ASMEND
	;;#ASMSTART
	v_dot2_f32_f16 v17, v23, v27, v17
	;;#ASMEND
	s_wait_dscnt 0x0
	;;#ASMSTART
	v_dot2_f32_f16 v18, v28, v24, v18
	;;#ASMEND
	;;#ASMSTART
	v_dot2_f32_f16 v18, v29, v25, v18
	;;#ASMEND
	;;#ASMSTART
	v_dot2_f32_f16 v18, v30, v26, v18
	;;#ASMEND
	;;#ASMSTART
	v_dot2_f32_f16 v18, v31, v27, v18
	;;#ASMEND
	ds_load_b128 v[20:23], v96 offset:16
	ds_load_b128 v[24:27], v87 offset:400
	ds_load_b128 v[28:31], v96 offset:4624
	s_wait_dscnt 0x1
	;;#ASMSTART
	v_dot2_f32_f16 v17, v20, v24, v17
	;;#ASMEND
	;;#ASMSTART
	v_dot2_f32_f16 v17, v21, v25, v17
	;;#ASMEND
	;;#ASMSTART
	v_dot2_f32_f16 v17, v22, v26, v17
	;;#ASMEND
	;;#ASMSTART
	v_dot2_f32_f16 v17, v23, v27, v17
	;;#ASMEND
	s_wait_dscnt 0x0
	;;#ASMSTART
	v_dot2_f32_f16 v18, v28, v24, v18
	;;#ASMEND
	;;#ASMSTART
	v_dot2_f32_f16 v18, v29, v25, v18
	;;#ASMEND
	;;#ASMSTART
	v_dot2_f32_f16 v18, v30, v26, v18
	;;#ASMEND
	;;#ASMSTART
	v_dot2_f32_f16 v18, v31, v27, v18
	;;#ASMEND
	ds_load_b128 v[20:23], v96 offset:32
	;; [unrolled: 29-line block ×7, first 2 shown]
	ds_load_b128 v[24:27], v87 offset:496
	ds_load_b128 v[28:31], v96 offset:4720
	s_wait_dscnt 0x1
	;;#ASMSTART
	v_dot2_f32_f16 v17, v20, v24, v17
	;;#ASMEND
	;;#ASMSTART
	v_dot2_f32_f16 v17, v21, v25, v17
	;;#ASMEND
	;; [unrolled: 3-line block ×4, first 2 shown]
	s_wait_dscnt 0x0
	;;#ASMSTART
	v_dot2_f32_f16 v18, v28, v24, v18
	;;#ASMEND
	;;#ASMSTART
	v_dot2_f32_f16 v18, v29, v25, v18
	;;#ASMEND
	;;#ASMSTART
	v_dot2_f32_f16 v18, v30, v26, v18
	;;#ASMEND
	;;#ASMSTART
	v_dot2_f32_f16 v18, v31, v27, v18
	;;#ASMEND
	s_barrier_signal -1
	s_barrier_wait -1
	s_clause 0x3
	global_load_b128 v[20:23], v[0:1], off offset:512
	global_load_b128 v[24:27], v[2:3], off offset:512
	;; [unrolled: 1-line block ×4, first 2 shown]
	s_wait_loadcnt 0x3
	ds_store_b128 v92, v[20:23]
	s_wait_loadcnt 0x2
	ds_store_b128 v93, v[24:27]
	;; [unrolled: 2-line block ×4, first 2 shown]
	s_wait_dscnt 0x0
	s_barrier_signal -1
	s_barrier_wait -1
	ds_load_b128 v[20:23], v96
	ds_load_b128 v[24:27], v87 offset:512
	ds_load_b128 v[28:31], v96 offset:4608
	s_wait_dscnt 0x1
	;;#ASMSTART
	v_dot2_f32_f16 v17, v20, v24, v17
	;;#ASMEND
	;;#ASMSTART
	v_dot2_f32_f16 v17, v21, v25, v17
	;;#ASMEND
	;;#ASMSTART
	v_dot2_f32_f16 v17, v22, v26, v17
	;;#ASMEND
	;;#ASMSTART
	v_dot2_f32_f16 v17, v23, v27, v17
	;;#ASMEND
	s_wait_dscnt 0x0
	;;#ASMSTART
	v_dot2_f32_f16 v18, v28, v24, v18
	;;#ASMEND
	;;#ASMSTART
	v_dot2_f32_f16 v18, v29, v25, v18
	;;#ASMEND
	;;#ASMSTART
	v_dot2_f32_f16 v18, v30, v26, v18
	;;#ASMEND
	;;#ASMSTART
	v_dot2_f32_f16 v18, v31, v27, v18
	;;#ASMEND
	ds_load_b128 v[20:23], v96 offset:16
	ds_load_b128 v[24:27], v87 offset:528
	ds_load_b128 v[28:31], v96 offset:4624
	s_wait_dscnt 0x1
	;;#ASMSTART
	v_dot2_f32_f16 v17, v20, v24, v17
	;;#ASMEND
	;;#ASMSTART
	v_dot2_f32_f16 v17, v21, v25, v17
	;;#ASMEND
	;;#ASMSTART
	v_dot2_f32_f16 v17, v22, v26, v17
	;;#ASMEND
	;;#ASMSTART
	v_dot2_f32_f16 v17, v23, v27, v17
	;;#ASMEND
	s_wait_dscnt 0x0
	;;#ASMSTART
	v_dot2_f32_f16 v18, v28, v24, v18
	;;#ASMEND
	;;#ASMSTART
	v_dot2_f32_f16 v18, v29, v25, v18
	;;#ASMEND
	;;#ASMSTART
	v_dot2_f32_f16 v18, v30, v26, v18
	;;#ASMEND
	;;#ASMSTART
	v_dot2_f32_f16 v18, v31, v27, v18
	;;#ASMEND
	ds_load_b128 v[20:23], v96 offset:32
	;; [unrolled: 29-line block ×7, first 2 shown]
	ds_load_b128 v[24:27], v87 offset:624
	ds_load_b128 v[28:31], v96 offset:4720
	s_wait_dscnt 0x1
	;;#ASMSTART
	v_dot2_f32_f16 v17, v20, v24, v17
	;;#ASMEND
	;;#ASMSTART
	v_dot2_f32_f16 v17, v21, v25, v17
	;;#ASMEND
	;; [unrolled: 3-line block ×4, first 2 shown]
	s_wait_dscnt 0x0
	;;#ASMSTART
	v_dot2_f32_f16 v18, v28, v24, v18
	;;#ASMEND
	;;#ASMSTART
	v_dot2_f32_f16 v18, v29, v25, v18
	;;#ASMEND
	;; [unrolled: 3-line block ×4, first 2 shown]
	s_barrier_signal -1
	s_barrier_wait -1
	s_clause 0x3
	global_load_b128 v[20:23], v[0:1], off offset:640
	global_load_b128 v[24:27], v[2:3], off offset:640
	;; [unrolled: 1-line block ×4, first 2 shown]
	s_wait_loadcnt 0x3
	ds_store_b128 v92, v[20:23]
	s_wait_loadcnt 0x2
	ds_store_b128 v93, v[24:27]
	;; [unrolled: 2-line block ×4, first 2 shown]
	s_wait_dscnt 0x0
	s_barrier_signal -1
	s_barrier_wait -1
	ds_load_b128 v[20:23], v96
	ds_load_b128 v[24:27], v87 offset:640
	ds_load_b128 v[28:31], v96 offset:4608
	s_wait_dscnt 0x1
	;;#ASMSTART
	v_dot2_f32_f16 v17, v20, v24, v17
	;;#ASMEND
	;;#ASMSTART
	v_dot2_f32_f16 v17, v21, v25, v17
	;;#ASMEND
	;;#ASMSTART
	v_dot2_f32_f16 v17, v22, v26, v17
	;;#ASMEND
	;;#ASMSTART
	v_dot2_f32_f16 v17, v23, v27, v17
	;;#ASMEND
	s_wait_dscnt 0x0
	;;#ASMSTART
	v_dot2_f32_f16 v18, v28, v24, v18
	;;#ASMEND
	;;#ASMSTART
	v_dot2_f32_f16 v18, v29, v25, v18
	;;#ASMEND
	;;#ASMSTART
	v_dot2_f32_f16 v18, v30, v26, v18
	;;#ASMEND
	;;#ASMSTART
	v_dot2_f32_f16 v18, v31, v27, v18
	;;#ASMEND
	ds_load_b128 v[20:23], v96 offset:16
	ds_load_b128 v[24:27], v87 offset:656
	ds_load_b128 v[28:31], v96 offset:4624
	s_wait_dscnt 0x1
	;;#ASMSTART
	v_dot2_f32_f16 v17, v20, v24, v17
	;;#ASMEND
	;;#ASMSTART
	v_dot2_f32_f16 v17, v21, v25, v17
	;;#ASMEND
	;;#ASMSTART
	v_dot2_f32_f16 v17, v22, v26, v17
	;;#ASMEND
	;;#ASMSTART
	v_dot2_f32_f16 v17, v23, v27, v17
	;;#ASMEND
	s_wait_dscnt 0x0
	;;#ASMSTART
	v_dot2_f32_f16 v18, v28, v24, v18
	;;#ASMEND
	;;#ASMSTART
	v_dot2_f32_f16 v18, v29, v25, v18
	;;#ASMEND
	;;#ASMSTART
	v_dot2_f32_f16 v18, v30, v26, v18
	;;#ASMEND
	;;#ASMSTART
	v_dot2_f32_f16 v18, v31, v27, v18
	;;#ASMEND
	ds_load_b128 v[20:23], v96 offset:32
	;; [unrolled: 29-line block ×7, first 2 shown]
	ds_load_b128 v[24:27], v87 offset:752
	ds_load_b128 v[28:31], v96 offset:4720
	s_wait_dscnt 0x1
	;;#ASMSTART
	v_dot2_f32_f16 v17, v20, v24, v17
	;;#ASMEND
	;;#ASMSTART
	v_dot2_f32_f16 v17, v21, v25, v17
	;;#ASMEND
	;; [unrolled: 3-line block ×4, first 2 shown]
	s_wait_dscnt 0x0
	;;#ASMSTART
	v_dot2_f32_f16 v18, v28, v24, v18
	;;#ASMEND
	;;#ASMSTART
	v_dot2_f32_f16 v18, v29, v25, v18
	;;#ASMEND
	;; [unrolled: 3-line block ×4, first 2 shown]
	s_barrier_signal -1
	s_barrier_wait -1
	s_clause 0x3
	global_load_b128 v[20:23], v[0:1], off offset:768
	global_load_b128 v[24:27], v[2:3], off offset:768
	;; [unrolled: 1-line block ×4, first 2 shown]
	s_wait_loadcnt 0x3
	ds_store_b128 v92, v[20:23]
	s_wait_loadcnt 0x2
	ds_store_b128 v93, v[24:27]
	;; [unrolled: 2-line block ×4, first 2 shown]
	s_wait_dscnt 0x0
	s_barrier_signal -1
	s_barrier_wait -1
	ds_load_b128 v[20:23], v96
	ds_load_b128 v[24:27], v87 offset:768
	ds_load_b128 v[28:31], v96 offset:4608
	s_wait_dscnt 0x1
	;;#ASMSTART
	v_dot2_f32_f16 v17, v20, v24, v17
	;;#ASMEND
	;;#ASMSTART
	v_dot2_f32_f16 v17, v21, v25, v17
	;;#ASMEND
	;;#ASMSTART
	v_dot2_f32_f16 v17, v22, v26, v17
	;;#ASMEND
	;;#ASMSTART
	v_dot2_f32_f16 v17, v23, v27, v17
	;;#ASMEND
	s_wait_dscnt 0x0
	;;#ASMSTART
	v_dot2_f32_f16 v18, v28, v24, v18
	;;#ASMEND
	;;#ASMSTART
	v_dot2_f32_f16 v18, v29, v25, v18
	;;#ASMEND
	;;#ASMSTART
	v_dot2_f32_f16 v18, v30, v26, v18
	;;#ASMEND
	;;#ASMSTART
	v_dot2_f32_f16 v18, v31, v27, v18
	;;#ASMEND
	ds_load_b128 v[20:23], v96 offset:16
	ds_load_b128 v[24:27], v87 offset:784
	ds_load_b128 v[28:31], v96 offset:4624
	s_wait_dscnt 0x1
	;;#ASMSTART
	v_dot2_f32_f16 v17, v20, v24, v17
	;;#ASMEND
	;;#ASMSTART
	v_dot2_f32_f16 v17, v21, v25, v17
	;;#ASMEND
	;;#ASMSTART
	v_dot2_f32_f16 v17, v22, v26, v17
	;;#ASMEND
	;;#ASMSTART
	v_dot2_f32_f16 v17, v23, v27, v17
	;;#ASMEND
	s_wait_dscnt 0x0
	;;#ASMSTART
	v_dot2_f32_f16 v18, v28, v24, v18
	;;#ASMEND
	;;#ASMSTART
	v_dot2_f32_f16 v18, v29, v25, v18
	;;#ASMEND
	;;#ASMSTART
	v_dot2_f32_f16 v18, v30, v26, v18
	;;#ASMEND
	;;#ASMSTART
	v_dot2_f32_f16 v18, v31, v27, v18
	;;#ASMEND
	ds_load_b128 v[20:23], v96 offset:32
	ds_load_b128 v[24:27], v87 offset:800
	ds_load_b128 v[28:31], v96 offset:4640
	s_wait_dscnt 0x1
	;;#ASMSTART
	v_dot2_f32_f16 v17, v20, v24, v17
	;;#ASMEND
	;;#ASMSTART
	v_dot2_f32_f16 v17, v21, v25, v17
	;;#ASMEND
	;;#ASMSTART
	v_dot2_f32_f16 v17, v22, v26, v17
	;;#ASMEND
	;;#ASMSTART
	v_dot2_f32_f16 v17, v23, v27, v17
	;;#ASMEND
	s_wait_dscnt 0x0
	;;#ASMSTART
	v_dot2_f32_f16 v18, v28, v24, v18
	;;#ASMEND
	;;#ASMSTART
	v_dot2_f32_f16 v18, v29, v25, v18
	;;#ASMEND
	;;#ASMSTART
	v_dot2_f32_f16 v18, v30, v26, v18
	;;#ASMEND
	;;#ASMSTART
	v_dot2_f32_f16 v18, v31, v27, v18
	;;#ASMEND
	ds_load_b128 v[20:23], v96 offset:48
	ds_load_b128 v[24:27], v87 offset:816
	ds_load_b128 v[28:31], v96 offset:4656
	s_wait_dscnt 0x1
	;;#ASMSTART
	v_dot2_f32_f16 v17, v20, v24, v17
	;;#ASMEND
	;;#ASMSTART
	v_dot2_f32_f16 v17, v21, v25, v17
	;;#ASMEND
	;;#ASMSTART
	v_dot2_f32_f16 v17, v22, v26, v17
	;;#ASMEND
	;;#ASMSTART
	v_dot2_f32_f16 v17, v23, v27, v17
	;;#ASMEND
	s_wait_dscnt 0x0
	;;#ASMSTART
	v_dot2_f32_f16 v18, v28, v24, v18
	;;#ASMEND
	;;#ASMSTART
	v_dot2_f32_f16 v18, v29, v25, v18
	;;#ASMEND
	;;#ASMSTART
	v_dot2_f32_f16 v18, v30, v26, v18
	;;#ASMEND
	;;#ASMSTART
	v_dot2_f32_f16 v18, v31, v27, v18
	;;#ASMEND
	ds_load_b128 v[20:23], v96 offset:64
	ds_load_b128 v[24:27], v87 offset:832
	ds_load_b128 v[28:31], v96 offset:4672
	s_wait_dscnt 0x1
	;;#ASMSTART
	v_dot2_f32_f16 v17, v20, v24, v17
	;;#ASMEND
	;;#ASMSTART
	v_dot2_f32_f16 v17, v21, v25, v17
	;;#ASMEND
	;;#ASMSTART
	v_dot2_f32_f16 v17, v22, v26, v17
	;;#ASMEND
	;;#ASMSTART
	v_dot2_f32_f16 v17, v23, v27, v17
	;;#ASMEND
	s_wait_dscnt 0x0
	;;#ASMSTART
	v_dot2_f32_f16 v18, v28, v24, v18
	;;#ASMEND
	;;#ASMSTART
	v_dot2_f32_f16 v18, v29, v25, v18
	;;#ASMEND
	;;#ASMSTART
	v_dot2_f32_f16 v18, v30, v26, v18
	;;#ASMEND
	;;#ASMSTART
	v_dot2_f32_f16 v18, v31, v27, v18
	;;#ASMEND
	ds_load_b128 v[20:23], v96 offset:80
	ds_load_b128 v[24:27], v87 offset:848
	ds_load_b128 v[28:31], v96 offset:4688
	s_wait_dscnt 0x1
	;;#ASMSTART
	v_dot2_f32_f16 v17, v20, v24, v17
	;;#ASMEND
	;;#ASMSTART
	v_dot2_f32_f16 v17, v21, v25, v17
	;;#ASMEND
	;;#ASMSTART
	v_dot2_f32_f16 v17, v22, v26, v17
	;;#ASMEND
	;;#ASMSTART
	v_dot2_f32_f16 v17, v23, v27, v17
	;;#ASMEND
	s_wait_dscnt 0x0
	;;#ASMSTART
	v_dot2_f32_f16 v18, v28, v24, v18
	;;#ASMEND
	;;#ASMSTART
	v_dot2_f32_f16 v18, v29, v25, v18
	;;#ASMEND
	;;#ASMSTART
	v_dot2_f32_f16 v18, v30, v26, v18
	;;#ASMEND
	;;#ASMSTART
	v_dot2_f32_f16 v18, v31, v27, v18
	;;#ASMEND
	ds_load_b128 v[20:23], v96 offset:96
	ds_load_b128 v[24:27], v87 offset:864
	ds_load_b128 v[28:31], v96 offset:4704
	s_wait_dscnt 0x1
	;;#ASMSTART
	v_dot2_f32_f16 v17, v20, v24, v17
	;;#ASMEND
	;;#ASMSTART
	v_dot2_f32_f16 v17, v21, v25, v17
	;;#ASMEND
	;;#ASMSTART
	v_dot2_f32_f16 v17, v22, v26, v17
	;;#ASMEND
	;;#ASMSTART
	v_dot2_f32_f16 v17, v23, v27, v17
	;;#ASMEND
	s_wait_dscnt 0x0
	;;#ASMSTART
	v_dot2_f32_f16 v18, v28, v24, v18
	;;#ASMEND
	;;#ASMSTART
	v_dot2_f32_f16 v18, v29, v25, v18
	;;#ASMEND
	;;#ASMSTART
	v_dot2_f32_f16 v18, v30, v26, v18
	;;#ASMEND
	;;#ASMSTART
	v_dot2_f32_f16 v18, v31, v27, v18
	;;#ASMEND
	ds_load_b128 v[20:23], v96 offset:112
	ds_load_b128 v[24:27], v87 offset:880
	ds_load_b128 v[28:31], v96 offset:4720
	s_wait_dscnt 0x1
	;;#ASMSTART
	v_dot2_f32_f16 v17, v20, v24, v17
	;;#ASMEND
	;;#ASMSTART
	v_dot2_f32_f16 v17, v21, v25, v17
	;;#ASMEND
	;; [unrolled: 3-line block ×4, first 2 shown]
	s_wait_dscnt 0x0
	;;#ASMSTART
	v_dot2_f32_f16 v18, v28, v24, v18
	;;#ASMEND
	;;#ASMSTART
	v_dot2_f32_f16 v18, v29, v25, v18
	;;#ASMEND
	;; [unrolled: 3-line block ×4, first 2 shown]
	s_barrier_signal -1
	s_barrier_wait -1
	s_clause 0x3
	global_load_b128 v[20:23], v[0:1], off offset:896
	global_load_b128 v[24:27], v[2:3], off offset:896
	;; [unrolled: 1-line block ×4, first 2 shown]
	s_wait_loadcnt 0x3
	ds_store_b128 v92, v[20:23]
	s_wait_loadcnt 0x2
	ds_store_b128 v93, v[24:27]
	;; [unrolled: 2-line block ×4, first 2 shown]
	s_wait_dscnt 0x0
	s_barrier_signal -1
	s_barrier_wait -1
	ds_load_b128 v[20:23], v96
	ds_load_b128 v[24:27], v87 offset:896
	ds_load_b128 v[28:31], v96 offset:4608
	s_wait_dscnt 0x1
	;;#ASMSTART
	v_dot2_f32_f16 v17, v20, v24, v17
	;;#ASMEND
	;;#ASMSTART
	v_dot2_f32_f16 v17, v21, v25, v17
	;;#ASMEND
	;;#ASMSTART
	v_dot2_f32_f16 v17, v22, v26, v17
	;;#ASMEND
	;;#ASMSTART
	v_dot2_f32_f16 v17, v23, v27, v17
	;;#ASMEND
	s_wait_dscnt 0x0
	;;#ASMSTART
	v_dot2_f32_f16 v18, v28, v24, v18
	;;#ASMEND
	;;#ASMSTART
	v_dot2_f32_f16 v18, v29, v25, v18
	;;#ASMEND
	;;#ASMSTART
	v_dot2_f32_f16 v18, v30, v26, v18
	;;#ASMEND
	;;#ASMSTART
	v_dot2_f32_f16 v18, v31, v27, v18
	;;#ASMEND
	ds_load_b128 v[20:23], v96 offset:16
	ds_load_b128 v[24:27], v87 offset:912
	ds_load_b128 v[28:31], v96 offset:4624
	s_wait_dscnt 0x1
	;;#ASMSTART
	v_dot2_f32_f16 v17, v20, v24, v17
	;;#ASMEND
	;;#ASMSTART
	v_dot2_f32_f16 v17, v21, v25, v17
	;;#ASMEND
	;;#ASMSTART
	v_dot2_f32_f16 v17, v22, v26, v17
	;;#ASMEND
	;;#ASMSTART
	v_dot2_f32_f16 v17, v23, v27, v17
	;;#ASMEND
	s_wait_dscnt 0x0
	;;#ASMSTART
	v_dot2_f32_f16 v18, v28, v24, v18
	;;#ASMEND
	;;#ASMSTART
	v_dot2_f32_f16 v18, v29, v25, v18
	;;#ASMEND
	;;#ASMSTART
	v_dot2_f32_f16 v18, v30, v26, v18
	;;#ASMEND
	;;#ASMSTART
	v_dot2_f32_f16 v18, v31, v27, v18
	;;#ASMEND
	ds_load_b128 v[20:23], v96 offset:32
	;; [unrolled: 29-line block ×7, first 2 shown]
	ds_load_b128 v[24:27], v87 offset:1008
	ds_load_b128 v[28:31], v96 offset:4720
	s_wait_dscnt 0x1
	;;#ASMSTART
	v_dot2_f32_f16 v17, v20, v24, v17
	;;#ASMEND
	;;#ASMSTART
	v_dot2_f32_f16 v17, v21, v25, v17
	;;#ASMEND
	;; [unrolled: 3-line block ×4, first 2 shown]
	s_wait_dscnt 0x0
	;;#ASMSTART
	v_dot2_f32_f16 v18, v28, v24, v18
	;;#ASMEND
	;;#ASMSTART
	v_dot2_f32_f16 v18, v29, v25, v18
	;;#ASMEND
	;; [unrolled: 3-line block ×4, first 2 shown]
	s_barrier_signal -1
	s_barrier_wait -1
	s_clause 0x3
	global_load_b128 v[20:23], v[0:1], off offset:1024
	global_load_b128 v[24:27], v[2:3], off offset:1024
	global_load_b128 v[28:31], v[4:5], off offset:1024
	global_load_b128 v[32:35], v[6:7], off offset:1024
	s_wait_loadcnt 0x3
	ds_store_b128 v92, v[20:23]
	s_wait_loadcnt 0x2
	ds_store_b128 v93, v[24:27]
	;; [unrolled: 2-line block ×4, first 2 shown]
	s_wait_dscnt 0x0
	s_barrier_signal -1
	s_barrier_wait -1
	ds_load_b128 v[0:3], v96
	ds_load_b128 v[4:7], v87 offset:1024
	ds_load_b128 v[20:23], v96 offset:4608
	s_wait_dscnt 0x1
	;;#ASMSTART
	v_dot2_f32_f16 v17, v0, v4, v17
	;;#ASMEND
	;;#ASMSTART
	v_dot2_f32_f16 v17, v1, v5, v17
	;;#ASMEND
	;;#ASMSTART
	v_dot2_f32_f16 v17, v2, v6, v17
	;;#ASMEND
	;;#ASMSTART
	v_dot2_f32_f16 v17, v3, v7, v17
	;;#ASMEND
	s_wait_dscnt 0x0
	;;#ASMSTART
	v_dot2_f32_f16 v18, v20, v4, v18
	;;#ASMEND
	;;#ASMSTART
	v_dot2_f32_f16 v18, v21, v5, v18
	;;#ASMEND
	;;#ASMSTART
	v_dot2_f32_f16 v18, v22, v6, v18
	;;#ASMEND
	;;#ASMSTART
	v_dot2_f32_f16 v18, v23, v7, v18
	;;#ASMEND
	ds_load_b128 v[0:3], v96 offset:16
	ds_load_b128 v[4:7], v87 offset:1040
	ds_load_b128 v[20:23], v96 offset:4624
	s_wait_dscnt 0x1
	;;#ASMSTART
	v_dot2_f32_f16 v17, v0, v4, v17
	;;#ASMEND
	;;#ASMSTART
	v_dot2_f32_f16 v17, v1, v5, v17
	;;#ASMEND
	;;#ASMSTART
	v_dot2_f32_f16 v17, v2, v6, v17
	;;#ASMEND
	;;#ASMSTART
	v_dot2_f32_f16 v17, v3, v7, v17
	;;#ASMEND
	s_wait_dscnt 0x0
	;;#ASMSTART
	v_dot2_f32_f16 v18, v20, v4, v18
	;;#ASMEND
	;;#ASMSTART
	v_dot2_f32_f16 v18, v21, v5, v18
	;;#ASMEND
	;;#ASMSTART
	v_dot2_f32_f16 v18, v22, v6, v18
	;;#ASMEND
	;;#ASMSTART
	v_dot2_f32_f16 v18, v23, v7, v18
	;;#ASMEND
	ds_load_b128 v[0:3], v96 offset:32
	ds_load_b128 v[4:7], v87 offset:1056
	ds_load_b128 v[20:23], v96 offset:4640
	s_wait_dscnt 0x1
	;;#ASMSTART
	v_dot2_f32_f16 v17, v0, v4, v17
	;;#ASMEND
	;;#ASMSTART
	v_dot2_f32_f16 v17, v1, v5, v17
	;;#ASMEND
	;;#ASMSTART
	v_dot2_f32_f16 v17, v2, v6, v17
	;;#ASMEND
	;;#ASMSTART
	v_dot2_f32_f16 v17, v3, v7, v17
	;;#ASMEND
	s_wait_dscnt 0x0
	;;#ASMSTART
	v_dot2_f32_f16 v18, v20, v4, v18
	;;#ASMEND
	;;#ASMSTART
	v_dot2_f32_f16 v18, v21, v5, v18
	;;#ASMEND
	;;#ASMSTART
	v_dot2_f32_f16 v18, v22, v6, v18
	;;#ASMEND
	;;#ASMSTART
	v_dot2_f32_f16 v18, v23, v7, v18
	;;#ASMEND
	ds_load_b128 v[0:3], v96 offset:48
	ds_load_b128 v[4:7], v87 offset:1072
	ds_load_b128 v[20:23], v96 offset:4656
	s_wait_dscnt 0x1
	;;#ASMSTART
	v_dot2_f32_f16 v17, v0, v4, v17
	;;#ASMEND
	;;#ASMSTART
	v_dot2_f32_f16 v17, v1, v5, v17
	;;#ASMEND
	;;#ASMSTART
	v_dot2_f32_f16 v17, v2, v6, v17
	;;#ASMEND
	;;#ASMSTART
	v_dot2_f32_f16 v17, v3, v7, v17
	;;#ASMEND
	s_wait_dscnt 0x0
	;;#ASMSTART
	v_dot2_f32_f16 v18, v20, v4, v18
	;;#ASMEND
	;;#ASMSTART
	v_dot2_f32_f16 v18, v21, v5, v18
	;;#ASMEND
	;;#ASMSTART
	v_dot2_f32_f16 v18, v22, v6, v18
	;;#ASMEND
	;;#ASMSTART
	v_dot2_f32_f16 v18, v23, v7, v18
	;;#ASMEND
	ds_load_b128 v[0:3], v96 offset:64
	ds_load_b128 v[4:7], v87 offset:1088
	ds_load_b128 v[20:23], v96 offset:4672
	s_wait_dscnt 0x1
	;;#ASMSTART
	v_dot2_f32_f16 v17, v0, v4, v17
	;;#ASMEND
	;;#ASMSTART
	v_dot2_f32_f16 v17, v1, v5, v17
	;;#ASMEND
	;;#ASMSTART
	v_dot2_f32_f16 v17, v2, v6, v17
	;;#ASMEND
	;;#ASMSTART
	v_dot2_f32_f16 v17, v3, v7, v17
	;;#ASMEND
	s_wait_dscnt 0x0
	;;#ASMSTART
	v_dot2_f32_f16 v18, v20, v4, v18
	;;#ASMEND
	;;#ASMSTART
	v_dot2_f32_f16 v18, v21, v5, v18
	;;#ASMEND
	;;#ASMSTART
	v_dot2_f32_f16 v18, v22, v6, v18
	;;#ASMEND
	;;#ASMSTART
	v_dot2_f32_f16 v18, v23, v7, v18
	;;#ASMEND
	ds_load_b128 v[0:3], v96 offset:80
	ds_load_b128 v[4:7], v87 offset:1104
	ds_load_b128 v[20:23], v96 offset:4688
	s_wait_dscnt 0x1
	;;#ASMSTART
	v_dot2_f32_f16 v17, v0, v4, v17
	;;#ASMEND
	;;#ASMSTART
	v_dot2_f32_f16 v17, v1, v5, v17
	;;#ASMEND
	;;#ASMSTART
	v_dot2_f32_f16 v17, v2, v6, v17
	;;#ASMEND
	;;#ASMSTART
	v_dot2_f32_f16 v17, v3, v7, v17
	;;#ASMEND
	s_wait_dscnt 0x0
	;;#ASMSTART
	v_dot2_f32_f16 v18, v20, v4, v18
	;;#ASMEND
	;;#ASMSTART
	v_dot2_f32_f16 v18, v21, v5, v18
	;;#ASMEND
	;;#ASMSTART
	v_dot2_f32_f16 v18, v22, v6, v18
	;;#ASMEND
	;;#ASMSTART
	v_dot2_f32_f16 v18, v23, v7, v18
	;;#ASMEND
	ds_load_b128 v[0:3], v96 offset:96
	ds_load_b128 v[4:7], v87 offset:1120
	ds_load_b128 v[20:23], v96 offset:4704
	s_wait_dscnt 0x1
	;;#ASMSTART
	v_dot2_f32_f16 v17, v0, v4, v17
	;;#ASMEND
	;;#ASMSTART
	v_dot2_f32_f16 v17, v1, v5, v17
	;;#ASMEND
	;;#ASMSTART
	v_dot2_f32_f16 v17, v2, v6, v17
	;;#ASMEND
	;;#ASMSTART
	v_dot2_f32_f16 v17, v3, v7, v17
	;;#ASMEND
	s_wait_dscnt 0x0
	;;#ASMSTART
	v_dot2_f32_f16 v18, v20, v4, v18
	;;#ASMEND
	;;#ASMSTART
	v_dot2_f32_f16 v18, v21, v5, v18
	;;#ASMEND
	;;#ASMSTART
	v_dot2_f32_f16 v18, v22, v6, v18
	;;#ASMEND
	;;#ASMSTART
	v_dot2_f32_f16 v18, v23, v7, v18
	;;#ASMEND
	ds_load_b128 v[0:3], v96 offset:112
	ds_load_b128 v[4:7], v87 offset:1136
	ds_load_b128 v[20:23], v96 offset:4720
	s_wait_dscnt 0x1
	;;#ASMSTART
	v_dot2_f32_f16 v17, v0, v4, v17
	;;#ASMEND
	;;#ASMSTART
	v_dot2_f32_f16 v17, v1, v5, v17
	;;#ASMEND
	;; [unrolled: 3-line block ×4, first 2 shown]
	v_cmp_ngt_f32_e64 s24, 0x3f200000, |v17|
	s_wait_dscnt 0x0
	;;#ASMSTART
	v_dot2_f32_f16 v18, v20, v4, v18
	;;#ASMEND
	;;#ASMSTART
	v_dot2_f32_f16 v18, v21, v5, v18
	;;#ASMEND
	;; [unrolled: 3-line block ×4, first 2 shown]
                                        ; implicit-def: $vgpr2
	s_and_saveexec_b32 s25, s24
	s_delay_alu instid0(SALU_CYCLE_1)
	s_xor_b32 s24, exec_lo, s25
	s_cbranch_execz .LBB28_13
; %bb.12:                               ;   in Loop: Header=BB28_11 Depth=1
	v_add_f32_e64 v0, |v17|, |v17|
	s_delay_alu instid0(VALU_DEP_1) | instskip(SKIP_1) | instid1(VALU_DEP_2)
	v_mul_f32_e32 v1, 0x3fb8aa3b, v0
	v_cmp_ngt_f32_e32 vcc_lo, 0xc2ce8ed0, v0
	v_rndne_f32_e32 v2, v1
	v_fma_f32 v3, 0x3fb8aa3b, v0, -v1
	s_delay_alu instid0(VALU_DEP_2) | instskip(NEXT) | instid1(VALU_DEP_2)
	v_sub_f32_e32 v1, v1, v2
	v_fmac_f32_e32 v3, 0x32a5705f, v0
	v_cvt_i32_f32_e32 v2, v2
	s_delay_alu instid0(VALU_DEP_2) | instskip(NEXT) | instid1(VALU_DEP_1)
	v_add_f32_e32 v1, v1, v3
	v_exp_f32_e32 v1, v1
	v_nop
	s_delay_alu instid0(TRANS32_DEP_1) | instskip(NEXT) | instid1(VALU_DEP_1)
	v_ldexp_f32 v1, v1, v2
	v_cndmask_b32_e32 v1, 0, v1, vcc_lo
	v_cmp_nlt_f32_e32 vcc_lo, 0x42b17218, v0
	s_delay_alu instid0(VALU_DEP_2) | instskip(NEXT) | instid1(VALU_DEP_1)
	v_cndmask_b32_e32 v0, 0x7f800000, v1, vcc_lo
	v_add_f32_e32 v0, 1.0, v0
	s_delay_alu instid0(VALU_DEP_1) | instskip(SKIP_1) | instid1(TRANS32_DEP_1)
	v_rcp_f32_e32 v0, v0
	v_nop
	v_fma_f32 v2, v0, -2.0, 1.0
.LBB28_13:                              ;   in Loop: Header=BB28_11 Depth=1
	s_and_not1_saveexec_b32 s24, s24
	s_cbranch_execz .LBB28_15
; %bb.14:                               ;   in Loop: Header=BB28_11 Depth=1
	v_mul_f32_e32 v0, v17, v17
	s_delay_alu instid0(VALU_DEP_1) | instskip(NEXT) | instid1(VALU_DEP_1)
	v_fmaak_f32 v1, s3, v0, 0x3ca908c9
	v_fmaak_f32 v1, v0, v1, 0xbd5c1c4e
	s_delay_alu instid0(VALU_DEP_1) | instskip(NEXT) | instid1(VALU_DEP_1)
	v_fmaak_f32 v1, v0, v1, 0x3e088382
	v_fmaak_f32 v1, v0, v1, 0xbeaaaa99
	s_delay_alu instid0(VALU_DEP_1) | instskip(NEXT) | instid1(VALU_DEP_1)
	v_mul_f32_e64 v1, |v17|, v1
	v_fma_f32 v2, v0, v1, |v17|
.LBB28_15:                              ;   in Loop: Header=BB28_11 Depth=1
	s_or_b32 exec_lo, exec_lo, s24
	v_add_nc_u32_e32 v0, s4, v99
	v_cmp_ngt_f32_e64 s24, 0x3f200000, |v18|
                                        ; implicit-def: $vgpr4
	global_load_u16 v3, v0, s[30:31] scale_offset
	s_wait_xcnt 0x0
	s_and_saveexec_b32 s25, s24
	s_delay_alu instid0(SALU_CYCLE_1)
	s_xor_b32 s24, exec_lo, s25
	s_cbranch_execz .LBB28_17
; %bb.16:                               ;   in Loop: Header=BB28_11 Depth=1
	v_add_f32_e64 v1, |v18|, |v18|
	s_delay_alu instid0(VALU_DEP_1) | instskip(SKIP_1) | instid1(VALU_DEP_2)
	v_mul_f32_e32 v4, 0x3fb8aa3b, v1
	v_cmp_ngt_f32_e32 vcc_lo, 0xc2ce8ed0, v1
	v_rndne_f32_e32 v5, v4
	v_fma_f32 v6, 0x3fb8aa3b, v1, -v4
	s_delay_alu instid0(VALU_DEP_2) | instskip(NEXT) | instid1(VALU_DEP_2)
	v_sub_f32_e32 v4, v4, v5
	v_fmac_f32_e32 v6, 0x32a5705f, v1
	v_cvt_i32_f32_e32 v5, v5
	s_delay_alu instid0(VALU_DEP_2) | instskip(NEXT) | instid1(VALU_DEP_1)
	v_add_f32_e32 v4, v4, v6
	v_exp_f32_e32 v4, v4
	v_nop
	s_delay_alu instid0(TRANS32_DEP_1) | instskip(NEXT) | instid1(VALU_DEP_1)
	v_ldexp_f32 v4, v4, v5
	v_cndmask_b32_e32 v4, 0, v4, vcc_lo
	v_cmp_nlt_f32_e32 vcc_lo, 0x42b17218, v1
	s_delay_alu instid0(VALU_DEP_2) | instskip(NEXT) | instid1(VALU_DEP_1)
	v_cndmask_b32_e32 v1, 0x7f800000, v4, vcc_lo
	v_add_f32_e32 v1, 1.0, v1
	s_delay_alu instid0(VALU_DEP_1) | instskip(SKIP_1) | instid1(TRANS32_DEP_1)
	v_rcp_f32_e32 v1, v1
	v_nop
	v_fma_f32 v4, v1, -2.0, 1.0
.LBB28_17:                              ;   in Loop: Header=BB28_11 Depth=1
	s_and_not1_saveexec_b32 s24, s24
	s_cbranch_execz .LBB28_19
; %bb.18:                               ;   in Loop: Header=BB28_11 Depth=1
	v_mul_f32_e32 v1, v18, v18
	s_delay_alu instid0(VALU_DEP_1) | instskip(NEXT) | instid1(VALU_DEP_1)
	v_fmaak_f32 v4, s3, v1, 0x3ca908c9
	v_fmaak_f32 v4, v1, v4, 0xbd5c1c4e
	s_delay_alu instid0(VALU_DEP_1) | instskip(NEXT) | instid1(VALU_DEP_1)
	v_fmaak_f32 v4, v1, v4, 0x3e088382
	v_fmaak_f32 v4, v1, v4, 0xbeaaaa99
	s_delay_alu instid0(VALU_DEP_1) | instskip(NEXT) | instid1(VALU_DEP_1)
	v_mul_f32_e64 v4, |v18|, v4
	v_fma_f32 v4, v1, v4, |v18|
.LBB28_19:                              ;   in Loop: Header=BB28_11 Depth=1
	s_or_b32 exec_lo, exec_lo, s24
	v_dual_ashrrev_i32 v1, 31, v0 :: v_dual_bitop2_b32 v106, 16, v91 bitop3:0x14
	s_mul_u64 s[24:25], s[4:5], s[10:11]
	v_xor_b32_e32 v107, 4, v91
	s_lshl_b64 s[24:25], s[24:25], 2
	s_delay_alu instid0(VALU_DEP_2)
	v_lshl_add_u64 v[0:1], v[0:1], 1, s[30:31]
	s_add_nc_u64 s[24:25], s[8:9], s[24:25]
	v_cmp_gt_i32_e32 vcc_lo, 32, v106
	v_add_nc_u64_e32 v[6:7], s[24:25], v[84:85]
	v_xor_b32_e32 v108, 2, v91
	global_load_u16 v5, v[0:1], off offset:64
	s_wait_xcnt 0x0
	v_add_nc_u64_e32 v[0:1], s[24:25], v[82:83]
	s_wait_loadcnt 0x0
	s_barrier_signal -1
	s_barrier_wait -1
	v_add_nc_u64_e32 v[6:7], v[6:7], v[76:77]
	s_or_b32 s24, s4, 8
	s_delay_alu instid0(VALU_DEP_2)
	v_add_nc_u64_e32 v[0:1], v[0:1], v[76:77]
	s_ashr_i32 s25, s24, 31
	v_add_nc_u32_e32 v112, 0x800, v90
	s_mul_u64 s[24:25], s[24:25], s[10:11]
	v_add_nc_u32_e32 v110, 0x1800, v90
	s_lshl_b64 s[24:25], s[24:25], 2
	s_clause 0x3
	global_load_b128 v[20:23], v[0:1], off
	global_load_b128 v[24:27], v[0:1], off offset:512
	global_load_b128 v[28:31], v[6:7], off
	global_load_b128 v[32:35], v[6:7], off offset:512
	s_wait_xcnt 0x2
	v_bfi_b32 v0, 0x7fffffff, v2, v17
	v_bfi_b32 v1, 0x7fffffff, v4, v18
	s_add_nc_u64 s[24:25], s[8:9], s[24:25]
	v_xor_b32_e32 v105, 8, v91
	s_wait_kmcnt 0x0
	v_fma_mix_f32 v0, s34, v0, v3 op_sel_hi:[0,0,1]
	v_cndmask_b32_e32 v2, v91, v106, vcc_lo
	s_delay_alu instid0(VALU_DEP_3) | instskip(NEXT) | instid1(VALU_DEP_2)
	v_cmp_gt_i32_e32 vcc_lo, 32, v105
	v_dual_add_f32 v3, 0x40051340, v0 :: v_dual_lshlrev_b32 v2, 2, v2
	v_fma_mix_f32 v1, s34, v1, v5 op_sel_hi:[0,0,1]
	v_xor_b32_e32 v109, 1, v91
	s_delay_alu instid0(VALU_DEP_2) | instskip(NEXT) | instid1(VALU_DEP_1)
	v_add_f32_e32 v4, 0x40051340, v1
	v_max3_num_f32 v3, v16, v3, v4
	ds_bpermute_b32 v2, v2, v3
	v_cndmask_b32_e32 v4, v91, v105, vcc_lo
	v_cmp_gt_i32_e32 vcc_lo, 32, v107
	s_wait_dscnt 0x0
	s_delay_alu instid0(VALU_DEP_2) | instskip(NEXT) | instid1(VALU_DEP_1)
	v_dual_max_num_f32 v2, v2, v2 :: v_dual_lshlrev_b32 v4, 2, v4
	v_max_num_f32_e32 v2, v3, v2
	ds_bpermute_b32 v3, v4, v2
	v_cndmask_b32_e32 v4, v91, v107, vcc_lo
	v_cmp_gt_i32_e32 vcc_lo, 32, v108
	s_wait_dscnt 0x0
	s_delay_alu instid0(VALU_DEP_2) | instskip(NEXT) | instid1(VALU_DEP_1)
	v_dual_max_num_f32 v3, v3, v3 :: v_dual_lshlrev_b32 v4, 2, v4
	v_max_num_f32_e32 v2, v2, v3
	;; [unrolled: 7-line block ×3, first 2 shown]
	ds_bpermute_b32 v3, v4, v2
	v_cndmask_b32_e32 v4, v91, v109, vcc_lo
	s_wait_dscnt 0x0
	s_delay_alu instid0(VALU_DEP_1) | instskip(NEXT) | instid1(VALU_DEP_1)
	v_dual_max_num_f32 v3, v3, v3 :: v_dual_lshlrev_b32 v4, 2, v4
	v_max_num_f32_e32 v2, v2, v3
	ds_bpermute_b32 v3, v4, v2
	s_wait_dscnt 0x0
	v_max_num_f32_e32 v3, v3, v3
	s_delay_alu instid0(VALU_DEP_1) | instskip(NEXT) | instid1(VALU_DEP_1)
	v_max_num_f32_e32 v86, v2, v3
	v_sub_f32_e32 v0, v0, v86
	s_delay_alu instid0(VALU_DEP_1) | instskip(SKIP_3) | instid1(VALU_DEP_3)
	v_mul_f32_e32 v3, 0x3fb8aa3b, v0
	v_dual_sub_f32 v1, v1, v86 :: v_dual_sub_f32 v2, v16, v86
	v_cmp_ngt_f32_e32 vcc_lo, 0xc2ce8ed0, v0
	s_wait_xcnt 0x0
	v_fma_f32 v6, 0x3fb8aa3b, v0, -v3
	s_delay_alu instid0(VALU_DEP_3) | instskip(SKIP_1) | instid1(VALU_DEP_3)
	v_dual_mul_f32 v4, 0x3fb8aa3b, v1 :: v_dual_mul_f32 v5, 0x3fb8aa3b, v2
	v_rndne_f32_e32 v7, v3
	v_fmac_f32_e32 v6, 0x32a5705f, v0
	s_delay_alu instid0(VALU_DEP_3) | instskip(SKIP_1) | instid1(VALU_DEP_4)
	v_fma_f32 v16, 0x3fb8aa3b, v1, -v4
	v_rndne_f32_e32 v17, v4
	v_sub_f32_e32 v3, v3, v7
	v_fma_f32 v18, 0x3fb8aa3b, v2, -v5
	v_rndne_f32_e32 v19, v5
	v_fmac_f32_e32 v16, 0x32a5705f, v1
	s_delay_alu instid0(VALU_DEP_4) | instskip(SKIP_1) | instid1(VALU_DEP_4)
	v_dual_sub_f32 v4, v4, v17 :: v_dual_add_f32 v3, v3, v6
	v_cvt_i32_f32_e32 v6, v7
	v_sub_f32_e32 v5, v5, v19
	v_cvt_i32_f32_e32 v7, v17
	s_delay_alu instid0(VALU_DEP_4) | instskip(SKIP_1) | instid1(TRANS32_DEP_1)
	v_exp_f32_e32 v3, v3
	v_nop
	v_ldexp_f32 v3, v3, v6
	v_fmac_f32_e32 v18, 0x32a5705f, v2
	v_cvt_i32_f32_e32 v6, v19
	s_delay_alu instid0(VALU_DEP_3) | instskip(NEXT) | instid1(VALU_DEP_3)
	v_dual_cndmask_b32 v3, 0, v3 :: v_dual_add_f32 v4, v4, v16
	v_add_f32_e32 v5, v5, v18
	v_cmp_ngt_f32_e32 vcc_lo, 0xc2ce8ed0, v1
	s_delay_alu instid0(VALU_DEP_3) | instskip(NEXT) | instid1(VALU_DEP_2)
	v_exp_f32_e32 v4, v4
	v_exp_f32_e32 v5, v5
	s_delay_alu instid0(TRANS32_DEP_2) | instskip(NEXT) | instid1(TRANS32_DEP_1)
	v_ldexp_f32 v4, v4, v7
	v_ldexp_f32 v6, v5, v6
	s_delay_alu instid0(VALU_DEP_2) | instskip(SKIP_3) | instid1(VALU_DEP_2)
	v_cndmask_b32_e32 v4, 0, v4, vcc_lo
	v_cmp_nlt_f32_e32 vcc_lo, 0x42b17218, v0
	v_cndmask_b32_e32 v114, 0x7f800000, v3, vcc_lo
	v_cmp_nlt_f32_e32 vcc_lo, 0x42b17218, v1
	v_cvt_f16_f32_e32 v1, v114
	v_cndmask_b32_e32 v115, 0x7f800000, v4, vcc_lo
	v_cmp_ngt_f32_e32 vcc_lo, 0xc2ce8ed0, v2
	v_add_nc_u64_e32 v[4:5], s[24:25], v[82:83]
	s_delay_alu instid0(VALU_DEP_3)
	v_cvt_f16_f32_e32 v3, v115
	v_cndmask_b32_e32 v0, 0, v6, vcc_lo
	v_cmp_nlt_f32_e32 vcc_lo, 0x42b17218, v2
	ds_store_b16 v100, v1
	ds_store_b16 v100, v3 offset:64
	s_wait_loadcnt 0x3
	ds_store_b128 v98, v[20:23]
	s_wait_loadcnt 0x2
	ds_store_b128 v101, v[24:27]
	;; [unrolled: 2-line block ×4, first 2 shown]
	s_wait_dscnt 0x0
	s_barrier_signal -1
	v_cndmask_b32_e32 v113, 0x7f800000, v0, vcc_lo
	s_barrier_wait -1
	ds_load_b128 v[0:3], v97
	v_add_nc_u64_e32 v[6:7], s[24:25], v[84:85]
	v_add_nc_u64_e32 v[120:121], v[4:5], v[76:77]
	s_or_b32 s24, s4, 16
	s_delay_alu instid0(SALU_CYCLE_1) | instskip(NEXT) | instid1(SALU_CYCLE_1)
	s_ashr_i32 s25, s24, 31
	s_mul_u64 s[24:25], s[24:25], s[10:11]
	s_delay_alu instid0(VALU_DEP_2) | instskip(SKIP_2) | instid1(SALU_CYCLE_1)
	v_add_nc_u64_e32 v[122:123], v[6:7], v[76:77]
	ds_load_2addr_b64 v[4:7], v90 offset1:32
	s_lshl_b64 s[24:25], s[24:25], 2
	s_add_nc_u64 s[24:25], s[8:9], s[24:25]
	s_wait_dscnt 0x1
	v_and_b32_e32 v116, 0xffff, v0
	v_lshrrev_b32_e32 v0, 16, v0
	v_cvt_f16_f32_e32 v16, v113
	v_lshrrev_b32_e32 v129, 16, v1
	v_add_nc_u32_e32 v111, 0x1000, v90
	v_mul_u32_u24_e32 v125, 0x10001, v116
	v_mul_u32_u24_e32 v0, 0x10001, v0
	v_and_b32_e32 v56, 0xffff, v16
	ds_load_2addr_b64 v[16:19], v90 offset0:64 offset1:96
	ds_load_2addr_b64 v[20:23], v90 offset0:128 offset1:160
	;; [unrolled: 1-line block ×3, first 2 shown]
	ds_load_2addr_b64 v[28:31], v112 offset1:32
	ds_load_2addr_b64 v[32:35], v112 offset0:64 offset1:96
	ds_load_2addr_b64 v[36:39], v112 offset0:128 offset1:160
	;; [unrolled: 1-line block ×3, first 2 shown]
	ds_load_2addr_b64 v[44:47], v111 offset1:32
	ds_load_2addr_b64 v[48:51], v111 offset0:64 offset1:96
	ds_load_2addr_b64 v[52:55], v111 offset0:128 offset1:160
	v_lshrrev_b32_e32 v130, 16, v3
	s_wait_dscnt 0xa
	v_pk_mul_f16 v126, v4, v125
	v_mul_u32_u24_e32 v124, 0x10001, v56
	ds_load_2addr_b64 v[56:59], v111 offset0:192 offset1:224
	ds_load_2addr_b64 v[60:63], v110 offset1:32
	ds_load_2addr_b64 v[64:67], v110 offset0:64 offset1:96
	ds_load_2addr_b64 v[116:119], v110 offset0:128 offset1:160
	v_pk_mul_f16 v15, v15, v124
	v_pk_mul_f16 v13, v13, v124
	v_pk_mul_f16 v9, v9, v124
	v_pk_mul_f16 v8, v8, v124
	v_pk_mul_f16 v14, v14, v124
	v_pk_mul_f16 v12, v12, v124
	s_wait_dscnt 0xd
	v_pk_fma_f16 v15, v16, v125, v15
	v_pk_fma_f16 v13, v17, v125, v13
	;; [unrolled: 1-line block ×6, first 2 shown]
	v_pk_mul_f16 v125, v5, v125
	ds_load_2addr_b64 v[16:19], v110 offset0:192 offset1:224
	s_wait_dscnt 0x0
	s_barrier_signal -1
	s_barrier_wait -1
	v_pk_fma_f16 v24, v24, v0, v15
	v_pk_fma_f16 v25, v25, v0, v13
	;; [unrolled: 1-line block ×3, first 2 shown]
	s_clause 0x1
	global_load_b128 v[4:7], v[120:121], off
	global_load_b128 v[12:15], v[120:121], off offset:512
	s_wait_xcnt 0x0
	v_and_b32_e32 v120, 0xffff, v1
	v_pk_fma_f16 v1, v11, v124, v126
	v_pk_fma_f16 v8, v10, v124, v125
	;; [unrolled: 1-line block ×3, first 2 shown]
	v_and_b32_e32 v126, 0xffff, v2
	v_lshrrev_b32_e32 v124, 16, v2
	v_and_b32_e32 v125, 0xffff, v3
	v_pk_fma_f16 v127, v22, v0, v127
	v_pk_fma_f16 v128, v23, v0, v128
	;; [unrolled: 1-line block ×4, first 2 shown]
	s_clause 0x1
	global_load_b128 v[0:3], v[122:123], off
	global_load_b128 v[8:11], v[122:123], off offset:512
	v_add_nc_u64_e32 v[20:21], s[24:25], v[82:83]
	v_mul_u32_u24_e32 v133, 0x10001, v120
	v_add_nc_u64_e32 v[22:23], s[24:25], v[84:85]
	s_or_b32 s24, s4, 24
	s_wait_loadcnt 0x3
	ds_store_b128 v98, v[4:7]
	s_wait_loadcnt 0x2
	ds_store_b128 v101, v[12:15]
	s_wait_loadcnt 0x1
	ds_store_b128 v102, v[0:3]
	s_wait_loadcnt 0x0
	ds_store_b128 v103, v[8:11]
	v_pk_fma_f16 v24, v32, v133, v24
	v_pk_fma_f16 v25, v33, v133, v25
	;; [unrolled: 1-line block ×3, first 2 shown]
	v_add_nc_u64_e32 v[120:121], v[20:21], v[76:77]
	v_mul_u32_u24_e32 v20, 0x10001, v129
	v_pk_fma_f16 v30, v30, v133, v127
	s_wait_dscnt 0x0
	s_barrier_signal -1
	s_barrier_wait -1
	ds_load_b128 v[0:3], v97 offset:16
	v_pk_fma_f16 v27, v35, v133, v27
	v_mul_u32_u24_e32 v21, 0x10001, v126
	v_pk_fma_f16 v31, v31, v133, v128
	v_pk_fma_f16 v28, v28, v133, v131
	;; [unrolled: 1-line block ×7, first 2 shown]
	v_add_nc_u64_e32 v[122:123], v[22:23], v[76:77]
	v_mul_u32_u24_e32 v22, 0x10001, v124
	v_pk_fma_f16 v27, v43, v20, v27
	v_pk_fma_f16 v31, v39, v20, v31
	;; [unrolled: 1-line block ×8, first 2 shown]
	v_mul_u32_u24_e32 v23, 0x10001, v125
	v_pk_fma_f16 v27, v51, v21, v27
	v_pk_fma_f16 v30, v47, v21, v31
	;; [unrolled: 1-line block ×14, first 2 shown]
	s_wait_dscnt 0x0
	v_and_b32_e32 v48, 0xffff, v0
	v_lshrrev_b32_e32 v0, 16, v0
	v_mul_u32_u24_e32 v32, 0x10001, v130
	v_pk_fma_f16 v26, v63, v23, v29
	v_pk_fma_f16 v21, v64, v23, v21
	;; [unrolled: 1-line block ×8, first 2 shown]
	ds_load_2addr_b64 v[4:7], v90 offset1:32
	v_pk_fma_f16 v65, v119, v32, v26
	v_pk_fma_f16 v66, v16, v32, v21
	;; [unrolled: 1-line block ×6, first 2 shown]
	ds_load_2addr_b64 v[8:11], v90 offset0:64 offset1:96
	ds_load_2addr_b64 v[12:15], v90 offset0:128 offset1:160
	;; [unrolled: 1-line block ×3, first 2 shown]
	ds_load_2addr_b64 v[20:23], v112 offset1:32
	ds_load_2addr_b64 v[24:27], v112 offset0:64 offset1:96
	ds_load_2addr_b64 v[28:31], v112 offset0:128 offset1:160
	v_mul_u32_u24_e32 v124, 0x10001, v48
	v_mul_u32_u24_e32 v0, 0x10001, v0
	ds_load_2addr_b64 v[32:35], v112 offset0:192 offset1:224
	ds_load_2addr_b64 v[36:39], v111 offset1:32
	ds_load_2addr_b64 v[40:43], v111 offset0:64 offset1:96
	ds_load_2addr_b64 v[44:47], v111 offset0:128 offset1:160
	;; [unrolled: 1-line block ×3, first 2 shown]
	ds_load_2addr_b64 v[52:55], v110 offset1:32
	ds_load_2addr_b64 v[56:59], v110 offset0:64 offset1:96
	ds_load_2addr_b64 v[60:63], v110 offset0:128 offset1:160
	v_lshrrev_b32_e32 v129, 16, v2
	v_and_b32_e32 v130, 0xffff, v3
	v_lshrrev_b32_e32 v131, 16, v3
	s_ashr_i32 s25, s24, 31
	s_delay_alu instid0(SALU_CYCLE_1) | instskip(NEXT) | instid1(SALU_CYCLE_1)
	s_mul_u64 s[24:25], s[24:25], s[10:11]
	s_lshl_b64 s[24:25], s[24:25], 2
	s_wait_dscnt 0xe
	v_pk_fma_f16 v116, v4, v124, v116
	v_pk_fma_f16 v117, v5, v124, v117
	;; [unrolled: 1-line block ×4, first 2 shown]
	s_wait_dscnt 0xd
	v_pk_fma_f16 v127, v8, v124, v66
	v_pk_fma_f16 v128, v9, v124, v67
	;; [unrolled: 1-line block ×4, first 2 shown]
	ds_load_2addr_b64 v[4:7], v110 offset0:192 offset1:224
	s_wait_dscnt 0x0
	s_barrier_signal -1
	s_barrier_wait -1
	s_clause 0x1
	global_load_b128 v[8:11], v[120:121], off
	global_load_b128 v[64:67], v[120:121], off offset:512
	s_wait_xcnt 0x0
	v_and_b32_e32 v120, 0xffff, v1
	v_pk_fma_f16 v116, v12, v0, v116
	v_pk_fma_f16 v117, v13, v0, v117
	;; [unrolled: 1-line block ×4, first 2 shown]
	v_lshrrev_b32_e32 v125, 16, v1
	v_and_b32_e32 v126, 0xffff, v2
	v_pk_fma_f16 v127, v16, v0, v127
	v_pk_fma_f16 v128, v17, v0, v128
	;; [unrolled: 1-line block ×4, first 2 shown]
	s_clause 0x1
	global_load_b128 v[0:3], v[122:123], off
	global_load_b128 v[12:15], v[122:123], off offset:512
	s_add_nc_u64 s[24:25], s[8:9], s[24:25]
	v_mul_u32_u24_e32 v120, 0x10001, v120
	v_add_nc_u64_e32 v[16:17], s[24:25], v[82:83]
	v_add_nc_u64_e32 v[18:19], s[24:25], v[84:85]
	s_or_b32 s24, s4, 32
	s_wait_loadcnt 0x3
	ds_store_b128 v98, v[8:11]
	s_wait_loadcnt 0x2
	ds_store_b128 v101, v[64:67]
	;; [unrolled: 2-line block ×4, first 2 shown]
	v_pk_fma_f16 v20, v20, v120, v116
	v_pk_fma_f16 v21, v21, v120, v117
	;; [unrolled: 1-line block ×4, first 2 shown]
	v_add_nc_u64_e32 v[116:117], v[16:17], v[76:77]
	v_mul_u32_u24_e32 v16, 0x10001, v125
	v_pk_fma_f16 v24, v24, v120, v127
	s_wait_dscnt 0x0
	s_barrier_signal -1
	s_barrier_wait -1
	ds_load_b128 v[0:3], v97 offset:32
	v_mul_u32_u24_e32 v17, 0x10001, v126
	v_pk_fma_f16 v25, v25, v120, v128
	v_pk_fma_f16 v26, v26, v120, v132
	;; [unrolled: 1-line block ×8, first 2 shown]
	v_add_nc_u64_e32 v[118:119], v[18:19], v[76:77]
	v_mul_u32_u24_e32 v18, 0x10001, v129
	v_pk_fma_f16 v25, v33, v16, v25
	v_pk_fma_f16 v26, v34, v16, v26
	;; [unrolled: 1-line block ×8, first 2 shown]
	v_mul_u32_u24_e32 v19, 0x10001, v130
	v_pk_fma_f16 v25, v41, v17, v25
	v_pk_fma_f16 v26, v42, v17, v26
	v_pk_fma_f16 v16, v43, v17, v16
	v_pk_fma_f16 v17, v44, v18, v20
	v_pk_fma_f16 v20, v45, v18, v21
	v_pk_fma_f16 v21, v46, v18, v22
	v_pk_fma_f16 v22, v47, v18, v23
	v_pk_fma_f16 v23, v48, v18, v24
	v_pk_fma_f16 v24, v49, v18, v25
	v_pk_fma_f16 v25, v50, v18, v26
	v_pk_fma_f16 v16, v51, v18, v16
	s_wait_dscnt 0x0
	v_and_b32_e32 v48, 0xffff, v0
	v_pk_fma_f16 v8, v56, v19, v23
	v_lshrrev_b32_e32 v0, 16, v0
	v_mul_u32_u24_e32 v121, 0x10001, v131
	v_pk_fma_f16 v17, v52, v19, v17
	v_pk_fma_f16 v18, v53, v19, v20
	;; [unrolled: 1-line block ×8, first 2 shown]
	ds_load_2addr_b64 v[8:11], v90 offset1:32
	v_pk_fma_f16 v64, v60, v121, v17
	v_pk_fma_f16 v65, v61, v121, v18
	;; [unrolled: 1-line block ×7, first 2 shown]
	ds_load_2addr_b64 v[4:7], v90 offset0:64 offset1:96
	ds_load_2addr_b64 v[12:15], v90 offset0:128 offset1:160
	ds_load_2addr_b64 v[16:19], v90 offset0:192 offset1:224
	ds_load_2addr_b64 v[20:23], v112 offset1:32
	ds_load_2addr_b64 v[24:27], v112 offset0:64 offset1:96
	ds_load_2addr_b64 v[28:31], v112 offset0:128 offset1:160
	v_mul_u32_u24_e32 v124, 0x10001, v48
	v_mul_u32_u24_e32 v0, 0x10001, v0
	ds_load_2addr_b64 v[32:35], v112 offset0:192 offset1:224
	ds_load_2addr_b64 v[36:39], v111 offset1:32
	ds_load_2addr_b64 v[40:43], v111 offset0:64 offset1:96
	ds_load_2addr_b64 v[44:47], v111 offset0:128 offset1:160
	;; [unrolled: 1-line block ×3, first 2 shown]
	ds_load_2addr_b64 v[52:55], v110 offset1:32
	ds_load_2addr_b64 v[56:59], v110 offset0:64 offset1:96
	ds_load_2addr_b64 v[60:63], v110 offset0:128 offset1:160
	v_lshrrev_b32_e32 v129, 16, v2
	v_and_b32_e32 v130, 0xffff, v3
	v_lshrrev_b32_e32 v131, 16, v3
	s_ashr_i32 s25, s24, 31
	s_delay_alu instid0(SALU_CYCLE_1)
	s_mul_u64 s[24:25], s[24:25], s[10:11]
	s_wait_dscnt 0xe
	v_pk_fma_f16 v125, v8, v124, v64
	v_pk_fma_f16 v126, v9, v124, v65
	;; [unrolled: 1-line block ×4, first 2 shown]
	s_wait_dscnt 0xd
	v_pk_fma_f16 v120, v4, v124, v120
	v_pk_fma_f16 v122, v5, v124, v122
	;; [unrolled: 1-line block ×4, first 2 shown]
	ds_load_2addr_b64 v[8:11], v110 offset0:192 offset1:224
	s_wait_dscnt 0x0
	s_barrier_signal -1
	s_barrier_wait -1
	s_clause 0x1
	global_load_b128 v[4:7], v[116:117], off
	global_load_b128 v[64:67], v[116:117], off offset:512
	s_wait_xcnt 0x0
	v_and_b32_e32 v116, 0xffff, v1
	v_pk_fma_f16 v117, v12, v0, v125
	v_pk_fma_f16 v124, v13, v0, v126
	;; [unrolled: 1-line block ×4, first 2 shown]
	v_lshrrev_b32_e32 v127, 16, v1
	v_and_b32_e32 v128, 0xffff, v2
	v_pk_fma_f16 v120, v16, v0, v120
	v_pk_fma_f16 v122, v17, v0, v122
	;; [unrolled: 1-line block ×4, first 2 shown]
	s_clause 0x1
	global_load_b128 v[0:3], v[118:119], off
	global_load_b128 v[12:15], v[118:119], off offset:512
	s_lshl_b64 s[24:25], s[24:25], 2
	v_mul_u32_u24_e32 v132, 0x10001, v116
	s_add_nc_u64 s[24:25], s[8:9], s[24:25]
	s_wait_loadcnt 0x3
	ds_store_b128 v98, v[4:7]
	s_wait_loadcnt 0x2
	ds_store_b128 v101, v[64:67]
	;; [unrolled: 2-line block ×4, first 2 shown]
	v_add_nc_u64_e32 v[16:17], s[24:25], v[82:83]
	v_pk_fma_f16 v20, v20, v132, v117
	v_pk_fma_f16 v21, v21, v132, v124
	;; [unrolled: 1-line block ×5, first 2 shown]
	s_wait_dscnt 0x0
	v_add_nc_u64_e32 v[116:117], v[16:17], v[76:77]
	v_mul_u32_u24_e32 v16, 0x10001, v127
	s_barrier_signal -1
	s_barrier_wait -1
	ds_load_b128 v[0:3], v97 offset:48
	v_add_nc_u64_e32 v[18:19], s[24:25], v[84:85]
	v_mul_u32_u24_e32 v17, 0x10001, v128
	v_pk_fma_f16 v25, v25, v132, v122
	v_pk_fma_f16 v26, v26, v132, v123
	;; [unrolled: 1-line block ×8, first 2 shown]
	v_add_nc_u64_e32 v[118:119], v[18:19], v[76:77]
	v_mul_u32_u24_e32 v18, 0x10001, v129
	v_pk_fma_f16 v25, v33, v16, v25
	v_pk_fma_f16 v26, v34, v16, v26
	;; [unrolled: 1-line block ×8, first 2 shown]
	v_mul_u32_u24_e32 v19, 0x10001, v130
	v_pk_fma_f16 v25, v41, v17, v25
	v_pk_fma_f16 v26, v42, v17, v26
	v_pk_fma_f16 v16, v43, v17, v16
	v_pk_fma_f16 v17, v44, v18, v20
	v_pk_fma_f16 v20, v45, v18, v21
	v_pk_fma_f16 v21, v46, v18, v22
	v_pk_fma_f16 v22, v47, v18, v23
	v_pk_fma_f16 v23, v48, v18, v24
	v_pk_fma_f16 v24, v49, v18, v25
	v_pk_fma_f16 v25, v50, v18, v26
	v_pk_fma_f16 v16, v51, v18, v16
	s_wait_dscnt 0x0
	v_and_b32_e32 v48, 0xffff, v0
	v_pk_fma_f16 v4, v56, v19, v23
	v_lshrrev_b32_e32 v0, 16, v0
	v_mul_u32_u24_e32 v124, 0x10001, v131
	v_pk_fma_f16 v17, v52, v19, v17
	v_pk_fma_f16 v18, v53, v19, v20
	v_pk_fma_f16 v20, v54, v19, v21
	v_pk_fma_f16 v21, v55, v19, v22
	v_pk_fma_f16 v12, v57, v19, v24
	v_pk_fma_f16 v13, v58, v19, v25
	v_pk_fma_f16 v14, v59, v19, v16
	v_pk_fma_f16 v120, v8, v124, v4
	ds_load_2addr_b64 v[4:7], v90 offset1:32
	v_pk_fma_f16 v64, v60, v124, v17
	v_pk_fma_f16 v65, v61, v124, v18
	v_pk_fma_f16 v66, v62, v124, v20
	v_pk_fma_f16 v67, v63, v124, v21
	v_pk_fma_f16 v121, v9, v124, v12
	v_pk_fma_f16 v122, v10, v124, v13
	v_pk_fma_f16 v123, v11, v124, v14
	ds_load_2addr_b64 v[8:11], v90 offset0:64 offset1:96
	ds_load_2addr_b64 v[12:15], v90 offset0:128 offset1:160
	;; [unrolled: 1-line block ×3, first 2 shown]
	ds_load_2addr_b64 v[20:23], v112 offset1:32
	ds_load_2addr_b64 v[24:27], v112 offset0:64 offset1:96
	ds_load_2addr_b64 v[28:31], v112 offset0:128 offset1:160
	v_mul_u32_u24_e32 v124, 0x10001, v48
	v_mul_u32_u24_e32 v0, 0x10001, v0
	ds_load_2addr_b64 v[32:35], v112 offset0:192 offset1:224
	ds_load_2addr_b64 v[36:39], v111 offset1:32
	ds_load_2addr_b64 v[40:43], v111 offset0:64 offset1:96
	ds_load_2addr_b64 v[44:47], v111 offset0:128 offset1:160
	;; [unrolled: 1-line block ×3, first 2 shown]
	ds_load_2addr_b64 v[52:55], v110 offset1:32
	ds_load_2addr_b64 v[56:59], v110 offset0:64 offset1:96
	ds_load_2addr_b64 v[60:63], v110 offset0:128 offset1:160
	v_lshrrev_b32_e32 v129, 16, v2
	v_and_b32_e32 v130, 0xffff, v3
	v_lshrrev_b32_e32 v131, 16, v3
	s_or_b32 s24, s4, 40
	s_delay_alu instid0(SALU_CYCLE_1)
	s_ashr_i32 s25, s24, 31
	s_wait_dscnt 0xe
	v_pk_fma_f16 v125, v4, v124, v64
	v_pk_fma_f16 v126, v5, v124, v65
	;; [unrolled: 1-line block ×4, first 2 shown]
	s_wait_dscnt 0xd
	v_pk_fma_f16 v120, v8, v124, v120
	v_pk_fma_f16 v121, v9, v124, v121
	;; [unrolled: 1-line block ×4, first 2 shown]
	ds_load_2addr_b64 v[4:7], v110 offset0:192 offset1:224
	s_wait_dscnt 0x0
	s_barrier_signal -1
	s_barrier_wait -1
	s_clause 0x1
	global_load_b128 v[8:11], v[116:117], off
	global_load_b128 v[64:67], v[116:117], off offset:512
	s_wait_xcnt 0x0
	v_and_b32_e32 v116, 0xffff, v1
	v_pk_fma_f16 v117, v12, v0, v125
	v_pk_fma_f16 v124, v13, v0, v126
	;; [unrolled: 1-line block ×4, first 2 shown]
	v_lshrrev_b32_e32 v127, 16, v1
	v_and_b32_e32 v128, 0xffff, v2
	v_pk_fma_f16 v120, v16, v0, v120
	v_pk_fma_f16 v121, v17, v0, v121
	;; [unrolled: 1-line block ×4, first 2 shown]
	s_clause 0x1
	global_load_b128 v[0:3], v[118:119], off
	global_load_b128 v[12:15], v[118:119], off offset:512
	s_mul_u64 s[24:25], s[24:25], s[10:11]
	v_mul_u32_u24_e32 v132, 0x10001, v116
	s_lshl_b64 s[24:25], s[24:25], 2
	s_wait_loadcnt 0x3
	ds_store_b128 v98, v[8:11]
	s_wait_loadcnt 0x2
	ds_store_b128 v101, v[64:67]
	;; [unrolled: 2-line block ×4, first 2 shown]
	s_add_nc_u64 s[24:25], s[8:9], s[24:25]
	v_pk_fma_f16 v20, v20, v132, v117
	v_add_nc_u64_e32 v[16:17], s[24:25], v[82:83]
	v_pk_fma_f16 v21, v21, v132, v124
	v_pk_fma_f16 v22, v22, v132, v125
	;; [unrolled: 1-line block ×3, first 2 shown]
	s_wait_dscnt 0x0
	s_barrier_signal -1
	s_barrier_wait -1
	v_add_nc_u64_e32 v[116:117], v[16:17], v[76:77]
	v_mul_u32_u24_e32 v16, 0x10001, v127
	ds_load_b128 v[0:3], v97 offset:64
	v_add_nc_u64_e32 v[18:19], s[24:25], v[84:85]
	v_mul_u32_u24_e32 v17, 0x10001, v128
	v_pk_fma_f16 v24, v24, v132, v120
	v_pk_fma_f16 v25, v25, v132, v121
	;; [unrolled: 1-line block ×8, first 2 shown]
	v_add_nc_u64_e32 v[118:119], v[18:19], v[76:77]
	v_mul_u32_u24_e32 v18, 0x10001, v129
	v_pk_fma_f16 v24, v32, v16, v24
	v_pk_fma_f16 v25, v33, v16, v25
	;; [unrolled: 1-line block ×8, first 2 shown]
	v_mul_u32_u24_e32 v19, 0x10001, v130
	v_pk_fma_f16 v24, v40, v17, v24
	v_pk_fma_f16 v25, v41, v17, v25
	;; [unrolled: 1-line block ×16, first 2 shown]
	ds_load_2addr_b64 v[28:31], v90 offset1:32
	s_wait_dscnt 0x1
	v_and_b32_e32 v12, 0xffff, v0
	v_lshrrev_b32_e32 v0, 16, v0
	v_mul_u32_u24_e32 v124, 0x10001, v131
	v_pk_fma_f16 v8, v56, v19, v23
	v_pk_fma_f16 v9, v57, v19, v24
	;; [unrolled: 1-line block ×8, first 2 shown]
	ds_load_2addr_b64 v[52:55], v90 offset0:64 offset1:96
	ds_load_2addr_b64 v[60:63], v90 offset0:128 offset1:160
	;; [unrolled: 1-line block ×3, first 2 shown]
	ds_load_2addr_b64 v[48:51], v112 offset1:32
	ds_load_2addr_b64 v[36:39], v112 offset0:64 offset1:96
	ds_load_2addr_b64 v[32:35], v112 offset0:128 offset1:160
	v_pk_fma_f16 v120, v4, v124, v8
	v_pk_fma_f16 v121, v5, v124, v9
	;; [unrolled: 1-line block ×4, first 2 shown]
	v_mul_u32_u24_e32 v124, 0x10001, v12
	v_mul_u32_u24_e32 v0, 0x10001, v0
	s_or_b32 s24, s4, 48
	s_delay_alu instid0(SALU_CYCLE_1)
	s_ashr_i32 s25, s24, 31
	s_wait_dscnt 0x6
	v_pk_fma_f16 v125, v28, v124, v56
	v_pk_fma_f16 v126, v29, v124, v57
	;; [unrolled: 1-line block ×4, first 2 shown]
	s_mul_u64 s[24:25], s[24:25], s[10:11]
	s_wait_dscnt 0x5
	v_pk_fma_f16 v120, v52, v124, v120
	v_pk_fma_f16 v121, v53, v124, v121
	v_pk_fma_f16 v122, v54, v124, v122
	v_pk_fma_f16 v123, v55, v124, v123
	s_wait_dscnt 0x4
	v_pk_fma_f16 v124, v60, v0, v125
	v_pk_fma_f16 v125, v61, v0, v126
	v_pk_fma_f16 v126, v62, v0, v127
	v_pk_fma_f16 v127, v63, v0, v128
	;; [unrolled: 5-line block ×3, first 2 shown]
	v_add_f32_e32 v0, v114, v115
	ds_load_2addr_b64 v[16:19], v112 offset0:192 offset1:224
	ds_load_2addr_b64 v[4:7], v111 offset1:32
	ds_load_2addr_b64 v[8:11], v111 offset0:64 offset1:96
	ds_load_2addr_b64 v[20:23], v111 offset0:128 offset1:160
	;; [unrolled: 1-line block ×3, first 2 shown]
	ds_load_2addr_b64 v[44:47], v110 offset1:32
	ds_load_2addr_b64 v[12:15], v110 offset0:64 offset1:96
	ds_load_2addr_b64 v[24:27], v110 offset0:128 offset1:160
	;; [unrolled: 1-line block ×3, first 2 shown]
	s_wait_dscnt 0x0
	s_barrier_signal -1
	s_barrier_wait -1
	s_clause 0x3
	global_load_b128 v[52:55], v[116:117], off
	global_load_b128 v[56:59], v[116:117], off offset:512
	global_load_b128 v[60:63], v[118:119], off
	global_load_b128 v[64:67], v[118:119], off offset:512
	s_lshl_b64 s[24:25], s[24:25], 2
	s_wait_xcnt 0x0
	v_and_b32_e32 v118, 0xffff, v1
	s_add_nc_u64 s[24:25], s[8:9], s[24:25]
	v_lshrrev_b32_e32 v1, 16, v1
	v_add_nc_u64_e32 v[114:115], s[24:25], v[84:85]
	v_add_nc_u64_e32 v[116:117], s[24:25], v[82:83]
	v_mul_u32_u24_e32 v130, 0x10001, v118
	s_or_b32 s24, s4, 56
	s_wait_loadcnt 0x3
	ds_store_b128 v98, v[52:55]
	s_wait_loadcnt 0x2
	ds_store_b128 v101, v[56:59]
	;; [unrolled: 2-line block ×4, first 2 shown]
	v_add_nc_u64_e32 v[122:123], v[114:115], v[76:77]
	v_and_b32_e32 v115, 0xffff, v3
	v_lshrrev_b32_e32 v3, 16, v3
	v_add_nc_u64_e32 v[118:119], v[116:117], v[76:77]
	v_pk_fma_f16 v48, v48, v130, v124
	v_pk_fma_f16 v49, v49, v130, v125
	v_and_b32_e32 v114, 0xffff, v2
	v_lshrrev_b32_e32 v2, 16, v2
	v_mul_u32_u24_e32 v1, 0x10001, v1
	v_mul_u32_u24_e32 v116, 0x10001, v3
	v_pk_fma_f16 v3, v36, v130, v120
	v_pk_fma_f16 v50, v50, v130, v126
	;; [unrolled: 1-line block ×3, first 2 shown]
	v_mul_u32_u24_e32 v114, 0x10001, v114
	v_pk_fma_f16 v36, v37, v130, v121
	v_pk_fma_f16 v37, v38, v130, v128
	;; [unrolled: 1-line block ×6, first 2 shown]
	v_mul_u32_u24_e32 v2, 0x10001, v2
	v_pk_fma_f16 v34, v34, v1, v50
	v_pk_fma_f16 v35, v35, v1, v51
	;; [unrolled: 1-line block ×8, first 2 shown]
	v_mul_u32_u24_e32 v115, 0x10001, v115
	v_pk_fma_f16 v6, v6, v114, v34
	v_pk_fma_f16 v7, v7, v114, v35
	;; [unrolled: 1-line block ×16, first 2 shown]
	s_wait_dscnt 0x0
	s_barrier_signal -1
	s_barrier_wait -1
	ds_load_b128 v[2:5], v97 offset:80
	v_pk_fma_f16 v6, v46, v115, v6
	v_pk_fma_f16 v7, v47, v115, v7
	;; [unrolled: 1-line block ×8, first 2 shown]
	ds_load_2addr_b64 v[6:9], v90 offset1:32
	v_pk_fma_f16 v66, v24, v116, v10
	v_pk_fma_f16 v67, v25, v116, v11
	;; [unrolled: 1-line block ×5, first 2 shown]
	ds_load_2addr_b64 v[10:13], v90 offset0:64 offset1:96
	ds_load_2addr_b64 v[14:17], v90 offset0:128 offset1:160
	ds_load_2addr_b64 v[18:21], v90 offset0:192 offset1:224
	ds_load_2addr_b64 v[22:25], v112 offset1:32
	ds_load_2addr_b64 v[26:29], v112 offset0:64 offset1:96
	ds_load_2addr_b64 v[30:33], v112 offset0:128 offset1:160
	;; [unrolled: 1-line block ×3, first 2 shown]
	ds_load_2addr_b64 v[38:41], v111 offset1:32
	ds_load_2addr_b64 v[42:45], v111 offset0:64 offset1:96
	ds_load_2addr_b64 v[46:49], v111 offset0:128 offset1:160
	;; [unrolled: 1-line block ×3, first 2 shown]
	s_ashr_i32 s25, s24, 31
	v_fmac_f32_e32 v0, v104, v113
	s_mul_u64 s[24:25], s[24:25], s[10:11]
	s_wait_dscnt 0xc
	v_and_b32_e32 v54, 0xffff, v2
	v_lshrrev_b32_e32 v2, 16, v2
	s_lshl_b64 s[24:25], s[24:25], 2
	v_lshrrev_b32_e32 v104, 16, v3
	s_add_nc_u64 s[24:25], s[8:9], s[24:25]
	v_mul_u32_u24_e32 v127, 0x10001, v54
	v_mul_u32_u24_e32 v2, 0x10001, v2
	ds_load_2addr_b64 v[54:57], v110 offset1:32
	ds_load_2addr_b64 v[58:61], v110 offset0:64 offset1:96
	ds_load_2addr_b64 v[62:65], v110 offset0:128 offset1:160
	;; [unrolled: 1-line block ×3, first 2 shown]
	s_wait_dscnt 0x0
	s_barrier_signal -1
	v_pk_fma_f16 v66, v6, v127, v66
	v_pk_fma_f16 v67, v7, v127, v67
	;; [unrolled: 1-line block ×4, first 2 shown]
	s_barrier_wait -1
	v_pk_fma_f16 v124, v10, v127, v124
	v_pk_fma_f16 v125, v11, v127, v125
	;; [unrolled: 1-line block ×4, first 2 shown]
	s_clause 0x1
	global_load_b128 v[6:9], v[118:119], off
	global_load_b128 v[10:13], v[118:119], off offset:512
	v_pk_fma_f16 v127, v14, v2, v66
	v_pk_fma_f16 v128, v15, v2, v67
	;; [unrolled: 1-line block ×4, first 2 shown]
	s_clause 0x1
	global_load_b128 v[14:17], v[122:123], off
	global_load_b128 v[118:121], v[122:123], off offset:512
	v_pk_fma_f16 v18, v18, v2, v124
	v_pk_fma_f16 v19, v19, v2, v125
	;; [unrolled: 1-line block ×4, first 2 shown]
	v_and_b32_e32 v21, 0xffff, v3
	v_add_nc_u64_e32 v[2:3], s[24:25], v[84:85]
	v_and_b32_e32 v113, 0xffff, v4
	v_dual_lshrrev_b32 v4, 16, v4 :: v_dual_lshrrev_b32 v124, 16, v5
	v_and_b32_e32 v5, 0xffff, v5
	v_add_nc_u64_e32 v[66:67], s[24:25], v[82:83]
	s_wait_loadcnt 0x3
	ds_store_b128 v98, v[6:9]
	s_wait_loadcnt 0x2
	ds_store_b128 v101, v[10:13]
	;; [unrolled: 2-line block ×4, first 2 shown]
	v_add_nc_u64_e32 v[122:123], v[2:3], v[76:77]
	v_mul_u32_u24_e32 v2, 0x10001, v21
	v_mul_u32_u24_e32 v3, 0x10001, v104
	;; [unrolled: 1-line block ×5, first 2 shown]
	v_pk_fma_f16 v22, v22, v2, v127
	v_pk_fma_f16 v23, v23, v2, v128
	;; [unrolled: 1-line block ×27, first 2 shown]
	v_mul_u32_u24_e32 v104, 0x10001, v124
	v_pk_fma_f16 v22, v49, v4, v23
	v_pk_fma_f16 v18, v50, v4, v18
	;; [unrolled: 1-line block ×16, first 2 shown]
	s_wait_dscnt 0x0
	s_barrier_signal -1
	s_barrier_wait -1
	ds_load_b128 v[2:5], v97 offset:96
	v_pk_fma_f16 v118, v65, v104, v21
	v_pk_fma_f16 v119, v114, v104, v18
	;; [unrolled: 1-line block ×5, first 2 shown]
	ds_load_2addr_b64 v[6:9], v90 offset1:32
	ds_load_2addr_b64 v[10:13], v90 offset0:64 offset1:96
	ds_load_2addr_b64 v[14:17], v90 offset0:128 offset1:160
	ds_load_2addr_b64 v[18:21], v90 offset0:192 offset1:224
	ds_load_2addr_b64 v[22:25], v112 offset1:32
	ds_load_2addr_b64 v[26:29], v112 offset0:64 offset1:96
	ds_load_2addr_b64 v[30:33], v112 offset0:128 offset1:160
	ds_load_2addr_b64 v[34:37], v112 offset0:192 offset1:224
	;; [unrolled: 4-line block ×3, first 2 shown]
	ds_load_2addr_b64 v[54:57], v110 offset1:32
	ds_load_2addr_b64 v[58:61], v110 offset0:64 offset1:96
	v_add_nc_u64_e32 v[66:67], v[66:67], v[76:77]
	ds_load_2addr_b64 v[62:65], v110 offset0:128 offset1:160
	ds_load_2addr_b64 v[114:117], v110 offset0:192 offset1:224
	s_wait_dscnt 0x0
	s_barrier_signal -1
	s_barrier_wait -1
	v_and_b32_e32 v104, 0xffff, v2
	v_dual_lshrrev_b32 v2, 16, v2 :: v_dual_lshrrev_b32 v127, 16, v3
	v_and_b32_e32 v126, 0xffff, v3
	v_and_b32_e32 v128, 0xffff, v4
	s_delay_alu instid0(VALU_DEP_4) | instskip(NEXT) | instid1(VALU_DEP_4)
	v_mul_u32_u24_e32 v104, 0x10001, v104
	v_mul_u32_u24_e32 v132, 0x10001, v2
	v_dual_lshrrev_b32 v129, 16, v4 :: v_dual_lshrrev_b32 v130, 16, v5
	v_and_b32_e32 v131, 0xffff, v5
	s_delay_alu instid0(VALU_DEP_4)
	v_pk_fma_f16 v113, v6, v104, v113
	v_pk_fma_f16 v124, v7, v104, v124
	;; [unrolled: 1-line block ×8, first 2 shown]
	s_clause 0x1
	global_load_b128 v[2:5], v[66:67], off
	global_load_b128 v[6:9], v[66:67], off offset:512
	s_wait_xcnt 0x0
	v_pk_fma_f16 v66, v14, v132, v113
	v_pk_fma_f16 v67, v15, v132, v124
	;; [unrolled: 1-line block ×4, first 2 shown]
	s_clause 0x1
	global_load_b128 v[10:13], v[122:123], off
	global_load_b128 v[14:17], v[122:123], off offset:512
	v_mul_u32_u24_e32 v118, 0x10001, v126
	v_pk_fma_f16 v18, v18, v132, v119
	v_pk_fma_f16 v19, v19, v132, v120
	;; [unrolled: 1-line block ×4, first 2 shown]
	s_wait_xcnt 0x0
	v_mul_u32_u24_e32 v122, 0x10001, v127
	v_pk_fma_f16 v21, v22, v118, v66
	v_pk_fma_f16 v18, v26, v118, v18
	v_pk_fma_f16 v22, v23, v118, v67
	v_pk_fma_f16 v23, v24, v118, v104
	v_pk_fma_f16 v24, v25, v118, v113
	v_pk_fma_f16 v19, v27, v118, v19
	v_pk_fma_f16 v20, v28, v118, v20
	v_pk_fma_f16 v1, v29, v118, v1
	v_mul_u32_u24_e32 v123, 0x10001, v128
	v_pk_fma_f16 v21, v30, v122, v21
	v_pk_fma_f16 v18, v34, v122, v18
	v_pk_fma_f16 v22, v31, v122, v22
	v_pk_fma_f16 v23, v32, v122, v23
	v_pk_fma_f16 v24, v33, v122, v24
	v_pk_fma_f16 v19, v35, v122, v19
	v_pk_fma_f16 v20, v36, v122, v20
	v_pk_fma_f16 v1, v37, v122, v1
	;; [unrolled: 9-line block ×5, first 2 shown]
	s_wait_loadcnt 0x3
	ds_store_b128 v98, v[2:5]
	s_wait_loadcnt 0x2
	ds_store_b128 v101, v[6:9]
	;; [unrolled: 2-line block ×4, first 2 shown]
	s_wait_dscnt 0x0
	s_barrier_signal -1
	s_barrier_wait -1
	ds_load_b128 v[2:5], v97 offset:112
	ds_load_2addr_b64 v[6:9], v90 offset1:32
	ds_load_2addr_b64 v[10:13], v90 offset0:64 offset1:96
	ds_load_2addr_b64 v[14:17], v90 offset0:128 offset1:160
	ds_load_2addr_b64 v[18:21], v90 offset0:192 offset1:224
	ds_load_2addr_b64 v[22:25], v112 offset1:32
	ds_load_2addr_b64 v[26:29], v112 offset0:64 offset1:96
	ds_load_2addr_b64 v[30:33], v112 offset0:128 offset1:160
	ds_load_2addr_b64 v[34:37], v112 offset0:192 offset1:224
	;; [unrolled: 4-line block ×4, first 2 shown]
	v_pk_fma_f16 v62, v62, v126, v66
	v_pk_fma_f16 v66, v114, v126, v123
	;; [unrolled: 1-line block ×3, first 2 shown]
	s_wait_dscnt 0x10
	v_and_b32_e32 v114, 0xffff, v2
	v_pk_fma_f16 v64, v64, v126, v104
	v_pk_fma_f16 v65, v65, v126, v122
	;; [unrolled: 1-line block ×5, first 2 shown]
	v_lshrrev_b32_e32 v2, 16, v2
	v_mul_u32_u24_e32 v114, 0x10001, v114
	v_and_b32_e32 v115, 0xffff, v3
	v_dual_lshrrev_b32 v3, 16, v3 :: v_dual_lshrrev_b32 v116, 16, v4
	v_lshrrev_b32_e32 v117, 16, v5
	v_mul_u32_u24_e32 v2, 0x10001, v2
	s_wait_dscnt 0xf
	v_pk_fma_f16 v6, v6, v114, v62
	v_pk_fma_f16 v7, v7, v114, v63
	;; [unrolled: 1-line block ×4, first 2 shown]
	s_wait_dscnt 0xe
	v_pk_fma_f16 v10, v10, v114, v66
	v_pk_fma_f16 v11, v11, v114, v67
	;; [unrolled: 1-line block ×4, first 2 shown]
	v_mul_u32_u24_e32 v115, 0x10001, v115
	s_wait_dscnt 0xd
	v_pk_fma_f16 v6, v14, v2, v6
	v_pk_fma_f16 v7, v15, v2, v7
	;; [unrolled: 1-line block ×4, first 2 shown]
	s_wait_dscnt 0xc
	v_pk_fma_f16 v10, v18, v2, v10
	v_pk_fma_f16 v11, v19, v2, v11
	;; [unrolled: 1-line block ×4, first 2 shown]
	v_and_b32_e32 v4, 0xffff, v4
	v_mul_u32_u24_e32 v3, 0x10001, v3
	s_wait_dscnt 0xb
	v_pk_fma_f16 v2, v22, v115, v6
	v_pk_fma_f16 v6, v23, v115, v7
	;; [unrolled: 1-line block ×4, first 2 shown]
	s_wait_dscnt 0xa
	v_pk_fma_f16 v9, v26, v115, v10
	v_pk_fma_f16 v10, v27, v115, v11
	;; [unrolled: 1-line block ×4, first 2 shown]
	s_wait_dscnt 0x0
	s_barrier_signal -1
	s_barrier_wait -1
	s_load_b32 s5, s[20:21], 0x4
	v_mul_u32_u24_e32 v4, 0x10001, v4
	v_pk_fma_f16 v2, v30, v3, v2
	v_pk_fma_f16 v6, v31, v3, v6
	;; [unrolled: 1-line block ×8, first 2 shown]
	v_and_b32_e32 v5, 0xffff, v5
	v_mul_u32_u24_e32 v116, 0x10001, v116
	v_pk_fma_f16 v2, v38, v4, v2
	v_pk_fma_f16 v3, v39, v4, v6
	v_pk_fma_f16 v6, v40, v4, v7
	v_pk_fma_f16 v7, v41, v4, v8
	v_pk_fma_f16 v8, v42, v4, v9
	v_pk_fma_f16 v9, v43, v4, v10
	v_pk_fma_f16 v10, v44, v4, v11
	v_pk_fma_f16 v1, v45, v4, v1
	v_mul_u32_u24_e32 v5, 0x10001, v5
	v_pk_fma_f16 v2, v46, v116, v2
	v_pk_fma_f16 v3, v47, v116, v3
	v_pk_fma_f16 v4, v48, v116, v6
	v_pk_fma_f16 v6, v49, v116, v7
	v_pk_fma_f16 v7, v50, v116, v8
	v_pk_fma_f16 v8, v51, v116, v9
	v_pk_fma_f16 v9, v52, v116, v10
	v_pk_fma_f16 v1, v53, v116, v1
	;; [unrolled: 9-line block ×3, first 2 shown]
	s_wait_kmcnt 0x0
	s_lshl_b32 s5, s5, 6
	v_pk_fma_f16 v11, v118, v117, v2
	v_pk_fma_f16 v10, v119, v117, v3
	;; [unrolled: 1-line block ×8, first 2 shown]
	s_add_co_i32 s4, s5, s4
	s_delay_alu instid0(SALU_CYCLE_1)
	s_cmp_ge_i32 s4, s28
	s_cbranch_scc1 .LBB28_21
; %bb.20:                               ;   in Loop: Header=BB28_11 Depth=1
	v_dual_mov_b32 v16, v86 :: v_dual_mov_b32 v104, v0
	s_branch .LBB28_11
.LBB28_21:
	v_dual_mov_b32 v1, 32 :: v_dual_mov_b32 v3, v91
.LBB28_22:
	s_delay_alu instid0(VALU_DEP_1)
	v_cmp_lt_i32_e32 vcc_lo, v106, v1
	s_cmp_lg_u64 s[12:13], 0
	s_cselect_b32 s3, -1, 0
	s_cmp_eq_u32 s29, 0
	v_cndmask_b32_e32 v2, v3, v106, vcc_lo
	v_cmp_lt_i32_e32 vcc_lo, v105, v1
	s_cselect_b32 s4, -1, 0
	s_delay_alu instid0(SALU_CYCLE_1) | instskip(NEXT) | instid1(VALU_DEP_2)
	s_and_b32 s3, s4, s3
	v_dual_cndmask_b32 v4, v3, v105, vcc_lo :: v_dual_lshlrev_b32 v2, 2, v2
	v_cmp_lt_i32_e32 vcc_lo, v107, v1
	s_delay_alu instid0(VALU_DEP_2)
	v_lshlrev_b32_e32 v4, 2, v4
	ds_bpermute_b32 v2, v2, v0
	s_wait_dscnt 0x0
	v_add_f32_e32 v0, v0, v2
	ds_bpermute_b32 v2, v4, v0
	v_cndmask_b32_e32 v4, v3, v107, vcc_lo
	v_cmp_lt_i32_e32 vcc_lo, v108, v1
	s_wait_dscnt 0x0
	s_delay_alu instid0(VALU_DEP_2)
	v_dual_lshlrev_b32 v4, 2, v4 :: v_dual_add_f32 v0, v0, v2
	ds_bpermute_b32 v2, v4, v0
	v_cndmask_b32_e32 v4, v3, v108, vcc_lo
	v_cmp_lt_i32_e32 vcc_lo, v109, v1
	v_cndmask_b32_e32 v1, v3, v109, vcc_lo
	s_and_b32 vcc_lo, exec_lo, s3
	s_wait_dscnt 0x0
	v_dual_add_f32 v0, v0, v2 :: v_dual_lshlrev_b32 v4, 2, v4
	ds_bpermute_b32 v2, v4, v0
	s_wait_dscnt 0x0
	v_dual_add_f32 v0, v0, v2 :: v_dual_lshlrev_b32 v1, 2, v1
	ds_bpermute_b32 v1, v1, v0
	s_wait_dscnt 0x0
	v_dual_add_f32 v87, v0, v1 :: v_dual_add_nc_u32 v2, s33, v68
	s_cbranch_vccz .LBB28_24
; %bb.23:
	global_load_b32 v1, v2, s[12:13] scale_offset
	s_wait_loadcnt 0x0
	v_dual_max_num_f32 v0, v86, v86 :: v_dual_max_num_f32 v3, v1, v1
	s_delay_alu instid0(VALU_DEP_1) | instskip(NEXT) | instid1(VALU_DEP_1)
	v_max_num_f32_e32 v0, v0, v3
	v_sub_f32_e32 v3, v86, v0
	s_delay_alu instid0(VALU_DEP_1) | instskip(NEXT) | instid1(VALU_DEP_1)
	v_mul_f32_e32 v4, 0x3fb8aa3b, v3
	v_fma_f32 v5, 0x3fb8aa3b, v3, -v4
	s_delay_alu instid0(VALU_DEP_1) | instskip(SKIP_2) | instid1(VALU_DEP_2)
	v_fmac_f32_e32 v5, 0x32a5705f, v3
	v_sub_f32_e32 v1, v1, v0
	v_cmp_ngt_f32_e32 vcc_lo, 0xc2ce8ed0, v3
	v_mul_f32_e32 v7, 0x3fb8aa3b, v1
	v_rndne_f32_e32 v6, v4
	s_delay_alu instid0(VALU_DEP_2) | instskip(NEXT) | instid1(VALU_DEP_2)
	v_rndne_f32_e32 v16, v7
	v_sub_f32_e32 v4, v4, v6
	v_cvt_i32_f32_e32 v6, v6
	s_delay_alu instid0(VALU_DEP_2) | instskip(SKIP_2) | instid1(VALU_DEP_3)
	v_add_f32_e32 v4, v4, v5
	v_fma_f32 v5, 0x3fb8aa3b, v1, -v7
	v_sub_f32_e32 v7, v7, v16
	v_exp_f32_e32 v4, v4
	s_delay_alu instid0(VALU_DEP_2) | instskip(NEXT) | instid1(TRANS32_DEP_1)
	v_fmac_f32_e32 v5, 0x32a5705f, v1
	v_ldexp_f32 v4, v4, v6
	s_delay_alu instid0(VALU_DEP_2) | instskip(SKIP_1) | instid1(VALU_DEP_3)
	v_add_f32_e32 v5, v7, v5
	v_cvt_i32_f32_e32 v6, v16
	v_cndmask_b32_e32 v4, 0, v4, vcc_lo
	s_delay_alu instid0(VALU_DEP_3) | instskip(SKIP_1) | instid1(VALU_DEP_2)
	v_exp_f32_e32 v5, v5
	v_cmp_nlt_f32_e32 vcc_lo, 0x42b17218, v3
	v_cndmask_b32_e32 v3, 0x7f800000, v4, vcc_lo
	s_delay_alu instid0(TRANS32_DEP_1) | instskip(SKIP_1) | instid1(VALU_DEP_3)
	v_ldexp_f32 v4, v5, v6
	v_cmp_ngt_f32_e32 vcc_lo, 0xc2ce8ed0, v1
	v_cvt_f16_f32_e32 v5, v3
	s_delay_alu instid0(VALU_DEP_3) | instskip(SKIP_1) | instid1(VALU_DEP_3)
	v_cndmask_b32_e32 v4, 0, v4, vcc_lo
	v_cmp_nlt_f32_e32 vcc_lo, 0x42b17218, v1
	v_and_b32_e32 v5, 0xffff, v5
	s_delay_alu instid0(VALU_DEP_3) | instskip(NEXT) | instid1(VALU_DEP_2)
	v_cndmask_b32_e32 v1, 0x7f800000, v4, vcc_lo
	v_mul_u32_u24_e32 v4, 0x10001, v5
	s_delay_alu instid0(VALU_DEP_2) | instskip(NEXT) | instid1(VALU_DEP_2)
	v_fmac_f32_e32 v1, v87, v3
	v_pk_mul_f16 v11, v11, v4
	v_pk_mul_f16 v10, v10, v4
	;; [unrolled: 1-line block ×3, first 2 shown]
	s_delay_alu instid0(VALU_DEP_4)
	v_mov_b64_e32 v[86:87], v[0:1]
	v_pk_mul_f16 v12, v12, v4
	v_pk_mul_f16 v15, v15, v4
	;; [unrolled: 1-line block ×5, first 2 shown]
	s_branch .LBB28_25
.LBB28_24:
	s_delay_alu instid0(VALU_DEP_1)
	v_mov_b32_e32 v1, v87
.LBB28_25:
	s_delay_alu instid0(VALU_DEP_1) | instskip(SKIP_3) | instid1(VALU_DEP_3)
	v_div_scale_f32 v16, null, v1, v1, 1.0
	v_mad_u32 v0, s2, s22, v88
	s_load_b32 s1, s[0:1], 0xd4
	v_div_scale_f32 v21, vcc_lo, 1.0, v1, 1.0
	v_rcp_f32_e32 v19, v16
	v_cvt_f32_f16_e32 v18, v13
	v_dual_mov_b32 v17, 0 :: v_dual_lshrrev_b32 v3, 16, v11
	v_cvt_f32_f16_e32 v4, v11
	v_cvt_f32_f16_e32 v6, v10
	v_dual_lshrrev_b32 v11, 16, v14 :: v_dual_lshrrev_b32 v22, 16, v12
	s_delay_alu instid0(TRANS32_DEP_1)
	v_fma_f32 v5, -v16, v19, 1.0
	v_lshrrev_b32_e32 v7, 16, v10
	v_mad_u32 v0, v0, s23, v2
	v_cvt_f32_f16_e32 v10, v14
	v_cvt_f32_f16_e32 v14, v15
	v_fmac_f32_e32 v19, v5, v19
	v_cvt_f32_f16_e32 v5, v3
	v_lshrrev_b32_e32 v26, 16, v9
	v_lshrrev_b32_e32 v25, 16, v13
	v_cvt_f32_f16_e32 v20, v9
	v_mul_f32_e32 v2, v21, v19
	v_dual_lshrrev_b32 v24, 16, v15 :: v_dual_lshrrev_b32 v9, 16, v8
	s_wait_kmcnt 0x0
	v_mad_u32 v0, s1, v0, s29
	s_cmp_lg_u32 s1, 1
	v_fma_f32 v13, -v16, v2, v21
	s_cselect_b32 s1, -1, 0
	v_cvt_f32_f16_e32 v7, v7
	v_cvt_f32_f16_e32 v12, v12
	v_cvt_f32_f16_e32 v11, v11
	v_fmac_f32_e32 v2, v13, v19
	v_mov_b32_e32 v3, v17
	v_cvt_f32_f16_e32 v13, v22
	v_cvt_f32_f16_e32 v31, v9
	;; [unrolled: 1-line block ×3, first 2 shown]
	v_fma_f32 v15, -v16, v2, v21
	v_lshl_add_u32 v16, v0, 9, v69
	v_mov_b32_e32 v23, v17
	v_cvt_f32_f16_e32 v21, v26
	v_cmp_eq_u32_e64 s0, 0, v89
	v_div_fmas_f32 v2, v15, v19, v2
	v_cvt_f32_f16_e32 v15, v24
	v_cvt_f32_f16_e32 v19, v25
	v_add_nc_u32_e32 v22, 0x100, v16
	v_lshl_add_u64 v[26:27], v[16:17], 2, s[16:17]
	v_div_fixup_f32 v1, v2, v1, 1.0
	v_add_nc_u32_e32 v2, 0x80, v16
	v_add_nc_u32_e32 v16, 0x180, v16
	v_lshl_add_u64 v[22:23], v[22:23], 2, s[16:17]
	s_and_b32 s0, s0, s1
	v_cndmask_b32_e64 v24, v1, 1.0, s1
	v_lshl_add_u64 v[28:29], v[2:3], 2, s[16:17]
	s_delay_alu instid0(VALU_DEP_2)
	v_pk_mul_f32 v[2:3], v[24:25], v[4:5] op_sel_hi:[0,1]
	v_pk_mul_f32 v[4:5], v[24:25], v[6:7] op_sel_hi:[0,1]
	;; [unrolled: 1-line block ×6, first 2 shown]
	v_lshl_add_u64 v[18:19], v[16:17], 2, s[16:17]
	v_pk_mul_f32 v[14:15], v[24:25], v[20:21] op_sel_hi:[0,1]
	v_pk_mul_f32 v[16:17], v[24:25], v[30:31] op_sel_hi:[0,1]
	s_clause 0x3
	global_store_b128 v[26:27], v[2:5], off
	global_store_b128 v[28:29], v[10:13], off
	;; [unrolled: 1-line block ×4, first 2 shown]
	s_wait_xcnt 0x0
	s_and_saveexec_b32 s1, s0
	s_cbranch_execz .LBB28_27
; %bb.26:
	global_store_b64 v0, v[86:87], s[18:19] scale_offset
.LBB28_27:
	s_sendmsg sendmsg(MSG_DEALLOC_VGPRS)
	s_endpgm
	.section	.rodata,"a",@progbits
	.p2align	6, 0x0
	.amdhsa_kernel _ZL15flash_attn_tileILi576ELi512ELi1ELi4ELb1EEvPKcS1_S1_S1_S1_PKiPfP15HIP_vector_typeIfLj2EEffffjfiS5_IjLj3EEiiiiiiiiiiiliiliiiiil
		.amdhsa_group_segment_fixed_size 14336
		.amdhsa_private_segment_fixed_size 0
		.amdhsa_kernarg_size 464
		.amdhsa_user_sgpr_count 2
		.amdhsa_user_sgpr_dispatch_ptr 0
		.amdhsa_user_sgpr_queue_ptr 0
		.amdhsa_user_sgpr_kernarg_segment_ptr 1
		.amdhsa_user_sgpr_dispatch_id 0
		.amdhsa_user_sgpr_kernarg_preload_length 0
		.amdhsa_user_sgpr_kernarg_preload_offset 0
		.amdhsa_user_sgpr_private_segment_size 0
		.amdhsa_wavefront_size32 1
		.amdhsa_uses_dynamic_stack 0
		.amdhsa_enable_private_segment 0
		.amdhsa_system_sgpr_workgroup_id_x 1
		.amdhsa_system_sgpr_workgroup_id_y 1
		.amdhsa_system_sgpr_workgroup_id_z 1
		.amdhsa_system_sgpr_workgroup_info 0
		.amdhsa_system_vgpr_workitem_id 1
		.amdhsa_next_free_vgpr 134
		.amdhsa_next_free_sgpr 43
		.amdhsa_named_barrier_count 0
		.amdhsa_reserve_vcc 1
		.amdhsa_float_round_mode_32 0
		.amdhsa_float_round_mode_16_64 0
		.amdhsa_float_denorm_mode_32 3
		.amdhsa_float_denorm_mode_16_64 3
		.amdhsa_fp16_overflow 0
		.amdhsa_memory_ordered 1
		.amdhsa_forward_progress 1
		.amdhsa_inst_pref_size 122
		.amdhsa_round_robin_scheduling 0
		.amdhsa_exception_fp_ieee_invalid_op 0
		.amdhsa_exception_fp_denorm_src 0
		.amdhsa_exception_fp_ieee_div_zero 0
		.amdhsa_exception_fp_ieee_overflow 0
		.amdhsa_exception_fp_ieee_underflow 0
		.amdhsa_exception_fp_ieee_inexact 0
		.amdhsa_exception_int_div_zero 0
	.end_amdhsa_kernel
	.section	.text._ZL15flash_attn_tileILi576ELi512ELi1ELi4ELb1EEvPKcS1_S1_S1_S1_PKiPfP15HIP_vector_typeIfLj2EEffffjfiS5_IjLj3EEiiiiiiiiiiiliiliiiiil,"axG",@progbits,_ZL15flash_attn_tileILi576ELi512ELi1ELi4ELb1EEvPKcS1_S1_S1_S1_PKiPfP15HIP_vector_typeIfLj2EEffffjfiS5_IjLj3EEiiiiiiiiiiiliiliiiiil,comdat
.Lfunc_end28:
	.size	_ZL15flash_attn_tileILi576ELi512ELi1ELi4ELb1EEvPKcS1_S1_S1_S1_PKiPfP15HIP_vector_typeIfLj2EEffffjfiS5_IjLj3EEiiiiiiiiiiiliiliiiiil, .Lfunc_end28-_ZL15flash_attn_tileILi576ELi512ELi1ELi4ELb1EEvPKcS1_S1_S1_S1_PKiPfP15HIP_vector_typeIfLj2EEffffjfiS5_IjLj3EEiiiiiiiiiiiliiliiiiil
                                        ; -- End function
	.set _ZL15flash_attn_tileILi576ELi512ELi1ELi4ELb1EEvPKcS1_S1_S1_S1_PKiPfP15HIP_vector_typeIfLj2EEffffjfiS5_IjLj3EEiiiiiiiiiiiliiliiiiil.num_vgpr, 134
	.set _ZL15flash_attn_tileILi576ELi512ELi1ELi4ELb1EEvPKcS1_S1_S1_S1_PKiPfP15HIP_vector_typeIfLj2EEffffjfiS5_IjLj3EEiiiiiiiiiiiliiliiiiil.num_agpr, 0
	.set _ZL15flash_attn_tileILi576ELi512ELi1ELi4ELb1EEvPKcS1_S1_S1_S1_PKiPfP15HIP_vector_typeIfLj2EEffffjfiS5_IjLj3EEiiiiiiiiiiiliiliiiiil.numbered_sgpr, 43
	.set _ZL15flash_attn_tileILi576ELi512ELi1ELi4ELb1EEvPKcS1_S1_S1_S1_PKiPfP15HIP_vector_typeIfLj2EEffffjfiS5_IjLj3EEiiiiiiiiiiiliiliiiiil.num_named_barrier, 0
	.set _ZL15flash_attn_tileILi576ELi512ELi1ELi4ELb1EEvPKcS1_S1_S1_S1_PKiPfP15HIP_vector_typeIfLj2EEffffjfiS5_IjLj3EEiiiiiiiiiiiliiliiiiil.private_seg_size, 0
	.set _ZL15flash_attn_tileILi576ELi512ELi1ELi4ELb1EEvPKcS1_S1_S1_S1_PKiPfP15HIP_vector_typeIfLj2EEffffjfiS5_IjLj3EEiiiiiiiiiiiliiliiiiil.uses_vcc, 1
	.set _ZL15flash_attn_tileILi576ELi512ELi1ELi4ELb1EEvPKcS1_S1_S1_S1_PKiPfP15HIP_vector_typeIfLj2EEffffjfiS5_IjLj3EEiiiiiiiiiiiliiliiiiil.uses_flat_scratch, 0
	.set _ZL15flash_attn_tileILi576ELi512ELi1ELi4ELb1EEvPKcS1_S1_S1_S1_PKiPfP15HIP_vector_typeIfLj2EEffffjfiS5_IjLj3EEiiiiiiiiiiiliiliiiiil.has_dyn_sized_stack, 0
	.set _ZL15flash_attn_tileILi576ELi512ELi1ELi4ELb1EEvPKcS1_S1_S1_S1_PKiPfP15HIP_vector_typeIfLj2EEffffjfiS5_IjLj3EEiiiiiiiiiiiliiliiiiil.has_recursion, 0
	.set _ZL15flash_attn_tileILi576ELi512ELi1ELi4ELb1EEvPKcS1_S1_S1_S1_PKiPfP15HIP_vector_typeIfLj2EEffffjfiS5_IjLj3EEiiiiiiiiiiiliiliiiiil.has_indirect_call, 0
	.section	.AMDGPU.csdata,"",@progbits
; Kernel info:
; codeLenInByte = 15548
; TotalNumSgprs: 45
; NumVgprs: 134
; ScratchSize: 0
; MemoryBound: 0
; FloatMode: 240
; IeeeMode: 1
; LDSByteSize: 14336 bytes/workgroup (compile time only)
; SGPRBlocks: 0
; VGPRBlocks: 8
; NumSGPRsForWavesPerEU: 45
; NumVGPRsForWavesPerEU: 134
; NamedBarCnt: 0
; Occupancy: 7
; WaveLimiterHint : 1
; COMPUTE_PGM_RSRC2:SCRATCH_EN: 0
; COMPUTE_PGM_RSRC2:USER_SGPR: 2
; COMPUTE_PGM_RSRC2:TRAP_HANDLER: 0
; COMPUTE_PGM_RSRC2:TGID_X_EN: 1
; COMPUTE_PGM_RSRC2:TGID_Y_EN: 1
; COMPUTE_PGM_RSRC2:TGID_Z_EN: 1
; COMPUTE_PGM_RSRC2:TIDIG_COMP_CNT: 1
	.section	.AMDGPU.gpr_maximums,"",@progbits
	.set amdgpu.max_num_vgpr, 0
	.set amdgpu.max_num_agpr, 0
	.set amdgpu.max_num_sgpr, 0
	.section	.AMDGPU.csdata,"",@progbits
	.type	__hip_cuid_4c62e4dbc5044637,@object ; @__hip_cuid_4c62e4dbc5044637
	.section	.bss,"aw",@nobits
	.globl	__hip_cuid_4c62e4dbc5044637
__hip_cuid_4c62e4dbc5044637:
	.byte	0                               ; 0x0
	.size	__hip_cuid_4c62e4dbc5044637, 1

	.ident	"AMD clang version 22.0.0git (https://github.com/RadeonOpenCompute/llvm-project roc-7.2.4 26084 f58b06dce1f9c15707c5f808fd002e18c2accf7e)"
	.section	".note.GNU-stack","",@progbits
	.addrsig
	.addrsig_sym __hip_cuid_4c62e4dbc5044637
	.amdgpu_metadata
---
amdhsa.kernels:
  - .args:
      - .address_space:  global
        .offset:         0
        .size:           8
        .value_kind:     global_buffer
      - .address_space:  global
        .offset:         8
        .size:           8
        .value_kind:     global_buffer
      - .address_space:  global
        .offset:         16
        .size:           8
        .value_kind:     global_buffer
      - .address_space:  global
        .offset:         24
        .size:           8
        .value_kind:     global_buffer
      - .address_space:  global
        .offset:         32
        .size:           8
        .value_kind:     global_buffer
      - .address_space:  global
        .offset:         40
        .size:           8
        .value_kind:     global_buffer
      - .address_space:  global
        .offset:         48
        .size:           8
        .value_kind:     global_buffer
      - .address_space:  global
        .offset:         56
        .size:           8
        .value_kind:     global_buffer
      - .offset:         64
        .size:           4
        .value_kind:     by_value
      - .offset:         68
        .size:           4
        .value_kind:     by_value
      - .offset:         72
        .size:           4
        .value_kind:     by_value
      - .offset:         76
        .size:           4
        .value_kind:     by_value
      - .offset:         80
        .size:           4
        .value_kind:     by_value
      - .offset:         84
        .size:           4
        .value_kind:     by_value
      - .offset:         88
        .size:           4
        .value_kind:     by_value
      - .offset:         92
        .size:           12
        .value_kind:     by_value
      - .offset:         104
        .size:           4
        .value_kind:     by_value
      - .offset:         108
        .size:           4
        .value_kind:     by_value
      - .offset:         112
        .size:           4
        .value_kind:     by_value
      - .offset:         116
        .size:           4
        .value_kind:     by_value
      - .offset:         120
        .size:           4
        .value_kind:     by_value
      - .offset:         124
        .size:           4
        .value_kind:     by_value
      - .offset:         128
        .size:           4
        .value_kind:     by_value
      - .offset:         132
        .size:           4
        .value_kind:     by_value
      - .offset:         136
        .size:           4
        .value_kind:     by_value
      - .offset:         140
        .size:           4
        .value_kind:     by_value
      - .offset:         144
        .size:           4
        .value_kind:     by_value
      - .offset:         152
        .size:           8
        .value_kind:     by_value
      - .offset:         160
        .size:           4
        .value_kind:     by_value
      - .offset:         164
        .size:           4
        .value_kind:     by_value
      - .offset:         168
        .size:           8
        .value_kind:     by_value
      - .offset:         176
        .size:           4
        .value_kind:     by_value
      - .offset:         180
        .size:           4
        .value_kind:     by_value
      - .offset:         184
        .size:           4
        .value_kind:     by_value
      - .offset:         188
        .size:           4
        .value_kind:     by_value
      - .offset:         192
        .size:           4
        .value_kind:     by_value
      - .offset:         200
        .size:           8
        .value_kind:     by_value
      - .offset:         208
        .size:           4
        .value_kind:     hidden_block_count_x
      - .offset:         212
        .size:           4
        .value_kind:     hidden_block_count_y
      - .offset:         216
        .size:           4
        .value_kind:     hidden_block_count_z
      - .offset:         220
        .size:           2
        .value_kind:     hidden_group_size_x
      - .offset:         222
        .size:           2
        .value_kind:     hidden_group_size_y
      - .offset:         224
        .size:           2
        .value_kind:     hidden_group_size_z
      - .offset:         226
        .size:           2
        .value_kind:     hidden_remainder_x
      - .offset:         228
        .size:           2
        .value_kind:     hidden_remainder_y
      - .offset:         230
        .size:           2
        .value_kind:     hidden_remainder_z
      - .offset:         248
        .size:           8
        .value_kind:     hidden_global_offset_x
      - .offset:         256
        .size:           8
        .value_kind:     hidden_global_offset_y
      - .offset:         264
        .size:           8
        .value_kind:     hidden_global_offset_z
      - .offset:         272
        .size:           2
        .value_kind:     hidden_grid_dims
    .group_segment_fixed_size: 63488
    .kernarg_segment_align: 8
    .kernarg_segment_size: 464
    .language:       OpenCL C
    .language_version:
      - 2
      - 0
    .max_flat_workgroup_size: 256
    .name:           _ZL15flash_attn_tileILi576ELi512ELi2ELi16ELb0EEvPKcS1_S1_S1_S1_PKiPfP15HIP_vector_typeIfLj2EEffffjfiS5_IjLj3EEiiiiiiiiiiiliiliiiiil
    .private_segment_fixed_size: 0
    .sgpr_count:     45
    .sgpr_spill_count: 0
    .symbol:         _ZL15flash_attn_tileILi576ELi512ELi2ELi16ELb0EEvPKcS1_S1_S1_S1_PKiPfP15HIP_vector_typeIfLj2EEffffjfiS5_IjLj3EEiiiiiiiiiiiliiliiiiil.kd
    .uniform_work_group_size: 1
    .uses_dynamic_stack: false
    .vgpr_count:     179
    .vgpr_spill_count: 0
    .wavefront_size: 32
  - .args:
      - .actual_access:  read_only
        .address_space:  global
        .offset:         0
        .size:           8
        .value_kind:     global_buffer
      - .actual_access:  write_only
        .address_space:  global
        .offset:         8
        .size:           8
        .value_kind:     global_buffer
      - .offset:         16
        .size:           4
        .value_kind:     by_value
      - .offset:         20
        .size:           4
        .value_kind:     by_value
      - .offset:         24
        .size:           4
        .value_kind:     by_value
      - .offset:         32
        .size:           4
        .value_kind:     hidden_block_count_x
      - .offset:         36
        .size:           4
        .value_kind:     hidden_block_count_y
      - .offset:         40
        .size:           4
        .value_kind:     hidden_block_count_z
      - .offset:         44
        .size:           2
        .value_kind:     hidden_group_size_x
      - .offset:         46
        .size:           2
        .value_kind:     hidden_group_size_y
      - .offset:         48
        .size:           2
        .value_kind:     hidden_group_size_z
      - .offset:         50
        .size:           2
        .value_kind:     hidden_remainder_x
      - .offset:         52
        .size:           2
        .value_kind:     hidden_remainder_y
      - .offset:         54
        .size:           2
        .value_kind:     hidden_remainder_z
      - .offset:         72
        .size:           8
        .value_kind:     hidden_global_offset_x
      - .offset:         80
        .size:           8
        .value_kind:     hidden_global_offset_y
      - .offset:         88
        .size:           8
        .value_kind:     hidden_global_offset_z
      - .offset:         96
        .size:           2
        .value_kind:     hidden_grid_dims
    .group_segment_fixed_size: 128
    .kernarg_segment_align: 8
    .kernarg_segment_size: 288
    .language:       OpenCL C
    .language_version:
      - 2
      - 0
    .max_flat_workgroup_size: 128
    .name:           _ZL25flash_attn_mask_to_KV_maxILi2EEvPK7__half2Piiii
    .private_segment_fixed_size: 0
    .sgpr_count:     17
    .sgpr_spill_count: 0
    .symbol:         _ZL25flash_attn_mask_to_KV_maxILi2EEvPK7__half2Piiii.kd
    .uniform_work_group_size: 1
    .uses_dynamic_stack: false
    .vgpr_count:     6
    .vgpr_spill_count: 0
    .wavefront_size: 32
  - .args:
      - .address_space:  global
        .offset:         0
        .size:           8
        .value_kind:     global_buffer
      - .address_space:  global
        .offset:         8
        .size:           8
        .value_kind:     global_buffer
      - .offset:         16
        .size:           4
        .value_kind:     by_value
      - .offset:         20
        .size:           4
        .value_kind:     by_value
      - .offset:         24
        .size:           4
        .value_kind:     by_value
      - .offset:         28
        .size:           4
        .value_kind:     by_value
      - .offset:         32
        .size:           4
        .value_kind:     by_value
      - .offset:         36
        .size:           4
        .value_kind:     by_value
      - .offset:         40
        .size:           12
        .value_kind:     by_value
      - .offset:         52
        .size:           12
        .value_kind:     by_value
      - .offset:         64
        .size:           12
        .value_kind:     by_value
    .group_segment_fixed_size: 0
    .kernarg_segment_align: 8
    .kernarg_segment_size: 76
    .language:       OpenCL C
    .language_version:
      - 2
      - 0
    .max_flat_workgroup_size: 512
    .name:           _ZL33flash_attn_stream_k_fixup_uniformILi512ELi2ELi16EEvPfPK15HIP_vector_typeIfLj2EEiiiiiiS1_IjLj3EES5_S5_
    .private_segment_fixed_size: 0
    .sgpr_count:     23
    .sgpr_spill_count: 0
    .symbol:         _ZL33flash_attn_stream_k_fixup_uniformILi512ELi2ELi16EEvPfPK15HIP_vector_typeIfLj2EEiiiiiiS1_IjLj3EES5_S5_.kd
    .uniform_work_group_size: 1
    .uses_dynamic_stack: false
    .vgpr_count:     12
    .vgpr_spill_count: 0
    .wavefront_size: 32
  - .args:
      - .address_space:  global
        .offset:         0
        .size:           8
        .value_kind:     global_buffer
      - .address_space:  global
        .offset:         8
        .size:           8
        .value_kind:     global_buffer
      - .offset:         16
        .size:           4
        .value_kind:     by_value
      - .offset:         20
        .size:           4
        .value_kind:     by_value
      - .offset:         24
        .size:           4
        .value_kind:     by_value
      - .offset:         28
        .size:           4
        .value_kind:     by_value
      - .offset:         32
        .size:           12
        .value_kind:     by_value
      - .offset:         44
        .size:           12
        .value_kind:     by_value
      - .offset:         56
        .size:           12
        .value_kind:     by_value
      - .offset:         68
        .size:           12
        .value_kind:     by_value
      - .offset:         80
        .size:           4
        .value_kind:     hidden_block_count_x
      - .offset:         84
        .size:           4
        .value_kind:     hidden_block_count_y
      - .offset:         88
        .size:           4
        .value_kind:     hidden_block_count_z
      - .offset:         92
        .size:           2
        .value_kind:     hidden_group_size_x
      - .offset:         94
        .size:           2
        .value_kind:     hidden_group_size_y
      - .offset:         96
        .size:           2
        .value_kind:     hidden_group_size_z
      - .offset:         98
        .size:           2
        .value_kind:     hidden_remainder_x
      - .offset:         100
        .size:           2
        .value_kind:     hidden_remainder_y
      - .offset:         102
        .size:           2
        .value_kind:     hidden_remainder_z
      - .offset:         120
        .size:           8
        .value_kind:     hidden_global_offset_x
      - .offset:         128
        .size:           8
        .value_kind:     hidden_global_offset_y
      - .offset:         136
        .size:           8
        .value_kind:     hidden_global_offset_z
      - .offset:         144
        .size:           2
        .value_kind:     hidden_grid_dims
    .group_segment_fixed_size: 0
    .kernarg_segment_align: 8
    .kernarg_segment_size: 336
    .language:       OpenCL C
    .language_version:
      - 2
      - 0
    .max_flat_workgroup_size: 512
    .name:           _ZL33flash_attn_stream_k_fixup_generalILi512ELi2ELi16EEvPfPK15HIP_vector_typeIfLj2EEiiiiS1_IjLj3EES5_S5_S5_
    .private_segment_fixed_size: 0
    .sgpr_count:     48
    .sgpr_spill_count: 0
    .symbol:         _ZL33flash_attn_stream_k_fixup_generalILi512ELi2ELi16EEvPfPK15HIP_vector_typeIfLj2EEiiiiS1_IjLj3EES5_S5_S5_.kd
    .uniform_work_group_size: 1
    .uses_dynamic_stack: false
    .vgpr_count:     12
    .vgpr_spill_count: 0
    .wavefront_size: 32
  - .args:
      - .address_space:  global
        .offset:         0
        .size:           8
        .value_kind:     global_buffer
      - .address_space:  global
        .offset:         8
        .size:           8
        .value_kind:     global_buffer
      - .address_space:  global
        .offset:         16
        .size:           8
        .value_kind:     global_buffer
      - .offset:         24
        .size:           4
        .value_kind:     by_value
      - .offset:         32
        .size:           4
        .value_kind:     hidden_block_count_x
      - .offset:         36
        .size:           4
        .value_kind:     hidden_block_count_y
      - .offset:         40
        .size:           4
        .value_kind:     hidden_block_count_z
      - .offset:         44
        .size:           2
        .value_kind:     hidden_group_size_x
      - .offset:         46
        .size:           2
        .value_kind:     hidden_group_size_y
      - .offset:         48
        .size:           2
        .value_kind:     hidden_group_size_z
      - .offset:         50
        .size:           2
        .value_kind:     hidden_remainder_x
      - .offset:         52
        .size:           2
        .value_kind:     hidden_remainder_y
      - .offset:         54
        .size:           2
        .value_kind:     hidden_remainder_z
      - .offset:         72
        .size:           8
        .value_kind:     hidden_global_offset_x
      - .offset:         80
        .size:           8
        .value_kind:     hidden_global_offset_y
      - .offset:         88
        .size:           8
        .value_kind:     hidden_global_offset_z
      - .offset:         96
        .size:           2
        .value_kind:     hidden_grid_dims
      - .offset:         152
        .size:           4
        .value_kind:     hidden_dynamic_lds_size
    .group_segment_fixed_size: 0
    .kernarg_segment_align: 8
    .kernarg_segment_size: 288
    .language:       OpenCL C
    .language_version:
      - 2
      - 0
    .max_flat_workgroup_size: 512
    .name:           _ZL26flash_attn_combine_resultsILi512EEvPKfPK15HIP_vector_typeIfLj2EEPfi
    .private_segment_fixed_size: 0
    .sgpr_count:     45
    .sgpr_spill_count: 0
    .symbol:         _ZL26flash_attn_combine_resultsILi512EEvPKfPK15HIP_vector_typeIfLj2EEPfi.kd
    .uniform_work_group_size: 1
    .uses_dynamic_stack: false
    .vgpr_count:     36
    .vgpr_spill_count: 0
    .wavefront_size: 32
  - .args:
      - .address_space:  global
        .offset:         0
        .size:           8
        .value_kind:     global_buffer
      - .address_space:  global
        .offset:         8
        .size:           8
        .value_kind:     global_buffer
      - .address_space:  global
        .offset:         16
        .size:           8
        .value_kind:     global_buffer
      - .address_space:  global
        .offset:         24
        .size:           8
        .value_kind:     global_buffer
      - .address_space:  global
        .offset:         32
        .size:           8
        .value_kind:     global_buffer
      - .address_space:  global
        .offset:         40
        .size:           8
        .value_kind:     global_buffer
      - .address_space:  global
        .offset:         48
        .size:           8
        .value_kind:     global_buffer
      - .address_space:  global
        .offset:         56
        .size:           8
        .value_kind:     global_buffer
      - .offset:         64
        .size:           4
        .value_kind:     by_value
      - .offset:         68
        .size:           4
        .value_kind:     by_value
      - .offset:         72
        .size:           4
        .value_kind:     by_value
      - .offset:         76
        .size:           4
        .value_kind:     by_value
      - .offset:         80
        .size:           4
        .value_kind:     by_value
      - .offset:         84
        .size:           4
        .value_kind:     by_value
      - .offset:         88
        .size:           4
        .value_kind:     by_value
      - .offset:         92
        .size:           12
        .value_kind:     by_value
      - .offset:         104
        .size:           4
        .value_kind:     by_value
      - .offset:         108
        .size:           4
        .value_kind:     by_value
      - .offset:         112
        .size:           4
        .value_kind:     by_value
      - .offset:         116
        .size:           4
        .value_kind:     by_value
      - .offset:         120
        .size:           4
        .value_kind:     by_value
      - .offset:         124
        .size:           4
        .value_kind:     by_value
      - .offset:         128
        .size:           4
        .value_kind:     by_value
      - .offset:         132
        .size:           4
        .value_kind:     by_value
      - .offset:         136
        .size:           4
        .value_kind:     by_value
      - .offset:         140
        .size:           4
        .value_kind:     by_value
      - .offset:         144
        .size:           4
        .value_kind:     by_value
      - .offset:         152
        .size:           8
        .value_kind:     by_value
      - .offset:         160
        .size:           4
        .value_kind:     by_value
      - .offset:         164
        .size:           4
        .value_kind:     by_value
      - .offset:         168
        .size:           8
        .value_kind:     by_value
      - .offset:         176
        .size:           4
        .value_kind:     by_value
      - .offset:         180
        .size:           4
        .value_kind:     by_value
      - .offset:         184
        .size:           4
        .value_kind:     by_value
      - .offset:         188
        .size:           4
        .value_kind:     by_value
      - .offset:         192
        .size:           4
        .value_kind:     by_value
      - .offset:         200
        .size:           8
        .value_kind:     by_value
      - .offset:         208
        .size:           4
        .value_kind:     hidden_block_count_x
      - .offset:         212
        .size:           4
        .value_kind:     hidden_block_count_y
      - .offset:         216
        .size:           4
        .value_kind:     hidden_block_count_z
      - .offset:         220
        .size:           2
        .value_kind:     hidden_group_size_x
      - .offset:         222
        .size:           2
        .value_kind:     hidden_group_size_y
      - .offset:         224
        .size:           2
        .value_kind:     hidden_group_size_z
      - .offset:         226
        .size:           2
        .value_kind:     hidden_remainder_x
      - .offset:         228
        .size:           2
        .value_kind:     hidden_remainder_y
      - .offset:         230
        .size:           2
        .value_kind:     hidden_remainder_z
      - .offset:         248
        .size:           8
        .value_kind:     hidden_global_offset_x
      - .offset:         256
        .size:           8
        .value_kind:     hidden_global_offset_y
      - .offset:         264
        .size:           8
        .value_kind:     hidden_global_offset_z
      - .offset:         272
        .size:           2
        .value_kind:     hidden_grid_dims
    .group_segment_fixed_size: 29696
    .kernarg_segment_align: 8
    .kernarg_segment_size: 464
    .language:       OpenCL C
    .language_version:
      - 2
      - 0
    .max_flat_workgroup_size: 256
    .name:           _ZL15flash_attn_tileILi576ELi512ELi1ELi16ELb0EEvPKcS1_S1_S1_S1_PKiPfP15HIP_vector_typeIfLj2EEffffjfiS5_IjLj3EEiiiiiiiiiiiliiliiiiil
    .private_segment_fixed_size: 0
    .sgpr_count:     48
    .sgpr_spill_count: 0
    .symbol:         _ZL15flash_attn_tileILi576ELi512ELi1ELi16ELb0EEvPKcS1_S1_S1_S1_PKiPfP15HIP_vector_typeIfLj2EEffffjfiS5_IjLj3EEiiiiiiiiiiiliiliiiiil.kd
    .uniform_work_group_size: 1
    .uses_dynamic_stack: false
    .vgpr_count:     87
    .vgpr_spill_count: 0
    .wavefront_size: 32
  - .args:
      - .actual_access:  read_only
        .address_space:  global
        .offset:         0
        .size:           8
        .value_kind:     global_buffer
      - .actual_access:  write_only
        .address_space:  global
        .offset:         8
        .size:           8
        .value_kind:     global_buffer
      - .offset:         16
        .size:           4
        .value_kind:     by_value
      - .offset:         20
        .size:           4
        .value_kind:     by_value
      - .offset:         24
        .size:           4
        .value_kind:     by_value
      - .offset:         32
        .size:           4
        .value_kind:     hidden_block_count_x
      - .offset:         36
        .size:           4
        .value_kind:     hidden_block_count_y
      - .offset:         40
        .size:           4
        .value_kind:     hidden_block_count_z
      - .offset:         44
        .size:           2
        .value_kind:     hidden_group_size_x
      - .offset:         46
        .size:           2
        .value_kind:     hidden_group_size_y
      - .offset:         48
        .size:           2
        .value_kind:     hidden_group_size_z
      - .offset:         50
        .size:           2
        .value_kind:     hidden_remainder_x
      - .offset:         52
        .size:           2
        .value_kind:     hidden_remainder_y
      - .offset:         54
        .size:           2
        .value_kind:     hidden_remainder_z
      - .offset:         72
        .size:           8
        .value_kind:     hidden_global_offset_x
      - .offset:         80
        .size:           8
        .value_kind:     hidden_global_offset_y
      - .offset:         88
        .size:           8
        .value_kind:     hidden_global_offset_z
      - .offset:         96
        .size:           2
        .value_kind:     hidden_grid_dims
    .group_segment_fixed_size: 128
    .kernarg_segment_align: 8
    .kernarg_segment_size: 288
    .language:       OpenCL C
    .language_version:
      - 2
      - 0
    .max_flat_workgroup_size: 128
    .name:           _ZL25flash_attn_mask_to_KV_maxILi1EEvPK7__half2Piiii
    .private_segment_fixed_size: 0
    .sgpr_count:     15
    .sgpr_spill_count: 0
    .symbol:         _ZL25flash_attn_mask_to_KV_maxILi1EEvPK7__half2Piiii.kd
    .uniform_work_group_size: 1
    .uses_dynamic_stack: false
    .vgpr_count:     5
    .vgpr_spill_count: 0
    .wavefront_size: 32
  - .args:
      - .address_space:  global
        .offset:         0
        .size:           8
        .value_kind:     global_buffer
      - .address_space:  global
        .offset:         8
        .size:           8
        .value_kind:     global_buffer
      - .offset:         16
        .size:           4
        .value_kind:     by_value
      - .offset:         20
        .size:           4
        .value_kind:     by_value
      - .offset:         24
        .size:           4
        .value_kind:     by_value
      - .offset:         28
        .size:           4
        .value_kind:     by_value
      - .offset:         32
        .size:           4
        .value_kind:     by_value
      - .offset:         36
        .size:           4
        .value_kind:     by_value
      - .offset:         40
        .size:           12
        .value_kind:     by_value
      - .offset:         52
        .size:           12
        .value_kind:     by_value
      - .offset:         64
        .size:           12
        .value_kind:     by_value
    .group_segment_fixed_size: 0
    .kernarg_segment_align: 8
    .kernarg_segment_size: 76
    .language:       OpenCL C
    .language_version:
      - 2
      - 0
    .max_flat_workgroup_size: 512
    .name:           _ZL33flash_attn_stream_k_fixup_uniformILi512ELi1ELi16EEvPfPK15HIP_vector_typeIfLj2EEiiiiiiS1_IjLj3EES5_S5_
    .private_segment_fixed_size: 0
    .sgpr_count:     23
    .sgpr_spill_count: 0
    .symbol:         _ZL33flash_attn_stream_k_fixup_uniformILi512ELi1ELi16EEvPfPK15HIP_vector_typeIfLj2EEiiiiiiS1_IjLj3EES5_S5_.kd
    .uniform_work_group_size: 1
    .uses_dynamic_stack: false
    .vgpr_count:     12
    .vgpr_spill_count: 0
    .wavefront_size: 32
  - .args:
      - .address_space:  global
        .offset:         0
        .size:           8
        .value_kind:     global_buffer
      - .address_space:  global
        .offset:         8
        .size:           8
        .value_kind:     global_buffer
      - .offset:         16
        .size:           4
        .value_kind:     by_value
      - .offset:         20
        .size:           4
        .value_kind:     by_value
      - .offset:         24
        .size:           4
        .value_kind:     by_value
      - .offset:         28
        .size:           4
        .value_kind:     by_value
      - .offset:         32
        .size:           12
        .value_kind:     by_value
      - .offset:         44
        .size:           12
        .value_kind:     by_value
      - .offset:         56
        .size:           12
        .value_kind:     by_value
      - .offset:         68
        .size:           12
        .value_kind:     by_value
      - .offset:         80
        .size:           4
        .value_kind:     hidden_block_count_x
      - .offset:         84
        .size:           4
        .value_kind:     hidden_block_count_y
      - .offset:         88
        .size:           4
        .value_kind:     hidden_block_count_z
      - .offset:         92
        .size:           2
        .value_kind:     hidden_group_size_x
      - .offset:         94
        .size:           2
        .value_kind:     hidden_group_size_y
      - .offset:         96
        .size:           2
        .value_kind:     hidden_group_size_z
      - .offset:         98
        .size:           2
        .value_kind:     hidden_remainder_x
      - .offset:         100
        .size:           2
        .value_kind:     hidden_remainder_y
      - .offset:         102
        .size:           2
        .value_kind:     hidden_remainder_z
      - .offset:         120
        .size:           8
        .value_kind:     hidden_global_offset_x
      - .offset:         128
        .size:           8
        .value_kind:     hidden_global_offset_y
      - .offset:         136
        .size:           8
        .value_kind:     hidden_global_offset_z
      - .offset:         144
        .size:           2
        .value_kind:     hidden_grid_dims
    .group_segment_fixed_size: 0
    .kernarg_segment_align: 8
    .kernarg_segment_size: 336
    .language:       OpenCL C
    .language_version:
      - 2
      - 0
    .max_flat_workgroup_size: 512
    .name:           _ZL33flash_attn_stream_k_fixup_generalILi512ELi1ELi16EEvPfPK15HIP_vector_typeIfLj2EEiiiiS1_IjLj3EES5_S5_S5_
    .private_segment_fixed_size: 0
    .sgpr_count:     48
    .sgpr_spill_count: 0
    .symbol:         _ZL33flash_attn_stream_k_fixup_generalILi512ELi1ELi16EEvPfPK15HIP_vector_typeIfLj2EEiiiiS1_IjLj3EES5_S5_S5_.kd
    .uniform_work_group_size: 1
    .uses_dynamic_stack: false
    .vgpr_count:     12
    .vgpr_spill_count: 0
    .wavefront_size: 32
  - .args:
      - .address_space:  global
        .offset:         0
        .size:           8
        .value_kind:     global_buffer
      - .address_space:  global
        .offset:         8
        .size:           8
        .value_kind:     global_buffer
      - .address_space:  global
        .offset:         16
        .size:           8
        .value_kind:     global_buffer
      - .address_space:  global
        .offset:         24
        .size:           8
        .value_kind:     global_buffer
      - .address_space:  global
        .offset:         32
        .size:           8
        .value_kind:     global_buffer
      - .address_space:  global
        .offset:         40
        .size:           8
        .value_kind:     global_buffer
      - .address_space:  global
        .offset:         48
        .size:           8
        .value_kind:     global_buffer
      - .address_space:  global
        .offset:         56
        .size:           8
        .value_kind:     global_buffer
      - .offset:         64
        .size:           4
        .value_kind:     by_value
      - .offset:         68
        .size:           4
        .value_kind:     by_value
      - .offset:         72
        .size:           4
        .value_kind:     by_value
      - .offset:         76
        .size:           4
        .value_kind:     by_value
      - .offset:         80
        .size:           4
        .value_kind:     by_value
      - .offset:         84
        .size:           4
        .value_kind:     by_value
      - .offset:         88
        .size:           4
        .value_kind:     by_value
      - .offset:         92
        .size:           12
        .value_kind:     by_value
      - .offset:         104
        .size:           4
        .value_kind:     by_value
      - .offset:         108
        .size:           4
        .value_kind:     by_value
      - .offset:         112
        .size:           4
        .value_kind:     by_value
      - .offset:         116
        .size:           4
        .value_kind:     by_value
      - .offset:         120
        .size:           4
        .value_kind:     by_value
      - .offset:         124
        .size:           4
        .value_kind:     by_value
      - .offset:         128
        .size:           4
        .value_kind:     by_value
      - .offset:         132
        .size:           4
        .value_kind:     by_value
      - .offset:         136
        .size:           4
        .value_kind:     by_value
      - .offset:         140
        .size:           4
        .value_kind:     by_value
      - .offset:         144
        .size:           4
        .value_kind:     by_value
      - .offset:         152
        .size:           8
        .value_kind:     by_value
      - .offset:         160
        .size:           4
        .value_kind:     by_value
      - .offset:         164
        .size:           4
        .value_kind:     by_value
      - .offset:         168
        .size:           8
        .value_kind:     by_value
      - .offset:         176
        .size:           4
        .value_kind:     by_value
      - .offset:         180
        .size:           4
        .value_kind:     by_value
      - .offset:         184
        .size:           4
        .value_kind:     by_value
      - .offset:         188
        .size:           4
        .value_kind:     by_value
      - .offset:         192
        .size:           4
        .value_kind:     by_value
      - .offset:         200
        .size:           8
        .value_kind:     by_value
      - .offset:         208
        .size:           4
        .value_kind:     hidden_block_count_x
      - .offset:         212
        .size:           4
        .value_kind:     hidden_block_count_y
      - .offset:         216
        .size:           4
        .value_kind:     hidden_block_count_z
      - .offset:         220
        .size:           2
        .value_kind:     hidden_group_size_x
      - .offset:         222
        .size:           2
        .value_kind:     hidden_group_size_y
      - .offset:         224
        .size:           2
        .value_kind:     hidden_group_size_z
      - .offset:         226
        .size:           2
        .value_kind:     hidden_remainder_x
      - .offset:         228
        .size:           2
        .value_kind:     hidden_remainder_y
      - .offset:         230
        .size:           2
        .value_kind:     hidden_remainder_z
      - .offset:         248
        .size:           8
        .value_kind:     hidden_global_offset_x
      - .offset:         256
        .size:           8
        .value_kind:     hidden_global_offset_y
      - .offset:         264
        .size:           8
        .value_kind:     hidden_global_offset_z
      - .offset:         272
        .size:           2
        .value_kind:     hidden_grid_dims
    .group_segment_fixed_size: 63488
    .kernarg_segment_align: 8
    .kernarg_segment_size: 464
    .language:       OpenCL C
    .language_version:
      - 2
      - 0
    .max_flat_workgroup_size: 256
    .name:           _ZL15flash_attn_tileILi576ELi512ELi8ELi4ELb0EEvPKcS1_S1_S1_S1_PKiPfP15HIP_vector_typeIfLj2EEffffjfiS5_IjLj3EEiiiiiiiiiiiliiliiiiil
    .private_segment_fixed_size: 0
    .sgpr_count:     44
    .sgpr_spill_count: 0
    .symbol:         _ZL15flash_attn_tileILi576ELi512ELi8ELi4ELb0EEvPKcS1_S1_S1_S1_PKiPfP15HIP_vector_typeIfLj2EEffffjfiS5_IjLj3EEiiiiiiiiiiiliiliiiiil.kd
    .uniform_work_group_size: 1
    .uses_dynamic_stack: false
    .vgpr_count:     158
    .vgpr_spill_count: 0
    .wavefront_size: 32
  - .args:
      - .actual_access:  read_only
        .address_space:  global
        .offset:         0
        .size:           8
        .value_kind:     global_buffer
      - .actual_access:  write_only
        .address_space:  global
        .offset:         8
        .size:           8
        .value_kind:     global_buffer
      - .offset:         16
        .size:           4
        .value_kind:     by_value
      - .offset:         20
        .size:           4
        .value_kind:     by_value
      - .offset:         24
        .size:           4
        .value_kind:     by_value
      - .offset:         32
        .size:           4
        .value_kind:     hidden_block_count_x
      - .offset:         36
        .size:           4
        .value_kind:     hidden_block_count_y
      - .offset:         40
        .size:           4
        .value_kind:     hidden_block_count_z
      - .offset:         44
        .size:           2
        .value_kind:     hidden_group_size_x
      - .offset:         46
        .size:           2
        .value_kind:     hidden_group_size_y
      - .offset:         48
        .size:           2
        .value_kind:     hidden_group_size_z
      - .offset:         50
        .size:           2
        .value_kind:     hidden_remainder_x
      - .offset:         52
        .size:           2
        .value_kind:     hidden_remainder_y
      - .offset:         54
        .size:           2
        .value_kind:     hidden_remainder_z
      - .offset:         72
        .size:           8
        .value_kind:     hidden_global_offset_x
      - .offset:         80
        .size:           8
        .value_kind:     hidden_global_offset_y
      - .offset:         88
        .size:           8
        .value_kind:     hidden_global_offset_z
      - .offset:         96
        .size:           2
        .value_kind:     hidden_grid_dims
    .group_segment_fixed_size: 128
    .kernarg_segment_align: 8
    .kernarg_segment_size: 288
    .language:       OpenCL C
    .language_version:
      - 2
      - 0
    .max_flat_workgroup_size: 128
    .name:           _ZL25flash_attn_mask_to_KV_maxILi8EEvPK7__half2Piiii
    .private_segment_fixed_size: 0
    .sgpr_count:     29
    .sgpr_spill_count: 0
    .symbol:         _ZL25flash_attn_mask_to_KV_maxILi8EEvPK7__half2Piiii.kd
    .uniform_work_group_size: 1
    .uses_dynamic_stack: false
    .vgpr_count:     6
    .vgpr_spill_count: 0
    .wavefront_size: 32
  - .args:
      - .address_space:  global
        .offset:         0
        .size:           8
        .value_kind:     global_buffer
      - .address_space:  global
        .offset:         8
        .size:           8
        .value_kind:     global_buffer
      - .offset:         16
        .size:           4
        .value_kind:     by_value
      - .offset:         20
        .size:           4
        .value_kind:     by_value
      - .offset:         24
        .size:           4
        .value_kind:     by_value
      - .offset:         28
        .size:           4
        .value_kind:     by_value
      - .offset:         32
        .size:           4
        .value_kind:     by_value
      - .offset:         36
        .size:           4
        .value_kind:     by_value
      - .offset:         40
        .size:           12
        .value_kind:     by_value
      - .offset:         52
        .size:           12
        .value_kind:     by_value
      - .offset:         64
        .size:           12
        .value_kind:     by_value
    .group_segment_fixed_size: 0
    .kernarg_segment_align: 8
    .kernarg_segment_size: 76
    .language:       OpenCL C
    .language_version:
      - 2
      - 0
    .max_flat_workgroup_size: 512
    .name:           _ZL33flash_attn_stream_k_fixup_uniformILi512ELi8ELi4EEvPfPK15HIP_vector_typeIfLj2EEiiiiiiS1_IjLj3EES5_S5_
    .private_segment_fixed_size: 0
    .sgpr_count:     23
    .sgpr_spill_count: 0
    .symbol:         _ZL33flash_attn_stream_k_fixup_uniformILi512ELi8ELi4EEvPfPK15HIP_vector_typeIfLj2EEiiiiiiS1_IjLj3EES5_S5_.kd
    .uniform_work_group_size: 1
    .uses_dynamic_stack: false
    .vgpr_count:     12
    .vgpr_spill_count: 0
    .wavefront_size: 32
  - .args:
      - .address_space:  global
        .offset:         0
        .size:           8
        .value_kind:     global_buffer
      - .address_space:  global
        .offset:         8
        .size:           8
        .value_kind:     global_buffer
      - .offset:         16
        .size:           4
        .value_kind:     by_value
      - .offset:         20
        .size:           4
        .value_kind:     by_value
      - .offset:         24
        .size:           4
        .value_kind:     by_value
      - .offset:         28
        .size:           4
        .value_kind:     by_value
      - .offset:         32
        .size:           12
        .value_kind:     by_value
      - .offset:         44
        .size:           12
        .value_kind:     by_value
      - .offset:         56
        .size:           12
        .value_kind:     by_value
      - .offset:         68
        .size:           12
        .value_kind:     by_value
      - .offset:         80
        .size:           4
        .value_kind:     hidden_block_count_x
      - .offset:         84
        .size:           4
        .value_kind:     hidden_block_count_y
      - .offset:         88
        .size:           4
        .value_kind:     hidden_block_count_z
      - .offset:         92
        .size:           2
        .value_kind:     hidden_group_size_x
      - .offset:         94
        .size:           2
        .value_kind:     hidden_group_size_y
      - .offset:         96
        .size:           2
        .value_kind:     hidden_group_size_z
      - .offset:         98
        .size:           2
        .value_kind:     hidden_remainder_x
      - .offset:         100
        .size:           2
        .value_kind:     hidden_remainder_y
      - .offset:         102
        .size:           2
        .value_kind:     hidden_remainder_z
      - .offset:         120
        .size:           8
        .value_kind:     hidden_global_offset_x
      - .offset:         128
        .size:           8
        .value_kind:     hidden_global_offset_y
      - .offset:         136
        .size:           8
        .value_kind:     hidden_global_offset_z
      - .offset:         144
        .size:           2
        .value_kind:     hidden_grid_dims
    .group_segment_fixed_size: 0
    .kernarg_segment_align: 8
    .kernarg_segment_size: 336
    .language:       OpenCL C
    .language_version:
      - 2
      - 0
    .max_flat_workgroup_size: 512
    .name:           _ZL33flash_attn_stream_k_fixup_generalILi512ELi8ELi4EEvPfPK15HIP_vector_typeIfLj2EEiiiiS1_IjLj3EES5_S5_S5_
    .private_segment_fixed_size: 0
    .sgpr_count:     48
    .sgpr_spill_count: 0
    .symbol:         _ZL33flash_attn_stream_k_fixup_generalILi512ELi8ELi4EEvPfPK15HIP_vector_typeIfLj2EEiiiiS1_IjLj3EES5_S5_S5_.kd
    .uniform_work_group_size: 1
    .uses_dynamic_stack: false
    .vgpr_count:     12
    .vgpr_spill_count: 0
    .wavefront_size: 32
  - .args:
      - .address_space:  global
        .offset:         0
        .size:           8
        .value_kind:     global_buffer
      - .address_space:  global
        .offset:         8
        .size:           8
        .value_kind:     global_buffer
      - .address_space:  global
        .offset:         16
        .size:           8
        .value_kind:     global_buffer
      - .address_space:  global
        .offset:         24
        .size:           8
        .value_kind:     global_buffer
      - .address_space:  global
        .offset:         32
        .size:           8
        .value_kind:     global_buffer
      - .address_space:  global
        .offset:         40
        .size:           8
        .value_kind:     global_buffer
      - .address_space:  global
        .offset:         48
        .size:           8
        .value_kind:     global_buffer
      - .address_space:  global
        .offset:         56
        .size:           8
        .value_kind:     global_buffer
      - .offset:         64
        .size:           4
        .value_kind:     by_value
      - .offset:         68
        .size:           4
        .value_kind:     by_value
      - .offset:         72
        .size:           4
        .value_kind:     by_value
      - .offset:         76
        .size:           4
        .value_kind:     by_value
      - .offset:         80
        .size:           4
        .value_kind:     by_value
      - .offset:         84
        .size:           4
        .value_kind:     by_value
      - .offset:         88
        .size:           4
        .value_kind:     by_value
      - .offset:         92
        .size:           12
        .value_kind:     by_value
      - .offset:         104
        .size:           4
        .value_kind:     by_value
      - .offset:         108
        .size:           4
        .value_kind:     by_value
      - .offset:         112
        .size:           4
        .value_kind:     by_value
      - .offset:         116
        .size:           4
        .value_kind:     by_value
      - .offset:         120
        .size:           4
        .value_kind:     by_value
      - .offset:         124
        .size:           4
        .value_kind:     by_value
      - .offset:         128
        .size:           4
        .value_kind:     by_value
      - .offset:         132
        .size:           4
        .value_kind:     by_value
      - .offset:         136
        .size:           4
        .value_kind:     by_value
      - .offset:         140
        .size:           4
        .value_kind:     by_value
      - .offset:         144
        .size:           4
        .value_kind:     by_value
      - .offset:         152
        .size:           8
        .value_kind:     by_value
      - .offset:         160
        .size:           4
        .value_kind:     by_value
      - .offset:         164
        .size:           4
        .value_kind:     by_value
      - .offset:         168
        .size:           8
        .value_kind:     by_value
      - .offset:         176
        .size:           4
        .value_kind:     by_value
      - .offset:         180
        .size:           4
        .value_kind:     by_value
      - .offset:         184
        .size:           4
        .value_kind:     by_value
      - .offset:         188
        .size:           4
        .value_kind:     by_value
      - .offset:         192
        .size:           4
        .value_kind:     by_value
      - .offset:         200
        .size:           8
        .value_kind:     by_value
      - .offset:         208
        .size:           4
        .value_kind:     hidden_block_count_x
      - .offset:         212
        .size:           4
        .value_kind:     hidden_block_count_y
      - .offset:         216
        .size:           4
        .value_kind:     hidden_block_count_z
      - .offset:         220
        .size:           2
        .value_kind:     hidden_group_size_x
      - .offset:         222
        .size:           2
        .value_kind:     hidden_group_size_y
      - .offset:         224
        .size:           2
        .value_kind:     hidden_group_size_z
      - .offset:         226
        .size:           2
        .value_kind:     hidden_remainder_x
      - .offset:         228
        .size:           2
        .value_kind:     hidden_remainder_y
      - .offset:         230
        .size:           2
        .value_kind:     hidden_remainder_z
      - .offset:         248
        .size:           8
        .value_kind:     hidden_global_offset_x
      - .offset:         256
        .size:           8
        .value_kind:     hidden_global_offset_y
      - .offset:         264
        .size:           8
        .value_kind:     hidden_global_offset_z
      - .offset:         272
        .size:           2
        .value_kind:     hidden_grid_dims
    .group_segment_fixed_size: 29696
    .kernarg_segment_align: 8
    .kernarg_segment_size: 464
    .language:       OpenCL C
    .language_version:
      - 2
      - 0
    .max_flat_workgroup_size: 256
    .name:           _ZL15flash_attn_tileILi576ELi512ELi4ELi4ELb0EEvPKcS1_S1_S1_S1_PKiPfP15HIP_vector_typeIfLj2EEffffjfiS5_IjLj3EEiiiiiiiiiiiliiliiiiil
    .private_segment_fixed_size: 0
    .sgpr_count:     48
    .sgpr_spill_count: 0
    .symbol:         _ZL15flash_attn_tileILi576ELi512ELi4ELi4ELb0EEvPKcS1_S1_S1_S1_PKiPfP15HIP_vector_typeIfLj2EEffffjfiS5_IjLj3EEiiiiiiiiiiiliiliiiiil.kd
    .uniform_work_group_size: 1
    .uses_dynamic_stack: false
    .vgpr_count:     87
    .vgpr_spill_count: 0
    .wavefront_size: 32
  - .args:
      - .actual_access:  read_only
        .address_space:  global
        .offset:         0
        .size:           8
        .value_kind:     global_buffer
      - .actual_access:  write_only
        .address_space:  global
        .offset:         8
        .size:           8
        .value_kind:     global_buffer
      - .offset:         16
        .size:           4
        .value_kind:     by_value
      - .offset:         20
        .size:           4
        .value_kind:     by_value
      - .offset:         24
        .size:           4
        .value_kind:     by_value
      - .offset:         32
        .size:           4
        .value_kind:     hidden_block_count_x
      - .offset:         36
        .size:           4
        .value_kind:     hidden_block_count_y
      - .offset:         40
        .size:           4
        .value_kind:     hidden_block_count_z
      - .offset:         44
        .size:           2
        .value_kind:     hidden_group_size_x
      - .offset:         46
        .size:           2
        .value_kind:     hidden_group_size_y
      - .offset:         48
        .size:           2
        .value_kind:     hidden_group_size_z
      - .offset:         50
        .size:           2
        .value_kind:     hidden_remainder_x
      - .offset:         52
        .size:           2
        .value_kind:     hidden_remainder_y
      - .offset:         54
        .size:           2
        .value_kind:     hidden_remainder_z
      - .offset:         72
        .size:           8
        .value_kind:     hidden_global_offset_x
      - .offset:         80
        .size:           8
        .value_kind:     hidden_global_offset_y
      - .offset:         88
        .size:           8
        .value_kind:     hidden_global_offset_z
      - .offset:         96
        .size:           2
        .value_kind:     hidden_grid_dims
    .group_segment_fixed_size: 128
    .kernarg_segment_align: 8
    .kernarg_segment_size: 288
    .language:       OpenCL C
    .language_version:
      - 2
      - 0
    .max_flat_workgroup_size: 128
    .name:           _ZL25flash_attn_mask_to_KV_maxILi4EEvPK7__half2Piiii
    .private_segment_fixed_size: 0
    .sgpr_count:     21
    .sgpr_spill_count: 0
    .symbol:         _ZL25flash_attn_mask_to_KV_maxILi4EEvPK7__half2Piiii.kd
    .uniform_work_group_size: 1
    .uses_dynamic_stack: false
    .vgpr_count:     6
    .vgpr_spill_count: 0
    .wavefront_size: 32
  - .args:
      - .address_space:  global
        .offset:         0
        .size:           8
        .value_kind:     global_buffer
      - .address_space:  global
        .offset:         8
        .size:           8
        .value_kind:     global_buffer
      - .offset:         16
        .size:           4
        .value_kind:     by_value
      - .offset:         20
        .size:           4
        .value_kind:     by_value
      - .offset:         24
        .size:           4
        .value_kind:     by_value
      - .offset:         28
        .size:           4
        .value_kind:     by_value
      - .offset:         32
        .size:           4
        .value_kind:     by_value
      - .offset:         36
        .size:           4
        .value_kind:     by_value
      - .offset:         40
        .size:           12
        .value_kind:     by_value
      - .offset:         52
        .size:           12
        .value_kind:     by_value
      - .offset:         64
        .size:           12
        .value_kind:     by_value
    .group_segment_fixed_size: 0
    .kernarg_segment_align: 8
    .kernarg_segment_size: 76
    .language:       OpenCL C
    .language_version:
      - 2
      - 0
    .max_flat_workgroup_size: 512
    .name:           _ZL33flash_attn_stream_k_fixup_uniformILi512ELi4ELi4EEvPfPK15HIP_vector_typeIfLj2EEiiiiiiS1_IjLj3EES5_S5_
    .private_segment_fixed_size: 0
    .sgpr_count:     23
    .sgpr_spill_count: 0
    .symbol:         _ZL33flash_attn_stream_k_fixup_uniformILi512ELi4ELi4EEvPfPK15HIP_vector_typeIfLj2EEiiiiiiS1_IjLj3EES5_S5_.kd
    .uniform_work_group_size: 1
    .uses_dynamic_stack: false
    .vgpr_count:     12
    .vgpr_spill_count: 0
    .wavefront_size: 32
  - .args:
      - .address_space:  global
        .offset:         0
        .size:           8
        .value_kind:     global_buffer
      - .address_space:  global
        .offset:         8
        .size:           8
        .value_kind:     global_buffer
      - .offset:         16
        .size:           4
        .value_kind:     by_value
      - .offset:         20
        .size:           4
        .value_kind:     by_value
      - .offset:         24
        .size:           4
        .value_kind:     by_value
      - .offset:         28
        .size:           4
        .value_kind:     by_value
      - .offset:         32
        .size:           12
        .value_kind:     by_value
      - .offset:         44
        .size:           12
        .value_kind:     by_value
      - .offset:         56
        .size:           12
        .value_kind:     by_value
      - .offset:         68
        .size:           12
        .value_kind:     by_value
      - .offset:         80
        .size:           4
        .value_kind:     hidden_block_count_x
      - .offset:         84
        .size:           4
        .value_kind:     hidden_block_count_y
      - .offset:         88
        .size:           4
        .value_kind:     hidden_block_count_z
      - .offset:         92
        .size:           2
        .value_kind:     hidden_group_size_x
      - .offset:         94
        .size:           2
        .value_kind:     hidden_group_size_y
      - .offset:         96
        .size:           2
        .value_kind:     hidden_group_size_z
      - .offset:         98
        .size:           2
        .value_kind:     hidden_remainder_x
      - .offset:         100
        .size:           2
        .value_kind:     hidden_remainder_y
      - .offset:         102
        .size:           2
        .value_kind:     hidden_remainder_z
      - .offset:         120
        .size:           8
        .value_kind:     hidden_global_offset_x
      - .offset:         128
        .size:           8
        .value_kind:     hidden_global_offset_y
      - .offset:         136
        .size:           8
        .value_kind:     hidden_global_offset_z
      - .offset:         144
        .size:           2
        .value_kind:     hidden_grid_dims
    .group_segment_fixed_size: 0
    .kernarg_segment_align: 8
    .kernarg_segment_size: 336
    .language:       OpenCL C
    .language_version:
      - 2
      - 0
    .max_flat_workgroup_size: 512
    .name:           _ZL33flash_attn_stream_k_fixup_generalILi512ELi4ELi4EEvPfPK15HIP_vector_typeIfLj2EEiiiiS1_IjLj3EES5_S5_S5_
    .private_segment_fixed_size: 0
    .sgpr_count:     48
    .sgpr_spill_count: 0
    .symbol:         _ZL33flash_attn_stream_k_fixup_generalILi512ELi4ELi4EEvPfPK15HIP_vector_typeIfLj2EEiiiiS1_IjLj3EES5_S5_S5_.kd
    .uniform_work_group_size: 1
    .uses_dynamic_stack: false
    .vgpr_count:     12
    .vgpr_spill_count: 0
    .wavefront_size: 32
  - .args:
      - .address_space:  global
        .offset:         0
        .size:           8
        .value_kind:     global_buffer
      - .address_space:  global
        .offset:         8
        .size:           8
        .value_kind:     global_buffer
      - .address_space:  global
        .offset:         16
        .size:           8
        .value_kind:     global_buffer
      - .address_space:  global
        .offset:         24
        .size:           8
        .value_kind:     global_buffer
      - .address_space:  global
        .offset:         32
        .size:           8
        .value_kind:     global_buffer
      - .address_space:  global
        .offset:         40
        .size:           8
        .value_kind:     global_buffer
      - .address_space:  global
        .offset:         48
        .size:           8
        .value_kind:     global_buffer
      - .address_space:  global
        .offset:         56
        .size:           8
        .value_kind:     global_buffer
      - .offset:         64
        .size:           4
        .value_kind:     by_value
      - .offset:         68
        .size:           4
        .value_kind:     by_value
      - .offset:         72
        .size:           4
        .value_kind:     by_value
      - .offset:         76
        .size:           4
        .value_kind:     by_value
      - .offset:         80
        .size:           4
        .value_kind:     by_value
      - .offset:         84
        .size:           4
        .value_kind:     by_value
      - .offset:         88
        .size:           4
        .value_kind:     by_value
      - .offset:         92
        .size:           12
        .value_kind:     by_value
      - .offset:         104
        .size:           4
        .value_kind:     by_value
      - .offset:         108
        .size:           4
        .value_kind:     by_value
      - .offset:         112
        .size:           4
        .value_kind:     by_value
      - .offset:         116
        .size:           4
        .value_kind:     by_value
      - .offset:         120
        .size:           4
        .value_kind:     by_value
      - .offset:         124
        .size:           4
        .value_kind:     by_value
      - .offset:         128
        .size:           4
        .value_kind:     by_value
      - .offset:         132
        .size:           4
        .value_kind:     by_value
      - .offset:         136
        .size:           4
        .value_kind:     by_value
      - .offset:         140
        .size:           4
        .value_kind:     by_value
      - .offset:         144
        .size:           4
        .value_kind:     by_value
      - .offset:         152
        .size:           8
        .value_kind:     by_value
      - .offset:         160
        .size:           4
        .value_kind:     by_value
      - .offset:         164
        .size:           4
        .value_kind:     by_value
      - .offset:         168
        .size:           8
        .value_kind:     by_value
      - .offset:         176
        .size:           4
        .value_kind:     by_value
      - .offset:         180
        .size:           4
        .value_kind:     by_value
      - .offset:         184
        .size:           4
        .value_kind:     by_value
      - .offset:         188
        .size:           4
        .value_kind:     by_value
      - .offset:         192
        .size:           4
        .value_kind:     by_value
      - .offset:         200
        .size:           8
        .value_kind:     by_value
      - .offset:         208
        .size:           4
        .value_kind:     hidden_block_count_x
      - .offset:         212
        .size:           4
        .value_kind:     hidden_block_count_y
      - .offset:         216
        .size:           4
        .value_kind:     hidden_block_count_z
      - .offset:         220
        .size:           2
        .value_kind:     hidden_group_size_x
      - .offset:         222
        .size:           2
        .value_kind:     hidden_group_size_y
      - .offset:         224
        .size:           2
        .value_kind:     hidden_group_size_z
      - .offset:         226
        .size:           2
        .value_kind:     hidden_remainder_x
      - .offset:         228
        .size:           2
        .value_kind:     hidden_remainder_y
      - .offset:         230
        .size:           2
        .value_kind:     hidden_remainder_z
      - .offset:         248
        .size:           8
        .value_kind:     hidden_global_offset_x
      - .offset:         256
        .size:           8
        .value_kind:     hidden_global_offset_y
      - .offset:         264
        .size:           8
        .value_kind:     hidden_global_offset_z
      - .offset:         272
        .size:           2
        .value_kind:     hidden_grid_dims
    .group_segment_fixed_size: 19456
    .kernarg_segment_align: 8
    .kernarg_segment_size: 464
    .language:       OpenCL C
    .language_version:
      - 2
      - 0
    .max_flat_workgroup_size: 256
    .name:           _ZL15flash_attn_tileILi576ELi512ELi2ELi4ELb0EEvPKcS1_S1_S1_S1_PKiPfP15HIP_vector_typeIfLj2EEffffjfiS5_IjLj3EEiiiiiiiiiiiliiliiiiil
    .private_segment_fixed_size: 0
    .sgpr_count:     48
    .sgpr_spill_count: 0
    .symbol:         _ZL15flash_attn_tileILi576ELi512ELi2ELi4ELb0EEvPKcS1_S1_S1_S1_PKiPfP15HIP_vector_typeIfLj2EEffffjfiS5_IjLj3EEiiiiiiiiiiiliiliiiiil.kd
    .uniform_work_group_size: 1
    .uses_dynamic_stack: false
    .vgpr_count:     69
    .vgpr_spill_count: 0
    .wavefront_size: 32
  - .args:
      - .address_space:  global
        .offset:         0
        .size:           8
        .value_kind:     global_buffer
      - .address_space:  global
        .offset:         8
        .size:           8
        .value_kind:     global_buffer
      - .offset:         16
        .size:           4
        .value_kind:     by_value
      - .offset:         20
        .size:           4
        .value_kind:     by_value
      - .offset:         24
        .size:           4
        .value_kind:     by_value
      - .offset:         28
        .size:           4
        .value_kind:     by_value
      - .offset:         32
        .size:           4
        .value_kind:     by_value
      - .offset:         36
        .size:           4
        .value_kind:     by_value
      - .offset:         40
        .size:           12
        .value_kind:     by_value
      - .offset:         52
        .size:           12
        .value_kind:     by_value
      - .offset:         64
        .size:           12
        .value_kind:     by_value
    .group_segment_fixed_size: 0
    .kernarg_segment_align: 8
    .kernarg_segment_size: 76
    .language:       OpenCL C
    .language_version:
      - 2
      - 0
    .max_flat_workgroup_size: 512
    .name:           _ZL33flash_attn_stream_k_fixup_uniformILi512ELi2ELi4EEvPfPK15HIP_vector_typeIfLj2EEiiiiiiS1_IjLj3EES5_S5_
    .private_segment_fixed_size: 0
    .sgpr_count:     23
    .sgpr_spill_count: 0
    .symbol:         _ZL33flash_attn_stream_k_fixup_uniformILi512ELi2ELi4EEvPfPK15HIP_vector_typeIfLj2EEiiiiiiS1_IjLj3EES5_S5_.kd
    .uniform_work_group_size: 1
    .uses_dynamic_stack: false
    .vgpr_count:     12
    .vgpr_spill_count: 0
    .wavefront_size: 32
  - .args:
      - .address_space:  global
        .offset:         0
        .size:           8
        .value_kind:     global_buffer
      - .address_space:  global
        .offset:         8
        .size:           8
        .value_kind:     global_buffer
      - .offset:         16
        .size:           4
        .value_kind:     by_value
      - .offset:         20
        .size:           4
        .value_kind:     by_value
      - .offset:         24
        .size:           4
        .value_kind:     by_value
      - .offset:         28
        .size:           4
        .value_kind:     by_value
      - .offset:         32
        .size:           12
        .value_kind:     by_value
      - .offset:         44
        .size:           12
        .value_kind:     by_value
      - .offset:         56
        .size:           12
        .value_kind:     by_value
      - .offset:         68
        .size:           12
        .value_kind:     by_value
      - .offset:         80
        .size:           4
        .value_kind:     hidden_block_count_x
      - .offset:         84
        .size:           4
        .value_kind:     hidden_block_count_y
      - .offset:         88
        .size:           4
        .value_kind:     hidden_block_count_z
      - .offset:         92
        .size:           2
        .value_kind:     hidden_group_size_x
      - .offset:         94
        .size:           2
        .value_kind:     hidden_group_size_y
      - .offset:         96
        .size:           2
        .value_kind:     hidden_group_size_z
      - .offset:         98
        .size:           2
        .value_kind:     hidden_remainder_x
      - .offset:         100
        .size:           2
        .value_kind:     hidden_remainder_y
      - .offset:         102
        .size:           2
        .value_kind:     hidden_remainder_z
      - .offset:         120
        .size:           8
        .value_kind:     hidden_global_offset_x
      - .offset:         128
        .size:           8
        .value_kind:     hidden_global_offset_y
      - .offset:         136
        .size:           8
        .value_kind:     hidden_global_offset_z
      - .offset:         144
        .size:           2
        .value_kind:     hidden_grid_dims
    .group_segment_fixed_size: 0
    .kernarg_segment_align: 8
    .kernarg_segment_size: 336
    .language:       OpenCL C
    .language_version:
      - 2
      - 0
    .max_flat_workgroup_size: 512
    .name:           _ZL33flash_attn_stream_k_fixup_generalILi512ELi2ELi4EEvPfPK15HIP_vector_typeIfLj2EEiiiiS1_IjLj3EES5_S5_S5_
    .private_segment_fixed_size: 0
    .sgpr_count:     48
    .sgpr_spill_count: 0
    .symbol:         _ZL33flash_attn_stream_k_fixup_generalILi512ELi2ELi4EEvPfPK15HIP_vector_typeIfLj2EEiiiiS1_IjLj3EES5_S5_S5_.kd
    .uniform_work_group_size: 1
    .uses_dynamic_stack: false
    .vgpr_count:     12
    .vgpr_spill_count: 0
    .wavefront_size: 32
  - .args:
      - .address_space:  global
        .offset:         0
        .size:           8
        .value_kind:     global_buffer
      - .address_space:  global
        .offset:         8
        .size:           8
        .value_kind:     global_buffer
      - .address_space:  global
        .offset:         16
        .size:           8
        .value_kind:     global_buffer
      - .address_space:  global
        .offset:         24
        .size:           8
        .value_kind:     global_buffer
      - .address_space:  global
        .offset:         32
        .size:           8
        .value_kind:     global_buffer
      - .address_space:  global
        .offset:         40
        .size:           8
        .value_kind:     global_buffer
      - .address_space:  global
        .offset:         48
        .size:           8
        .value_kind:     global_buffer
      - .address_space:  global
        .offset:         56
        .size:           8
        .value_kind:     global_buffer
      - .offset:         64
        .size:           4
        .value_kind:     by_value
      - .offset:         68
        .size:           4
        .value_kind:     by_value
      - .offset:         72
        .size:           4
        .value_kind:     by_value
      - .offset:         76
        .size:           4
        .value_kind:     by_value
      - .offset:         80
        .size:           4
        .value_kind:     by_value
      - .offset:         84
        .size:           4
        .value_kind:     by_value
      - .offset:         88
        .size:           4
        .value_kind:     by_value
      - .offset:         92
        .size:           12
        .value_kind:     by_value
      - .offset:         104
        .size:           4
        .value_kind:     by_value
      - .offset:         108
        .size:           4
        .value_kind:     by_value
      - .offset:         112
        .size:           4
        .value_kind:     by_value
      - .offset:         116
        .size:           4
        .value_kind:     by_value
      - .offset:         120
        .size:           4
        .value_kind:     by_value
      - .offset:         124
        .size:           4
        .value_kind:     by_value
      - .offset:         128
        .size:           4
        .value_kind:     by_value
      - .offset:         132
        .size:           4
        .value_kind:     by_value
      - .offset:         136
        .size:           4
        .value_kind:     by_value
      - .offset:         140
        .size:           4
        .value_kind:     by_value
      - .offset:         144
        .size:           4
        .value_kind:     by_value
      - .offset:         152
        .size:           8
        .value_kind:     by_value
      - .offset:         160
        .size:           4
        .value_kind:     by_value
      - .offset:         164
        .size:           4
        .value_kind:     by_value
      - .offset:         168
        .size:           8
        .value_kind:     by_value
      - .offset:         176
        .size:           4
        .value_kind:     by_value
      - .offset:         180
        .size:           4
        .value_kind:     by_value
      - .offset:         184
        .size:           4
        .value_kind:     by_value
      - .offset:         188
        .size:           4
        .value_kind:     by_value
      - .offset:         192
        .size:           4
        .value_kind:     by_value
      - .offset:         200
        .size:           8
        .value_kind:     by_value
      - .offset:         208
        .size:           4
        .value_kind:     hidden_block_count_x
      - .offset:         212
        .size:           4
        .value_kind:     hidden_block_count_y
      - .offset:         216
        .size:           4
        .value_kind:     hidden_block_count_z
      - .offset:         220
        .size:           2
        .value_kind:     hidden_group_size_x
      - .offset:         222
        .size:           2
        .value_kind:     hidden_group_size_y
      - .offset:         224
        .size:           2
        .value_kind:     hidden_group_size_z
      - .offset:         226
        .size:           2
        .value_kind:     hidden_remainder_x
      - .offset:         228
        .size:           2
        .value_kind:     hidden_remainder_y
      - .offset:         230
        .size:           2
        .value_kind:     hidden_remainder_z
      - .offset:         248
        .size:           8
        .value_kind:     hidden_global_offset_x
      - .offset:         256
        .size:           8
        .value_kind:     hidden_global_offset_y
      - .offset:         264
        .size:           8
        .value_kind:     hidden_global_offset_z
      - .offset:         272
        .size:           2
        .value_kind:     hidden_grid_dims
    .group_segment_fixed_size: 14336
    .kernarg_segment_align: 8
    .kernarg_segment_size: 464
    .language:       OpenCL C
    .language_version:
      - 2
      - 0
    .max_flat_workgroup_size: 128
    .name:           _ZL15flash_attn_tileILi576ELi512ELi1ELi4ELb0EEvPKcS1_S1_S1_S1_PKiPfP15HIP_vector_typeIfLj2EEffffjfiS5_IjLj3EEiiiiiiiiiiiliiliiiiil
    .private_segment_fixed_size: 0
    .sgpr_count:     54
    .sgpr_spill_count: 0
    .symbol:         _ZL15flash_attn_tileILi576ELi512ELi1ELi4ELb0EEvPKcS1_S1_S1_S1_PKiPfP15HIP_vector_typeIfLj2EEffffjfiS5_IjLj3EEiiiiiiiiiiiliiliiiiil.kd
    .uniform_work_group_size: 1
    .uses_dynamic_stack: false
    .vgpr_count:     89
    .vgpr_spill_count: 0
    .wavefront_size: 32
  - .args:
      - .address_space:  global
        .offset:         0
        .size:           8
        .value_kind:     global_buffer
      - .address_space:  global
        .offset:         8
        .size:           8
        .value_kind:     global_buffer
      - .offset:         16
        .size:           4
        .value_kind:     by_value
      - .offset:         20
        .size:           4
        .value_kind:     by_value
      - .offset:         24
        .size:           4
        .value_kind:     by_value
      - .offset:         28
        .size:           4
        .value_kind:     by_value
      - .offset:         32
        .size:           4
        .value_kind:     by_value
      - .offset:         36
        .size:           4
        .value_kind:     by_value
      - .offset:         40
        .size:           12
        .value_kind:     by_value
      - .offset:         52
        .size:           12
        .value_kind:     by_value
      - .offset:         64
        .size:           12
        .value_kind:     by_value
    .group_segment_fixed_size: 0
    .kernarg_segment_align: 8
    .kernarg_segment_size: 76
    .language:       OpenCL C
    .language_version:
      - 2
      - 0
    .max_flat_workgroup_size: 512
    .name:           _ZL33flash_attn_stream_k_fixup_uniformILi512ELi1ELi4EEvPfPK15HIP_vector_typeIfLj2EEiiiiiiS1_IjLj3EES5_S5_
    .private_segment_fixed_size: 0
    .sgpr_count:     23
    .sgpr_spill_count: 0
    .symbol:         _ZL33flash_attn_stream_k_fixup_uniformILi512ELi1ELi4EEvPfPK15HIP_vector_typeIfLj2EEiiiiiiS1_IjLj3EES5_S5_.kd
    .uniform_work_group_size: 1
    .uses_dynamic_stack: false
    .vgpr_count:     12
    .vgpr_spill_count: 0
    .wavefront_size: 32
  - .args:
      - .address_space:  global
        .offset:         0
        .size:           8
        .value_kind:     global_buffer
      - .address_space:  global
        .offset:         8
        .size:           8
        .value_kind:     global_buffer
      - .offset:         16
        .size:           4
        .value_kind:     by_value
      - .offset:         20
        .size:           4
        .value_kind:     by_value
      - .offset:         24
        .size:           4
        .value_kind:     by_value
      - .offset:         28
        .size:           4
        .value_kind:     by_value
      - .offset:         32
        .size:           12
        .value_kind:     by_value
      - .offset:         44
        .size:           12
        .value_kind:     by_value
      - .offset:         56
        .size:           12
        .value_kind:     by_value
      - .offset:         68
        .size:           12
        .value_kind:     by_value
      - .offset:         80
        .size:           4
        .value_kind:     hidden_block_count_x
      - .offset:         84
        .size:           4
        .value_kind:     hidden_block_count_y
      - .offset:         88
        .size:           4
        .value_kind:     hidden_block_count_z
      - .offset:         92
        .size:           2
        .value_kind:     hidden_group_size_x
      - .offset:         94
        .size:           2
        .value_kind:     hidden_group_size_y
      - .offset:         96
        .size:           2
        .value_kind:     hidden_group_size_z
      - .offset:         98
        .size:           2
        .value_kind:     hidden_remainder_x
      - .offset:         100
        .size:           2
        .value_kind:     hidden_remainder_y
      - .offset:         102
        .size:           2
        .value_kind:     hidden_remainder_z
      - .offset:         120
        .size:           8
        .value_kind:     hidden_global_offset_x
      - .offset:         128
        .size:           8
        .value_kind:     hidden_global_offset_y
      - .offset:         136
        .size:           8
        .value_kind:     hidden_global_offset_z
      - .offset:         144
        .size:           2
        .value_kind:     hidden_grid_dims
    .group_segment_fixed_size: 0
    .kernarg_segment_align: 8
    .kernarg_segment_size: 336
    .language:       OpenCL C
    .language_version:
      - 2
      - 0
    .max_flat_workgroup_size: 512
    .name:           _ZL33flash_attn_stream_k_fixup_generalILi512ELi1ELi4EEvPfPK15HIP_vector_typeIfLj2EEiiiiS1_IjLj3EES5_S5_S5_
    .private_segment_fixed_size: 0
    .sgpr_count:     48
    .sgpr_spill_count: 0
    .symbol:         _ZL33flash_attn_stream_k_fixup_generalILi512ELi1ELi4EEvPfPK15HIP_vector_typeIfLj2EEiiiiS1_IjLj3EES5_S5_S5_.kd
    .uniform_work_group_size: 1
    .uses_dynamic_stack: false
    .vgpr_count:     12
    .vgpr_spill_count: 0
    .wavefront_size: 32
  - .args:
      - .address_space:  global
        .offset:         0
        .size:           8
        .value_kind:     global_buffer
      - .address_space:  global
        .offset:         8
        .size:           8
        .value_kind:     global_buffer
      - .address_space:  global
        .offset:         16
        .size:           8
        .value_kind:     global_buffer
      - .address_space:  global
        .offset:         24
        .size:           8
        .value_kind:     global_buffer
      - .address_space:  global
        .offset:         32
        .size:           8
        .value_kind:     global_buffer
      - .address_space:  global
        .offset:         40
        .size:           8
        .value_kind:     global_buffer
      - .address_space:  global
        .offset:         48
        .size:           8
        .value_kind:     global_buffer
      - .address_space:  global
        .offset:         56
        .size:           8
        .value_kind:     global_buffer
      - .offset:         64
        .size:           4
        .value_kind:     by_value
      - .offset:         68
        .size:           4
        .value_kind:     by_value
      - .offset:         72
        .size:           4
        .value_kind:     by_value
      - .offset:         76
        .size:           4
        .value_kind:     by_value
      - .offset:         80
        .size:           4
        .value_kind:     by_value
      - .offset:         84
        .size:           4
        .value_kind:     by_value
      - .offset:         88
        .size:           4
        .value_kind:     by_value
      - .offset:         92
        .size:           12
        .value_kind:     by_value
      - .offset:         104
        .size:           4
        .value_kind:     by_value
      - .offset:         108
        .size:           4
        .value_kind:     by_value
      - .offset:         112
        .size:           4
        .value_kind:     by_value
      - .offset:         116
        .size:           4
        .value_kind:     by_value
      - .offset:         120
        .size:           4
        .value_kind:     by_value
      - .offset:         124
        .size:           4
        .value_kind:     by_value
      - .offset:         128
        .size:           4
        .value_kind:     by_value
      - .offset:         132
        .size:           4
        .value_kind:     by_value
      - .offset:         136
        .size:           4
        .value_kind:     by_value
      - .offset:         140
        .size:           4
        .value_kind:     by_value
      - .offset:         144
        .size:           4
        .value_kind:     by_value
      - .offset:         152
        .size:           8
        .value_kind:     by_value
      - .offset:         160
        .size:           4
        .value_kind:     by_value
      - .offset:         164
        .size:           4
        .value_kind:     by_value
      - .offset:         168
        .size:           8
        .value_kind:     by_value
      - .offset:         176
        .size:           4
        .value_kind:     by_value
      - .offset:         180
        .size:           4
        .value_kind:     by_value
      - .offset:         184
        .size:           4
        .value_kind:     by_value
      - .offset:         188
        .size:           4
        .value_kind:     by_value
      - .offset:         192
        .size:           4
        .value_kind:     by_value
      - .offset:         200
        .size:           8
        .value_kind:     by_value
      - .offset:         208
        .size:           4
        .value_kind:     hidden_block_count_x
      - .offset:         212
        .size:           4
        .value_kind:     hidden_block_count_y
      - .offset:         216
        .size:           4
        .value_kind:     hidden_block_count_z
      - .offset:         220
        .size:           2
        .value_kind:     hidden_group_size_x
      - .offset:         222
        .size:           2
        .value_kind:     hidden_group_size_y
      - .offset:         224
        .size:           2
        .value_kind:     hidden_group_size_z
      - .offset:         226
        .size:           2
        .value_kind:     hidden_remainder_x
      - .offset:         228
        .size:           2
        .value_kind:     hidden_remainder_y
      - .offset:         230
        .size:           2
        .value_kind:     hidden_remainder_z
      - .offset:         248
        .size:           8
        .value_kind:     hidden_global_offset_x
      - .offset:         256
        .size:           8
        .value_kind:     hidden_global_offset_y
      - .offset:         264
        .size:           8
        .value_kind:     hidden_global_offset_z
      - .offset:         272
        .size:           2
        .value_kind:     hidden_grid_dims
    .group_segment_fixed_size: 63488
    .kernarg_segment_align: 8
    .kernarg_segment_size: 464
    .language:       OpenCL C
    .language_version:
      - 2
      - 0
    .max_flat_workgroup_size: 256
    .name:           _ZL15flash_attn_tileILi576ELi512ELi2ELi16ELb1EEvPKcS1_S1_S1_S1_PKiPfP15HIP_vector_typeIfLj2EEffffjfiS5_IjLj3EEiiiiiiiiiiiliiliiiiil
    .private_segment_fixed_size: 0
    .sgpr_count:     45
    .sgpr_spill_count: 0
    .symbol:         _ZL15flash_attn_tileILi576ELi512ELi2ELi16ELb1EEvPKcS1_S1_S1_S1_PKiPfP15HIP_vector_typeIfLj2EEffffjfiS5_IjLj3EEiiiiiiiiiiiliiliiiiil.kd
    .uniform_work_group_size: 1
    .uses_dynamic_stack: false
    .vgpr_count:     216
    .vgpr_spill_count: 0
    .wavefront_size: 32
  - .args:
      - .address_space:  global
        .offset:         0
        .size:           8
        .value_kind:     global_buffer
      - .address_space:  global
        .offset:         8
        .size:           8
        .value_kind:     global_buffer
      - .address_space:  global
        .offset:         16
        .size:           8
        .value_kind:     global_buffer
      - .address_space:  global
        .offset:         24
        .size:           8
        .value_kind:     global_buffer
      - .address_space:  global
        .offset:         32
        .size:           8
        .value_kind:     global_buffer
      - .address_space:  global
        .offset:         40
        .size:           8
        .value_kind:     global_buffer
      - .address_space:  global
        .offset:         48
        .size:           8
        .value_kind:     global_buffer
      - .address_space:  global
        .offset:         56
        .size:           8
        .value_kind:     global_buffer
      - .offset:         64
        .size:           4
        .value_kind:     by_value
      - .offset:         68
        .size:           4
        .value_kind:     by_value
      - .offset:         72
        .size:           4
        .value_kind:     by_value
      - .offset:         76
        .size:           4
        .value_kind:     by_value
      - .offset:         80
        .size:           4
        .value_kind:     by_value
      - .offset:         84
        .size:           4
        .value_kind:     by_value
      - .offset:         88
        .size:           4
        .value_kind:     by_value
      - .offset:         92
        .size:           12
        .value_kind:     by_value
      - .offset:         104
        .size:           4
        .value_kind:     by_value
      - .offset:         108
        .size:           4
        .value_kind:     by_value
      - .offset:         112
        .size:           4
        .value_kind:     by_value
      - .offset:         116
        .size:           4
        .value_kind:     by_value
      - .offset:         120
        .size:           4
        .value_kind:     by_value
      - .offset:         124
        .size:           4
        .value_kind:     by_value
      - .offset:         128
        .size:           4
        .value_kind:     by_value
      - .offset:         132
        .size:           4
        .value_kind:     by_value
      - .offset:         136
        .size:           4
        .value_kind:     by_value
      - .offset:         140
        .size:           4
        .value_kind:     by_value
      - .offset:         144
        .size:           4
        .value_kind:     by_value
      - .offset:         152
        .size:           8
        .value_kind:     by_value
      - .offset:         160
        .size:           4
        .value_kind:     by_value
      - .offset:         164
        .size:           4
        .value_kind:     by_value
      - .offset:         168
        .size:           8
        .value_kind:     by_value
      - .offset:         176
        .size:           4
        .value_kind:     by_value
      - .offset:         180
        .size:           4
        .value_kind:     by_value
      - .offset:         184
        .size:           4
        .value_kind:     by_value
      - .offset:         188
        .size:           4
        .value_kind:     by_value
      - .offset:         192
        .size:           4
        .value_kind:     by_value
      - .offset:         200
        .size:           8
        .value_kind:     by_value
      - .offset:         208
        .size:           4
        .value_kind:     hidden_block_count_x
      - .offset:         212
        .size:           4
        .value_kind:     hidden_block_count_y
      - .offset:         216
        .size:           4
        .value_kind:     hidden_block_count_z
      - .offset:         220
        .size:           2
        .value_kind:     hidden_group_size_x
      - .offset:         222
        .size:           2
        .value_kind:     hidden_group_size_y
      - .offset:         224
        .size:           2
        .value_kind:     hidden_group_size_z
      - .offset:         226
        .size:           2
        .value_kind:     hidden_remainder_x
      - .offset:         228
        .size:           2
        .value_kind:     hidden_remainder_y
      - .offset:         230
        .size:           2
        .value_kind:     hidden_remainder_z
      - .offset:         248
        .size:           8
        .value_kind:     hidden_global_offset_x
      - .offset:         256
        .size:           8
        .value_kind:     hidden_global_offset_y
      - .offset:         264
        .size:           8
        .value_kind:     hidden_global_offset_z
      - .offset:         272
        .size:           2
        .value_kind:     hidden_grid_dims
    .group_segment_fixed_size: 29696
    .kernarg_segment_align: 8
    .kernarg_segment_size: 464
    .language:       OpenCL C
    .language_version:
      - 2
      - 0
    .max_flat_workgroup_size: 256
    .name:           _ZL15flash_attn_tileILi576ELi512ELi1ELi16ELb1EEvPKcS1_S1_S1_S1_PKiPfP15HIP_vector_typeIfLj2EEffffjfiS5_IjLj3EEiiiiiiiiiiiliiliiiiil
    .private_segment_fixed_size: 0
    .sgpr_count:     45
    .sgpr_spill_count: 0
    .symbol:         _ZL15flash_attn_tileILi576ELi512ELi1ELi16ELb1EEvPKcS1_S1_S1_S1_PKiPfP15HIP_vector_typeIfLj2EEffffjfiS5_IjLj3EEiiiiiiiiiiiliiliiiiil.kd
    .uniform_work_group_size: 1
    .uses_dynamic_stack: false
    .vgpr_count:     135
    .vgpr_spill_count: 0
    .wavefront_size: 32
  - .args:
      - .address_space:  global
        .offset:         0
        .size:           8
        .value_kind:     global_buffer
      - .address_space:  global
        .offset:         8
        .size:           8
        .value_kind:     global_buffer
      - .address_space:  global
        .offset:         16
        .size:           8
        .value_kind:     global_buffer
      - .address_space:  global
        .offset:         24
        .size:           8
        .value_kind:     global_buffer
      - .address_space:  global
        .offset:         32
        .size:           8
        .value_kind:     global_buffer
      - .address_space:  global
        .offset:         40
        .size:           8
        .value_kind:     global_buffer
      - .address_space:  global
        .offset:         48
        .size:           8
        .value_kind:     global_buffer
      - .address_space:  global
        .offset:         56
        .size:           8
        .value_kind:     global_buffer
      - .offset:         64
        .size:           4
        .value_kind:     by_value
      - .offset:         68
        .size:           4
        .value_kind:     by_value
      - .offset:         72
        .size:           4
        .value_kind:     by_value
      - .offset:         76
        .size:           4
        .value_kind:     by_value
      - .offset:         80
        .size:           4
        .value_kind:     by_value
      - .offset:         84
        .size:           4
        .value_kind:     by_value
      - .offset:         88
        .size:           4
        .value_kind:     by_value
      - .offset:         92
        .size:           12
        .value_kind:     by_value
      - .offset:         104
        .size:           4
        .value_kind:     by_value
      - .offset:         108
        .size:           4
        .value_kind:     by_value
      - .offset:         112
        .size:           4
        .value_kind:     by_value
      - .offset:         116
        .size:           4
        .value_kind:     by_value
      - .offset:         120
        .size:           4
        .value_kind:     by_value
      - .offset:         124
        .size:           4
        .value_kind:     by_value
      - .offset:         128
        .size:           4
        .value_kind:     by_value
      - .offset:         132
        .size:           4
        .value_kind:     by_value
      - .offset:         136
        .size:           4
        .value_kind:     by_value
      - .offset:         140
        .size:           4
        .value_kind:     by_value
      - .offset:         144
        .size:           4
        .value_kind:     by_value
      - .offset:         152
        .size:           8
        .value_kind:     by_value
      - .offset:         160
        .size:           4
        .value_kind:     by_value
      - .offset:         164
        .size:           4
        .value_kind:     by_value
      - .offset:         168
        .size:           8
        .value_kind:     by_value
      - .offset:         176
        .size:           4
        .value_kind:     by_value
      - .offset:         180
        .size:           4
        .value_kind:     by_value
      - .offset:         184
        .size:           4
        .value_kind:     by_value
      - .offset:         188
        .size:           4
        .value_kind:     by_value
      - .offset:         192
        .size:           4
        .value_kind:     by_value
      - .offset:         200
        .size:           8
        .value_kind:     by_value
      - .offset:         208
        .size:           4
        .value_kind:     hidden_block_count_x
      - .offset:         212
        .size:           4
        .value_kind:     hidden_block_count_y
      - .offset:         216
        .size:           4
        .value_kind:     hidden_block_count_z
      - .offset:         220
        .size:           2
        .value_kind:     hidden_group_size_x
      - .offset:         222
        .size:           2
        .value_kind:     hidden_group_size_y
      - .offset:         224
        .size:           2
        .value_kind:     hidden_group_size_z
      - .offset:         226
        .size:           2
        .value_kind:     hidden_remainder_x
      - .offset:         228
        .size:           2
        .value_kind:     hidden_remainder_y
      - .offset:         230
        .size:           2
        .value_kind:     hidden_remainder_z
      - .offset:         248
        .size:           8
        .value_kind:     hidden_global_offset_x
      - .offset:         256
        .size:           8
        .value_kind:     hidden_global_offset_y
      - .offset:         264
        .size:           8
        .value_kind:     hidden_global_offset_z
      - .offset:         272
        .size:           2
        .value_kind:     hidden_grid_dims
    .group_segment_fixed_size: 63488
    .kernarg_segment_align: 8
    .kernarg_segment_size: 464
    .language:       OpenCL C
    .language_version:
      - 2
      - 0
    .max_flat_workgroup_size: 256
    .name:           _ZL15flash_attn_tileILi576ELi512ELi8ELi4ELb1EEvPKcS1_S1_S1_S1_PKiPfP15HIP_vector_typeIfLj2EEffffjfiS5_IjLj3EEiiiiiiiiiiiliiliiiiil
    .private_segment_fixed_size: 0
    .sgpr_count:     44
    .sgpr_spill_count: 0
    .symbol:         _ZL15flash_attn_tileILi576ELi512ELi8ELi4ELb1EEvPKcS1_S1_S1_S1_PKiPfP15HIP_vector_typeIfLj2EEffffjfiS5_IjLj3EEiiiiiiiiiiiliiliiiiil.kd
    .uniform_work_group_size: 1
    .uses_dynamic_stack: false
    .vgpr_count:     215
    .vgpr_spill_count: 0
    .wavefront_size: 32
  - .args:
      - .address_space:  global
        .offset:         0
        .size:           8
        .value_kind:     global_buffer
      - .address_space:  global
        .offset:         8
        .size:           8
        .value_kind:     global_buffer
      - .address_space:  global
        .offset:         16
        .size:           8
        .value_kind:     global_buffer
      - .address_space:  global
        .offset:         24
        .size:           8
        .value_kind:     global_buffer
      - .address_space:  global
        .offset:         32
        .size:           8
        .value_kind:     global_buffer
      - .address_space:  global
        .offset:         40
        .size:           8
        .value_kind:     global_buffer
      - .address_space:  global
        .offset:         48
        .size:           8
        .value_kind:     global_buffer
      - .address_space:  global
        .offset:         56
        .size:           8
        .value_kind:     global_buffer
      - .offset:         64
        .size:           4
        .value_kind:     by_value
      - .offset:         68
        .size:           4
        .value_kind:     by_value
      - .offset:         72
        .size:           4
        .value_kind:     by_value
      - .offset:         76
        .size:           4
        .value_kind:     by_value
      - .offset:         80
        .size:           4
        .value_kind:     by_value
      - .offset:         84
        .size:           4
        .value_kind:     by_value
      - .offset:         88
        .size:           4
        .value_kind:     by_value
      - .offset:         92
        .size:           12
        .value_kind:     by_value
      - .offset:         104
        .size:           4
        .value_kind:     by_value
      - .offset:         108
        .size:           4
        .value_kind:     by_value
      - .offset:         112
        .size:           4
        .value_kind:     by_value
      - .offset:         116
        .size:           4
        .value_kind:     by_value
      - .offset:         120
        .size:           4
        .value_kind:     by_value
      - .offset:         124
        .size:           4
        .value_kind:     by_value
      - .offset:         128
        .size:           4
        .value_kind:     by_value
      - .offset:         132
        .size:           4
        .value_kind:     by_value
      - .offset:         136
        .size:           4
        .value_kind:     by_value
      - .offset:         140
        .size:           4
        .value_kind:     by_value
      - .offset:         144
        .size:           4
        .value_kind:     by_value
      - .offset:         152
        .size:           8
        .value_kind:     by_value
      - .offset:         160
        .size:           4
        .value_kind:     by_value
      - .offset:         164
        .size:           4
        .value_kind:     by_value
      - .offset:         168
        .size:           8
        .value_kind:     by_value
      - .offset:         176
        .size:           4
        .value_kind:     by_value
      - .offset:         180
        .size:           4
        .value_kind:     by_value
      - .offset:         184
        .size:           4
        .value_kind:     by_value
      - .offset:         188
        .size:           4
        .value_kind:     by_value
      - .offset:         192
        .size:           4
        .value_kind:     by_value
      - .offset:         200
        .size:           8
        .value_kind:     by_value
      - .offset:         208
        .size:           4
        .value_kind:     hidden_block_count_x
      - .offset:         212
        .size:           4
        .value_kind:     hidden_block_count_y
      - .offset:         216
        .size:           4
        .value_kind:     hidden_block_count_z
      - .offset:         220
        .size:           2
        .value_kind:     hidden_group_size_x
      - .offset:         222
        .size:           2
        .value_kind:     hidden_group_size_y
      - .offset:         224
        .size:           2
        .value_kind:     hidden_group_size_z
      - .offset:         226
        .size:           2
        .value_kind:     hidden_remainder_x
      - .offset:         228
        .size:           2
        .value_kind:     hidden_remainder_y
      - .offset:         230
        .size:           2
        .value_kind:     hidden_remainder_z
      - .offset:         248
        .size:           8
        .value_kind:     hidden_global_offset_x
      - .offset:         256
        .size:           8
        .value_kind:     hidden_global_offset_y
      - .offset:         264
        .size:           8
        .value_kind:     hidden_global_offset_z
      - .offset:         272
        .size:           2
        .value_kind:     hidden_grid_dims
    .group_segment_fixed_size: 29696
    .kernarg_segment_align: 8
    .kernarg_segment_size: 464
    .language:       OpenCL C
    .language_version:
      - 2
      - 0
    .max_flat_workgroup_size: 256
    .name:           _ZL15flash_attn_tileILi576ELi512ELi4ELi4ELb1EEvPKcS1_S1_S1_S1_PKiPfP15HIP_vector_typeIfLj2EEffffjfiS5_IjLj3EEiiiiiiiiiiiliiliiiiil
    .private_segment_fixed_size: 0
    .sgpr_count:     45
    .sgpr_spill_count: 0
    .symbol:         _ZL15flash_attn_tileILi576ELi512ELi4ELi4ELb1EEvPKcS1_S1_S1_S1_PKiPfP15HIP_vector_typeIfLj2EEffffjfiS5_IjLj3EEiiiiiiiiiiiliiliiiiil.kd
    .uniform_work_group_size: 1
    .uses_dynamic_stack: false
    .vgpr_count:     135
    .vgpr_spill_count: 0
    .wavefront_size: 32
  - .args:
      - .address_space:  global
        .offset:         0
        .size:           8
        .value_kind:     global_buffer
      - .address_space:  global
        .offset:         8
        .size:           8
        .value_kind:     global_buffer
      - .address_space:  global
        .offset:         16
        .size:           8
        .value_kind:     global_buffer
      - .address_space:  global
        .offset:         24
        .size:           8
        .value_kind:     global_buffer
      - .address_space:  global
        .offset:         32
        .size:           8
        .value_kind:     global_buffer
      - .address_space:  global
        .offset:         40
        .size:           8
        .value_kind:     global_buffer
      - .address_space:  global
        .offset:         48
        .size:           8
        .value_kind:     global_buffer
      - .address_space:  global
        .offset:         56
        .size:           8
        .value_kind:     global_buffer
      - .offset:         64
        .size:           4
        .value_kind:     by_value
      - .offset:         68
        .size:           4
        .value_kind:     by_value
      - .offset:         72
        .size:           4
        .value_kind:     by_value
      - .offset:         76
        .size:           4
        .value_kind:     by_value
      - .offset:         80
        .size:           4
        .value_kind:     by_value
      - .offset:         84
        .size:           4
        .value_kind:     by_value
      - .offset:         88
        .size:           4
        .value_kind:     by_value
      - .offset:         92
        .size:           12
        .value_kind:     by_value
      - .offset:         104
        .size:           4
        .value_kind:     by_value
      - .offset:         108
        .size:           4
        .value_kind:     by_value
      - .offset:         112
        .size:           4
        .value_kind:     by_value
      - .offset:         116
        .size:           4
        .value_kind:     by_value
      - .offset:         120
        .size:           4
        .value_kind:     by_value
      - .offset:         124
        .size:           4
        .value_kind:     by_value
      - .offset:         128
        .size:           4
        .value_kind:     by_value
      - .offset:         132
        .size:           4
        .value_kind:     by_value
      - .offset:         136
        .size:           4
        .value_kind:     by_value
      - .offset:         140
        .size:           4
        .value_kind:     by_value
      - .offset:         144
        .size:           4
        .value_kind:     by_value
      - .offset:         152
        .size:           8
        .value_kind:     by_value
      - .offset:         160
        .size:           4
        .value_kind:     by_value
      - .offset:         164
        .size:           4
        .value_kind:     by_value
      - .offset:         168
        .size:           8
        .value_kind:     by_value
      - .offset:         176
        .size:           4
        .value_kind:     by_value
      - .offset:         180
        .size:           4
        .value_kind:     by_value
      - .offset:         184
        .size:           4
        .value_kind:     by_value
      - .offset:         188
        .size:           4
        .value_kind:     by_value
      - .offset:         192
        .size:           4
        .value_kind:     by_value
      - .offset:         200
        .size:           8
        .value_kind:     by_value
      - .offset:         208
        .size:           4
        .value_kind:     hidden_block_count_x
      - .offset:         212
        .size:           4
        .value_kind:     hidden_block_count_y
      - .offset:         216
        .size:           4
        .value_kind:     hidden_block_count_z
      - .offset:         220
        .size:           2
        .value_kind:     hidden_group_size_x
      - .offset:         222
        .size:           2
        .value_kind:     hidden_group_size_y
      - .offset:         224
        .size:           2
        .value_kind:     hidden_group_size_z
      - .offset:         226
        .size:           2
        .value_kind:     hidden_remainder_x
      - .offset:         228
        .size:           2
        .value_kind:     hidden_remainder_y
      - .offset:         230
        .size:           2
        .value_kind:     hidden_remainder_z
      - .offset:         248
        .size:           8
        .value_kind:     hidden_global_offset_x
      - .offset:         256
        .size:           8
        .value_kind:     hidden_global_offset_y
      - .offset:         264
        .size:           8
        .value_kind:     hidden_global_offset_z
      - .offset:         272
        .size:           2
        .value_kind:     hidden_grid_dims
    .group_segment_fixed_size: 19456
    .kernarg_segment_align: 8
    .kernarg_segment_size: 464
    .language:       OpenCL C
    .language_version:
      - 2
      - 0
    .max_flat_workgroup_size: 256
    .name:           _ZL15flash_attn_tileILi576ELi512ELi2ELi4ELb1EEvPKcS1_S1_S1_S1_PKiPfP15HIP_vector_typeIfLj2EEffffjfiS5_IjLj3EEiiiiiiiiiiiliiliiiiil
    .private_segment_fixed_size: 0
    .sgpr_count:     45
    .sgpr_spill_count: 0
    .symbol:         _ZL15flash_attn_tileILi576ELi512ELi2ELi4ELb1EEvPKcS1_S1_S1_S1_PKiPfP15HIP_vector_typeIfLj2EEffffjfiS5_IjLj3EEiiiiiiiiiiiliiliiiiil.kd
    .uniform_work_group_size: 1
    .uses_dynamic_stack: false
    .vgpr_count:     92
    .vgpr_spill_count: 0
    .wavefront_size: 32
  - .args:
      - .address_space:  global
        .offset:         0
        .size:           8
        .value_kind:     global_buffer
      - .address_space:  global
        .offset:         8
        .size:           8
        .value_kind:     global_buffer
      - .address_space:  global
        .offset:         16
        .size:           8
        .value_kind:     global_buffer
      - .address_space:  global
        .offset:         24
        .size:           8
        .value_kind:     global_buffer
      - .address_space:  global
        .offset:         32
        .size:           8
        .value_kind:     global_buffer
      - .address_space:  global
        .offset:         40
        .size:           8
        .value_kind:     global_buffer
      - .address_space:  global
        .offset:         48
        .size:           8
        .value_kind:     global_buffer
      - .address_space:  global
        .offset:         56
        .size:           8
        .value_kind:     global_buffer
      - .offset:         64
        .size:           4
        .value_kind:     by_value
      - .offset:         68
        .size:           4
        .value_kind:     by_value
      - .offset:         72
        .size:           4
        .value_kind:     by_value
      - .offset:         76
        .size:           4
        .value_kind:     by_value
      - .offset:         80
        .size:           4
        .value_kind:     by_value
      - .offset:         84
        .size:           4
        .value_kind:     by_value
      - .offset:         88
        .size:           4
        .value_kind:     by_value
      - .offset:         92
        .size:           12
        .value_kind:     by_value
      - .offset:         104
        .size:           4
        .value_kind:     by_value
      - .offset:         108
        .size:           4
        .value_kind:     by_value
      - .offset:         112
        .size:           4
        .value_kind:     by_value
      - .offset:         116
        .size:           4
        .value_kind:     by_value
      - .offset:         120
        .size:           4
        .value_kind:     by_value
      - .offset:         124
        .size:           4
        .value_kind:     by_value
      - .offset:         128
        .size:           4
        .value_kind:     by_value
      - .offset:         132
        .size:           4
        .value_kind:     by_value
      - .offset:         136
        .size:           4
        .value_kind:     by_value
      - .offset:         140
        .size:           4
        .value_kind:     by_value
      - .offset:         144
        .size:           4
        .value_kind:     by_value
      - .offset:         152
        .size:           8
        .value_kind:     by_value
      - .offset:         160
        .size:           4
        .value_kind:     by_value
      - .offset:         164
        .size:           4
        .value_kind:     by_value
      - .offset:         168
        .size:           8
        .value_kind:     by_value
      - .offset:         176
        .size:           4
        .value_kind:     by_value
      - .offset:         180
        .size:           4
        .value_kind:     by_value
      - .offset:         184
        .size:           4
        .value_kind:     by_value
      - .offset:         188
        .size:           4
        .value_kind:     by_value
      - .offset:         192
        .size:           4
        .value_kind:     by_value
      - .offset:         200
        .size:           8
        .value_kind:     by_value
      - .offset:         208
        .size:           4
        .value_kind:     hidden_block_count_x
      - .offset:         212
        .size:           4
        .value_kind:     hidden_block_count_y
      - .offset:         216
        .size:           4
        .value_kind:     hidden_block_count_z
      - .offset:         220
        .size:           2
        .value_kind:     hidden_group_size_x
      - .offset:         222
        .size:           2
        .value_kind:     hidden_group_size_y
      - .offset:         224
        .size:           2
        .value_kind:     hidden_group_size_z
      - .offset:         226
        .size:           2
        .value_kind:     hidden_remainder_x
      - .offset:         228
        .size:           2
        .value_kind:     hidden_remainder_y
      - .offset:         230
        .size:           2
        .value_kind:     hidden_remainder_z
      - .offset:         248
        .size:           8
        .value_kind:     hidden_global_offset_x
      - .offset:         256
        .size:           8
        .value_kind:     hidden_global_offset_y
      - .offset:         264
        .size:           8
        .value_kind:     hidden_global_offset_z
      - .offset:         272
        .size:           2
        .value_kind:     hidden_grid_dims
    .group_segment_fixed_size: 14336
    .kernarg_segment_align: 8
    .kernarg_segment_size: 464
    .language:       OpenCL C
    .language_version:
      - 2
      - 0
    .max_flat_workgroup_size: 128
    .name:           _ZL15flash_attn_tileILi576ELi512ELi1ELi4ELb1EEvPKcS1_S1_S1_S1_PKiPfP15HIP_vector_typeIfLj2EEffffjfiS5_IjLj3EEiiiiiiiiiiiliiliiiiil
    .private_segment_fixed_size: 0
    .sgpr_count:     45
    .sgpr_spill_count: 0
    .symbol:         _ZL15flash_attn_tileILi576ELi512ELi1ELi4ELb1EEvPKcS1_S1_S1_S1_PKiPfP15HIP_vector_typeIfLj2EEffffjfiS5_IjLj3EEiiiiiiiiiiiliiliiiiil.kd
    .uniform_work_group_size: 1
    .uses_dynamic_stack: false
    .vgpr_count:     134
    .vgpr_spill_count: 0
    .wavefront_size: 32
amdhsa.target:   amdgcn-amd-amdhsa--gfx1250
amdhsa.version:
  - 1
  - 2
...

	.end_amdgpu_metadata
